;; amdgpu-corpus repo=ROCm/aiter kind=compiled arch=gfx942 opt=O3
	.text
	.amdgcn_target "amdgcn-amd-amdhsa--gfx942"
	.amdhsa_code_object_version 6
	.section	.text._ZN7ck_tileL11flush_cacheEv,"axG",@progbits,_ZN7ck_tileL11flush_cacheEv,comdat
	.globl	_ZN7ck_tileL11flush_cacheEv     ; -- Begin function _ZN7ck_tileL11flush_cacheEv
	.p2align	8
	.type	_ZN7ck_tileL11flush_cacheEv,@function
_ZN7ck_tileL11flush_cacheEv:            ; @_ZN7ck_tileL11flush_cacheEv
; %bb.0:
	;;#ASMSTART
	s_icache_inv 
	s_nop 0 
	s_nop 0 
	;; [unrolled: 1-line block ×16, first 2 shown]
	
	;;#ASMEND
	s_endpgm
	.section	.rodata,"a",@progbits
	.p2align	6, 0x0
	.amdhsa_kernel _ZN7ck_tileL11flush_cacheEv
		.amdhsa_group_segment_fixed_size 0
		.amdhsa_private_segment_fixed_size 0
		.amdhsa_kernarg_size 0
		.amdhsa_user_sgpr_count 0
		.amdhsa_user_sgpr_dispatch_ptr 0
		.amdhsa_user_sgpr_queue_ptr 0
		.amdhsa_user_sgpr_kernarg_segment_ptr 0
		.amdhsa_user_sgpr_dispatch_id 0
		.amdhsa_user_sgpr_kernarg_preload_length 0
		.amdhsa_user_sgpr_kernarg_preload_offset 0
		.amdhsa_user_sgpr_private_segment_size 0
		.amdhsa_uses_dynamic_stack 0
		.amdhsa_enable_private_segment 0
		.amdhsa_system_sgpr_workgroup_id_x 1
		.amdhsa_system_sgpr_workgroup_id_y 0
		.amdhsa_system_sgpr_workgroup_id_z 0
		.amdhsa_system_sgpr_workgroup_info 0
		.amdhsa_system_vgpr_workitem_id 0
		.amdhsa_next_free_vgpr 1
		.amdhsa_next_free_sgpr 0
		.amdhsa_accum_offset 4
		.amdhsa_reserve_vcc 0
		.amdhsa_float_round_mode_32 0
		.amdhsa_float_round_mode_16_64 0
		.amdhsa_float_denorm_mode_32 3
		.amdhsa_float_denorm_mode_16_64 3
		.amdhsa_dx10_clamp 1
		.amdhsa_ieee_mode 1
		.amdhsa_fp16_overflow 0
		.amdhsa_tg_split 0
		.amdhsa_exception_fp_ieee_invalid_op 0
		.amdhsa_exception_fp_denorm_src 0
		.amdhsa_exception_fp_ieee_div_zero 0
		.amdhsa_exception_fp_ieee_overflow 0
		.amdhsa_exception_fp_ieee_underflow 0
		.amdhsa_exception_fp_ieee_inexact 0
		.amdhsa_exception_int_div_zero 0
	.end_amdhsa_kernel
	.section	.text._ZN7ck_tileL11flush_cacheEv,"axG",@progbits,_ZN7ck_tileL11flush_cacheEv,comdat
.Lfunc_end0:
	.size	_ZN7ck_tileL11flush_cacheEv, .Lfunc_end0-_ZN7ck_tileL11flush_cacheEv
                                        ; -- End function
	.section	.AMDGPU.csdata,"",@progbits
; Kernel info:
; codeLenInByte = 140
; NumSgprs: 6
; NumVgprs: 0
; NumAgprs: 0
; TotalNumVgprs: 0
; ScratchSize: 0
; MemoryBound: 0
; FloatMode: 240
; IeeeMode: 1
; LDSByteSize: 0 bytes/workgroup (compile time only)
; SGPRBlocks: 0
; VGPRBlocks: 0
; NumSGPRsForWavesPerEU: 6
; NumVGPRsForWavesPerEU: 1
; AccumOffset: 4
; Occupancy: 8
; WaveLimiterHint : 0
; COMPUTE_PGM_RSRC2:SCRATCH_EN: 0
; COMPUTE_PGM_RSRC2:USER_SGPR: 0
; COMPUTE_PGM_RSRC2:TRAP_HANDLER: 0
; COMPUTE_PGM_RSRC2:TGID_X_EN: 1
; COMPUTE_PGM_RSRC2:TGID_Y_EN: 0
; COMPUTE_PGM_RSRC2:TGID_Z_EN: 0
; COMPUTE_PGM_RSRC2:TIDIG_COMP_CNT: 0
; COMPUTE_PGM_RSRC3_GFX90A:ACCUM_OFFSET: 0
; COMPUTE_PGM_RSRC3_GFX90A:TG_SPLIT: 0
	.text
	.protected	_ZN5aiter20matrixMultiplySharedEPfS0_S0_iiiiii ; -- Begin function _ZN5aiter20matrixMultiplySharedEPfS0_S0_iiiiii
	.globl	_ZN5aiter20matrixMultiplySharedEPfS0_S0_iiiiii
	.p2align	8
	.type	_ZN5aiter20matrixMultiplySharedEPfS0_S0_iiiiii,@function
_ZN5aiter20matrixMultiplySharedEPfS0_S0_iiiiii: ; @_ZN5aiter20matrixMultiplySharedEPfS0_S0_iiiiii
; %bb.0:
	s_load_dword s16, s[0:1], 0x3c
	s_load_dwordx4 s[4:7], s[0:1], 0x0
	s_load_dwordx2 s[14:15], s[0:1], 0x10
	s_load_dwordx4 s[8:11], s[0:1], 0x18
	s_load_dwordx2 s[12:13], s[0:1], 0x28
	s_waitcnt lgkmcnt(0)
	s_lshr_b32 s0, s16, 16
	s_mul_i32 s3, s3, s0
	v_bfe_u32 v6, v0, 10, 10
	s_and_b32 s0, s16, 0xffff
	v_and_b32_e32 v7, 0x3ff, v0
	s_mul_i32 s2, s2, s0
	v_lshlrev_b32_e32 v2, 2, v7
	v_lshlrev_b32_e32 v8, 7, v6
	s_add_i32 s0, s9, -1
	v_add_u32_e32 v1, s3, v6
	v_add_u32_e32 v0, s2, v7
	;; [unrolled: 1-line block ×3, first 2 shown]
	v_or_b32_e32 v10, 0x1000, v2
	s_lshr_b32 s3, s0, 5
	v_mul_lo_u32 v2, v6, s11
	v_add_u32_e32 v11, v10, v8
	v_cmp_gt_i32_e32 vcc, s8, v1
	v_cmp_gt_i32_e64 s[0:1], s11, v0
	v_mul_lo_u32 v12, v1, s9
	s_add_i32 s8, s3, 1
	v_add3_u32 v2, v7, v2, s2
	s_lshl_b32 s11, s11, 5
	v_mov_b32_e32 v5, 0
	v_add_u32_e32 v13, 0x400, v10
	v_add_u32_e32 v14, 0x800, v10
	;; [unrolled: 1-line block ×3, first 2 shown]
	v_mov_b32_e32 v16, 0
	s_branch .LBB1_3
.LBB1_1:                                ;   in Loop: Header=BB1_3 Depth=1
	s_or_b64 exec, exec, s[18:19]
.LBB1_2:                                ;   in Loop: Header=BB1_3 Depth=1
	s_or_b64 exec, exec, s[16:17]
	s_waitcnt vmcnt(0)
	ds_write_b32 v11, v3
	s_waitcnt lgkmcnt(0)
	s_barrier
	ds_read2_b32 v[34:35], v10 offset1:32
	ds_read_b128 v[18:21], v8
	ds_read_b128 v[22:25], v8 offset:16
	ds_read2_b32 v[36:37], v10 offset0:64 offset1:96
	ds_read_b128 v[26:29], v8 offset:32
	ds_read_b128 v[30:33], v8 offset:48
	ds_read2_b32 v[38:39], v10 offset0:128 offset1:160
	s_waitcnt lgkmcnt(5)
	v_fmac_f32_e32 v16, v18, v34
	v_fmac_f32_e32 v16, v19, v35
	ds_read2_b32 v[18:19], v10 offset0:192 offset1:224
	s_waitcnt lgkmcnt(4)
	v_fmac_f32_e32 v16, v20, v36
	v_fmac_f32_e32 v16, v21, v37
	ds_read2_b32 v[20:21], v13 offset1:32
	s_waitcnt lgkmcnt(2)
	v_fmac_f32_e32 v16, v22, v38
	v_fmac_f32_e32 v16, v23, v39
	ds_read2_b32 v[22:23], v13 offset0:64 offset1:96
	s_waitcnt lgkmcnt(2)
	v_fmac_f32_e32 v16, v24, v18
	v_fmac_f32_e32 v16, v25, v19
	ds_read2_b32 v[18:19], v13 offset0:128 offset1:160
	s_waitcnt lgkmcnt(2)
	v_fmac_f32_e32 v16, v26, v20
	v_fmac_f32_e32 v16, v27, v21
	s_waitcnt lgkmcnt(1)
	v_fmac_f32_e32 v16, v28, v22
	v_fmac_f32_e32 v16, v29, v23
	ds_read2_b32 v[22:23], v13 offset0:192 offset1:224
	s_waitcnt lgkmcnt(1)
	v_fmac_f32_e32 v16, v30, v18
	v_fmac_f32_e32 v16, v31, v19
	ds_read2_b32 v[26:27], v14 offset1:32
	ds_read_b128 v[18:21], v8 offset:64
	s_add_i32 s8, s8, -1
	s_waitcnt lgkmcnt(2)
	v_fmac_f32_e32 v16, v32, v22
	v_fmac_f32_e32 v16, v33, v23
	ds_read2_b32 v[28:29], v14 offset0:64 offset1:96
	ds_read_b128 v[22:25], v8 offset:80
	ds_read2_b32 v[30:31], v14 offset0:128 offset1:160
	s_waitcnt lgkmcnt(3)
	v_fmac_f32_e32 v16, v18, v26
	v_fmac_f32_e32 v16, v19, v27
	ds_read2_b32 v[18:19], v14 offset0:192 offset1:224
	s_waitcnt lgkmcnt(3)
	v_fmac_f32_e32 v16, v20, v28
	v_fmac_f32_e32 v16, v21, v29
	s_waitcnt lgkmcnt(1)
	v_pk_mul_f32 v[20:21], v[22:23], v[30:31]
	v_add_u32_e32 v7, 32, v7
	v_add_f32_e32 v3, v16, v20
	v_add_f32_e32 v3, v3, v21
	s_waitcnt lgkmcnt(0)
	v_pk_mul_f32 v[20:21], v[24:25], v[18:19]
	ds_read2_b32 v[24:25], v15 offset1:32
	ds_read_b128 v[16:19], v8 offset:96
	v_add_f32_e32 v3, v3, v20
	v_add_f32_e32 v3, v3, v21
	ds_read2_b32 v[26:27], v15 offset0:64 offset1:96
	ds_read_b128 v[20:23], v8 offset:112
	v_add_u32_e32 v2, s11, v2
	s_waitcnt lgkmcnt(2)
	v_pk_mul_f32 v[16:17], v[16:17], v[24:25]
	ds_read2_b32 v[24:25], v15 offset0:192 offset1:224
	v_add_f32_e32 v3, v3, v16
	v_add_f32_e32 v3, v3, v17
	ds_read2_b32 v[16:17], v15 offset0:128 offset1:160
	s_waitcnt lgkmcnt(3)
	v_pk_mul_f32 v[18:19], v[18:19], v[26:27]
	s_cmp_eq_u32 s8, 0
	v_add_f32_e32 v3, v3, v18
	v_add_f32_e32 v3, v3, v19
	s_waitcnt lgkmcnt(0)
	v_pk_mul_f32 v[16:17], v[20:21], v[16:17]
	v_add_u32_e32 v6, 32, v6
	v_add_f32_e32 v3, v3, v16
	v_add_f32_e32 v3, v3, v17
	v_pk_mul_f32 v[16:17], v[22:23], v[24:25]
	s_nop 0
	v_add_f32_e32 v3, v3, v16
	v_add_f32_e32 v16, v3, v17
	s_cbranch_scc1 .LBB1_10
.LBB1_3:                                ; =>This Inner Loop Header: Depth=1
	v_mov_b32_e32 v3, 0
	s_and_saveexec_b64 s[16:17], vcc
	s_cbranch_execz .LBB1_7
; %bb.4:                                ;   in Loop: Header=BB1_3 Depth=1
	v_cmp_gt_u32_e64 s[2:3], s9, v7
	v_mov_b32_e32 v3, 0
	s_and_saveexec_b64 s[18:19], s[2:3]
	s_cbranch_execz .LBB1_6
; %bb.5:                                ;   in Loop: Header=BB1_3 Depth=1
	v_add_u32_e32 v4, v12, v7
	v_lshl_add_u64 v[18:19], v[4:5], 2, s[4:5]
	global_load_dword v3, v[18:19], off
.LBB1_6:                                ;   in Loop: Header=BB1_3 Depth=1
	s_or_b64 exec, exec, s[18:19]
.LBB1_7:                                ;   in Loop: Header=BB1_3 Depth=1
	s_or_b64 exec, exec, s[16:17]
	s_waitcnt vmcnt(0)
	ds_write_b32 v9, v3
	v_mov_b32_e32 v3, 0
	s_and_saveexec_b64 s[16:17], s[0:1]
	s_cbranch_execz .LBB1_2
; %bb.8:                                ;   in Loop: Header=BB1_3 Depth=1
	v_cmp_gt_u32_e64 s[2:3], s10, v6
	v_mov_b32_e32 v3, 0
	s_and_saveexec_b64 s[18:19], s[2:3]
	s_cbranch_execz .LBB1_1
; %bb.9:                                ;   in Loop: Header=BB1_3 Depth=1
	v_mov_b32_e32 v3, v5
	v_lshl_add_u64 v[18:19], v[2:3], 2, s[6:7]
	global_load_dword v3, v[18:19], off
	s_branch .LBB1_1
.LBB1_10:
	v_cmp_gt_i32_e32 vcc, s12, v1
	v_cmp_gt_i32_e64 s[0:1], s13, v0
	s_and_b64 s[0:1], vcc, s[0:1]
	s_and_saveexec_b64 s[2:3], s[0:1]
	s_cbranch_execz .LBB1_12
; %bb.11:
	v_mad_u64_u32 v[0:1], s[0:1], v1, s13, v[0:1]
	v_mov_b32_e32 v2, s14
	v_mov_b32_e32 v3, s15
	v_ashrrev_i32_e32 v1, 31, v0
	v_lshl_add_u64 v[0:1], v[0:1], 2, v[2:3]
	global_store_dword v[0:1], v16, off
.LBB1_12:
	s_endpgm
	.section	.rodata,"a",@progbits
	.p2align	6, 0x0
	.amdhsa_kernel _ZN5aiter20matrixMultiplySharedEPfS0_S0_iiiiii
		.amdhsa_group_segment_fixed_size 8192
		.amdhsa_private_segment_fixed_size 0
		.amdhsa_kernarg_size 304
		.amdhsa_user_sgpr_count 2
		.amdhsa_user_sgpr_dispatch_ptr 0
		.amdhsa_user_sgpr_queue_ptr 0
		.amdhsa_user_sgpr_kernarg_segment_ptr 1
		.amdhsa_user_sgpr_dispatch_id 0
		.amdhsa_user_sgpr_kernarg_preload_length 0
		.amdhsa_user_sgpr_kernarg_preload_offset 0
		.amdhsa_user_sgpr_private_segment_size 0
		.amdhsa_uses_dynamic_stack 0
		.amdhsa_enable_private_segment 0
		.amdhsa_system_sgpr_workgroup_id_x 1
		.amdhsa_system_sgpr_workgroup_id_y 1
		.amdhsa_system_sgpr_workgroup_id_z 0
		.amdhsa_system_sgpr_workgroup_info 0
		.amdhsa_system_vgpr_workitem_id 1
		.amdhsa_next_free_vgpr 40
		.amdhsa_next_free_sgpr 20
		.amdhsa_accum_offset 40
		.amdhsa_reserve_vcc 1
		.amdhsa_float_round_mode_32 0
		.amdhsa_float_round_mode_16_64 0
		.amdhsa_float_denorm_mode_32 3
		.amdhsa_float_denorm_mode_16_64 3
		.amdhsa_dx10_clamp 1
		.amdhsa_ieee_mode 1
		.amdhsa_fp16_overflow 0
		.amdhsa_tg_split 0
		.amdhsa_exception_fp_ieee_invalid_op 0
		.amdhsa_exception_fp_denorm_src 0
		.amdhsa_exception_fp_ieee_div_zero 0
		.amdhsa_exception_fp_ieee_overflow 0
		.amdhsa_exception_fp_ieee_underflow 0
		.amdhsa_exception_fp_ieee_inexact 0
		.amdhsa_exception_int_div_zero 0
	.end_amdhsa_kernel
	.text
.Lfunc_end1:
	.size	_ZN5aiter20matrixMultiplySharedEPfS0_S0_iiiiii, .Lfunc_end1-_ZN5aiter20matrixMultiplySharedEPfS0_S0_iiiiii
                                        ; -- End function
	.section	.AMDGPU.csdata,"",@progbits
; Kernel info:
; codeLenInByte = 876
; NumSgprs: 26
; NumVgprs: 40
; NumAgprs: 0
; TotalNumVgprs: 40
; ScratchSize: 0
; MemoryBound: 0
; FloatMode: 240
; IeeeMode: 1
; LDSByteSize: 8192 bytes/workgroup (compile time only)
; SGPRBlocks: 3
; VGPRBlocks: 4
; NumSGPRsForWavesPerEU: 26
; NumVGPRsForWavesPerEU: 40
; AccumOffset: 40
; Occupancy: 8
; WaveLimiterHint : 0
; COMPUTE_PGM_RSRC2:SCRATCH_EN: 0
; COMPUTE_PGM_RSRC2:USER_SGPR: 2
; COMPUTE_PGM_RSRC2:TRAP_HANDLER: 0
; COMPUTE_PGM_RSRC2:TGID_X_EN: 1
; COMPUTE_PGM_RSRC2:TGID_Y_EN: 1
; COMPUTE_PGM_RSRC2:TGID_Z_EN: 0
; COMPUTE_PGM_RSRC2:TIDIG_COMP_CNT: 1
; COMPUTE_PGM_RSRC3_GFX90A:ACCUM_OFFSET: 9
; COMPUTE_PGM_RSRC3_GFX90A:TG_SPLIT: 0
	.section	.text._ZN5aiter14LLGemm1_kernelI6__halfLi2EEEvPKT_S4_PS2_i,"axG",@progbits,_ZN5aiter14LLGemm1_kernelI6__halfLi2EEEvPKT_S4_PS2_i,comdat
	.protected	_ZN5aiter14LLGemm1_kernelI6__halfLi2EEEvPKT_S4_PS2_i ; -- Begin function _ZN5aiter14LLGemm1_kernelI6__halfLi2EEEvPKT_S4_PS2_i
	.globl	_ZN5aiter14LLGemm1_kernelI6__halfLi2EEEvPKT_S4_PS2_i
	.p2align	8
	.type	_ZN5aiter14LLGemm1_kernelI6__halfLi2EEEvPKT_S4_PS2_i,@function
_ZN5aiter14LLGemm1_kernelI6__halfLi2EEEvPKT_S4_PS2_i: ; @_ZN5aiter14LLGemm1_kernelI6__halfLi2EEEvPKT_S4_PS2_i
; %bb.0:
	s_load_dword s3, s[0:1], 0x18
	s_load_dwordx4 s[4:7], s[0:1], 0x0
	s_load_dwordx2 s[8:9], s[0:1], 0x10
	v_lshlrev_b32_e32 v1, 3, v0
                                        ; implicit-def: $vgpr2
                                        ; implicit-def: $vgpr6
	s_waitcnt lgkmcnt(0)
	v_cmp_gt_i32_e32 vcc, s3, v1
	s_and_saveexec_b64 s[10:11], vcc
	s_cbranch_execz .LBB2_2
; %bb.1:
	v_mov_b32_e32 v2, s4
	s_mul_i32 s4, s2, s3
	s_bfe_u32 s4, s4, 0x1d0002
	v_mov_b32_e32 v3, s5
	v_add_u32_e32 v4, s4, v0
	v_mov_b32_e32 v5, 0
	s_lshr_b32 s4, s3, 3
	s_mov_b32 s5, 0
	v_lshl_add_u64 v[10:11], v[4:5], 4, v[2:3]
	v_lshl_add_u64 v[12:13], s[4:5], 4, v[10:11]
	global_load_dwordx4 v[6:9], v[10:11], off nt
	global_load_dwordx4 v[2:5], v[12:13], off nt
.LBB2_2:
	s_or_b64 exec, exec, s[10:11]
	v_lshlrev_b32_e32 v1, 4, v0
	global_load_dwordx4 v[10:13], v1, s[6:7]
	v_mbcnt_lo_u32_b32 v1, -1, 0
	s_waitcnt vmcnt(1)
	v_cvt_f32_f16_e32 v19, v3
	v_cvt_f32_f16_sdwa v21, v3 dst_sel:DWORD dst_unused:UNUSED_PAD src0_sel:WORD_1
	v_mbcnt_hi_u32_b32 v3, -1, v1
	v_and_b32_e32 v1, 64, v3
	v_cvt_f32_f16_e32 v15, v2
	v_cvt_f32_f16_e32 v14, v6
	v_cvt_f32_f16_sdwa v17, v2 dst_sel:DWORD dst_unused:UNUSED_PAD src0_sel:WORD_1
	v_cvt_f32_f16_sdwa v16, v6 dst_sel:DWORD dst_unused:UNUSED_PAD src0_sel:WORD_1
	v_xor_b32_e32 v2, 32, v3
	v_add_u32_e32 v6, 64, v1
	v_cmp_lt_i32_e64 s[4:5], v2, v6
	v_cvt_f32_f16_e32 v22, v8
	v_cvt_f32_f16_sdwa v24, v8 dst_sel:DWORD dst_unused:UNUSED_PAD src0_sel:WORD_1
	v_cndmask_b32_e64 v1, v3, v2, s[4:5]
	v_cvt_f32_f16_e32 v18, v7
	v_cvt_f32_f16_sdwa v20, v7 dst_sel:DWORD dst_unused:UNUSED_PAD src0_sel:WORD_1
	v_cvt_f32_f16_e32 v23, v4
	v_cvt_f32_f16_sdwa v25, v4 dst_sel:DWORD dst_unused:UNUSED_PAD src0_sel:WORD_1
	v_cvt_f32_f16_e32 v27, v5
	v_cvt_f32_f16_e32 v26, v9
	v_cvt_f32_f16_sdwa v5, v5 dst_sel:DWORD dst_unused:UNUSED_PAD src0_sel:WORD_1
	v_cvt_f32_f16_sdwa v4, v9 dst_sel:DWORD dst_unused:UNUSED_PAD src0_sel:WORD_1
	v_lshlrev_b32_e32 v1, 2, v1
	s_load_dword s3, s[0:1], 0x2c
	v_and_b32_e32 v7, 63, v0
	s_waitcnt vmcnt(0)
	v_cvt_f32_f16_e32 v2, v10
	v_cvt_f32_f16_sdwa v8, v10 dst_sel:DWORD dst_unused:UNUSED_PAD src0_sel:WORD_1
	v_cvt_f32_f16_e32 v10, v11
	v_cvt_f32_f16_sdwa v28, v11 dst_sel:DWORD dst_unused:UNUSED_PAD src0_sel:WORD_1
	v_cvt_f32_f16_e32 v30, v12
	v_cvt_f32_f16_sdwa v12, v12 dst_sel:DWORD dst_unused:UNUSED_PAD src0_sel:WORD_1
	v_cvt_f32_f16_e32 v32, v13
	v_cvt_f32_f16_sdwa v34, v13 dst_sel:DWORD dst_unused:UNUSED_PAD src0_sel:WORD_1
	v_pk_mul_f32 v[14:15], v[2:3], v[14:15] op_sel_hi:[0,1]
	v_pk_mul_f32 v[8:9], v[8:9], v[16:17] op_sel_hi:[0,1]
	v_pk_fma_f32 v[10:11], v[18:19], v[10:11], v[14:15] op_sel_hi:[1,0,1]
	v_pk_fma_f32 v[8:9], v[20:21], v[28:29], v[8:9] op_sel_hi:[1,0,1]
	;; [unrolled: 1-line block ×6, first 2 shown]
	s_nop 0
	v_pk_add_f32 v[4:5], v[10:11], v[4:5]
	s_nop 0
	v_cndmask_b32_e32 v5, 0, v5, vcc
	v_cndmask_b32_e32 v4, 0, v4, vcc
	ds_bpermute_b32 v8, v1, v4
	ds_bpermute_b32 v9, v1, v5
	v_xor_b32_e32 v1, 16, v3
	v_cmp_lt_i32_e32 vcc, v1, v6
	s_waitcnt lgkmcnt(0)
	v_pk_add_f32 v[4:5], v[4:5], v[8:9]
	v_cndmask_b32_e32 v1, v3, v1, vcc
	v_lshlrev_b32_e32 v1, 2, v1
	ds_bpermute_b32 v8, v1, v4
	ds_bpermute_b32 v9, v1, v5
	v_xor_b32_e32 v1, 8, v3
	v_cmp_lt_i32_e32 vcc, v1, v6
	s_waitcnt lgkmcnt(0)
	v_pk_add_f32 v[4:5], v[4:5], v[8:9]
	v_cndmask_b32_e32 v1, v3, v1, vcc
	v_lshlrev_b32_e32 v1, 2, v1
	;; [unrolled: 8-line block ×5, first 2 shown]
	ds_bpermute_b32 v8, v1, v4
	ds_bpermute_b32 v9, v1, v5
	v_cmp_gt_u32_e32 vcc, 2, v7
	s_waitcnt lgkmcnt(0)
	v_pk_add_f32 v[4:5], v[4:5], v[8:9]
	s_and_saveexec_b64 s[0:1], vcc
	s_cbranch_execz .LBB2_4
; %bb.3:
	v_lshrrev_b32_e32 v1, 4, v0
	v_and_b32_e32 v1, 60, v1
	v_cmp_eq_u32_e32 vcc, 1, v7
	v_lshl_or_b32 v1, v7, 8, v1
	s_nop 0
	v_cndmask_b32_e32 v2, v4, v5, vcc
	ds_write_b32 v1, v2
.LBB2_4:
	s_or_b64 exec, exec, s[0:1]
	s_and_b32 s0, 0xffff, s3
	s_lshr_b32 s3, s0, 6
	v_cvt_f32_u32_e32 v1, s3
	v_cvt_f32_u32_e32 v2, v0
	s_waitcnt lgkmcnt(0)
	s_barrier
	v_rcp_iflag_f32_e32 v8, v1
	s_nop 0
	v_mul_f32_e32 v8, v2, v8
	v_trunc_f32_e32 v8, v8
	v_cvt_u32_f32_e32 v9, v8
	v_fma_f32 v2, -v8, v1, v2
	v_cmp_ge_f32_e64 vcc, |v2|, v1
	s_nop 1
	v_addc_co_u32_e32 v8, vcc, 0, v9, vcc
	v_cmp_gt_u16_e32 vcc, 2, v8
	s_and_saveexec_b64 s[4:5], vcc
	s_cbranch_execz .LBB2_10
; %bb.5:
	v_mul_lo_u16_e32 v1, s3, v8
	v_sub_u16_e32 v0, v0, v1
	v_and_b32_e32 v2, 0xffff, v8
	v_lshlrev_b32_e32 v0, 2, v0
	v_lshl_add_u32 v0, v2, 8, v0
	ds_read_b32 v0, v0
	v_cmp_eq_u16_e32 vcc, 1, v8
	s_cmpk_lt_u32 s0, 0x80
	s_waitcnt lgkmcnt(0)
	v_cndmask_b32_e32 v1, v5, v0, vcc
	v_cmp_eq_u16_e32 vcc, 0, v8
	s_nop 1
	v_cndmask_b32_e32 v0, v4, v0, vcc
	s_cbranch_scc1 .LBB2_8
; %bb.6:
	s_lshr_b32 s4, s0, 7
.LBB2_7:                                ; =>This Inner Loop Header: Depth=1
	v_xor_b32_e32 v5, s4, v3
	v_cmp_lt_i32_e64 s[0:1], v5, v6
	v_cmp_eq_u32_e32 vcc, 1, v2
	s_lshr_b32 s5, s4, 1
	v_cndmask_b32_e64 v5, v3, v5, s[0:1]
	v_cndmask_b32_e32 v4, v0, v1, vcc
	v_lshlrev_b32_e32 v5, 2, v5
	ds_bpermute_b32 v5, v5, v4
	v_cmp_eq_u32_e64 s[0:1], 0, v2
	s_cmp_lt_u32 s4, 2
	s_mov_b32 s4, s5
	s_waitcnt lgkmcnt(0)
	v_add_f32_e32 v4, v4, v5
	v_cndmask_b32_e32 v1, v1, v4, vcc
	v_cndmask_b32_e64 v0, v0, v4, s[0:1]
	s_cbranch_scc0 .LBB2_7
.LBB2_8:
	s_lshl_b32 s0, s3, 1
	v_cmp_eq_u32_e32 vcc, 1, v2
	v_cvt_f32_u32_e32 v2, s0
	v_cvt_f32_ubyte0_e32 v4, v7
	v_cndmask_b32_e32 v0, v0, v1, vcc
	v_xor_b32_e32 v1, s3, v3
	v_cmp_lt_i32_e32 vcc, v1, v6
	s_mov_b32 s1, 0
	s_nop 0
	v_cndmask_b32_e32 v1, v3, v1, vcc
	v_rcp_iflag_f32_e32 v3, v2
	v_lshlrev_b32_e32 v1, 2, v1
	ds_bpermute_b32 v1, v1, v0
	v_mul_f32_e32 v3, v4, v3
	v_trunc_f32_e32 v3, v3
	v_fma_f32 v4, -v3, v2, v4
	v_cvt_u32_f32_e32 v3, v3
	v_cmp_ge_f32_e64 vcc, |v4|, v2
	s_nop 1
	v_addc_co_u32_e32 v2, vcc, 0, v3, vcc
	v_mul_lo_u32 v2, v2, s0
	v_sub_u32_e32 v2, v7, v2
	v_and_b32_e32 v2, 0x7ff, v2
	v_cmp_eq_u32_e32 vcc, 0, v2
	s_and_b64 exec, exec, vcc
	s_cbranch_execz .LBB2_10
; %bb.9:
	v_cvt_f16_f32_e32 v0, v0
	s_waitcnt lgkmcnt(0)
	v_cvt_f16_f32_e32 v1, v1
	s_and_b32 s0, s2, 0x7fffffff
	s_lshl_b64 s[0:1], s[0:1], 2
	s_add_u32 s0, s8, s0
	v_pack_b32_f16 v0, v0, v1
	s_addc_u32 s1, s9, s1
	v_mov_b32_e32 v1, 0
	global_store_dword v1, v0, s[0:1]
.LBB2_10:
	s_endpgm
	.section	.rodata,"a",@progbits
	.p2align	6, 0x0
	.amdhsa_kernel _ZN5aiter14LLGemm1_kernelI6__halfLi2EEEvPKT_S4_PS2_i
		.amdhsa_group_segment_fixed_size 512
		.amdhsa_private_segment_fixed_size 0
		.amdhsa_kernarg_size 288
		.amdhsa_user_sgpr_count 2
		.amdhsa_user_sgpr_dispatch_ptr 0
		.amdhsa_user_sgpr_queue_ptr 0
		.amdhsa_user_sgpr_kernarg_segment_ptr 1
		.amdhsa_user_sgpr_dispatch_id 0
		.amdhsa_user_sgpr_kernarg_preload_length 0
		.amdhsa_user_sgpr_kernarg_preload_offset 0
		.amdhsa_user_sgpr_private_segment_size 0
		.amdhsa_uses_dynamic_stack 0
		.amdhsa_enable_private_segment 0
		.amdhsa_system_sgpr_workgroup_id_x 1
		.amdhsa_system_sgpr_workgroup_id_y 0
		.amdhsa_system_sgpr_workgroup_id_z 0
		.amdhsa_system_sgpr_workgroup_info 0
		.amdhsa_system_vgpr_workitem_id 0
		.amdhsa_next_free_vgpr 36
		.amdhsa_next_free_sgpr 12
		.amdhsa_accum_offset 36
		.amdhsa_reserve_vcc 1
		.amdhsa_float_round_mode_32 0
		.amdhsa_float_round_mode_16_64 0
		.amdhsa_float_denorm_mode_32 3
		.amdhsa_float_denorm_mode_16_64 3
		.amdhsa_dx10_clamp 1
		.amdhsa_ieee_mode 1
		.amdhsa_fp16_overflow 0
		.amdhsa_tg_split 0
		.amdhsa_exception_fp_ieee_invalid_op 0
		.amdhsa_exception_fp_denorm_src 0
		.amdhsa_exception_fp_ieee_div_zero 0
		.amdhsa_exception_fp_ieee_overflow 0
		.amdhsa_exception_fp_ieee_underflow 0
		.amdhsa_exception_fp_ieee_inexact 0
		.amdhsa_exception_int_div_zero 0
	.end_amdhsa_kernel
	.section	.text._ZN5aiter14LLGemm1_kernelI6__halfLi2EEEvPKT_S4_PS2_i,"axG",@progbits,_ZN5aiter14LLGemm1_kernelI6__halfLi2EEEvPKT_S4_PS2_i,comdat
.Lfunc_end2:
	.size	_ZN5aiter14LLGemm1_kernelI6__halfLi2EEEvPKT_S4_PS2_i, .Lfunc_end2-_ZN5aiter14LLGemm1_kernelI6__halfLi2EEEvPKT_S4_PS2_i
                                        ; -- End function
	.section	.AMDGPU.csdata,"",@progbits
; Kernel info:
; codeLenInByte = 1148
; NumSgprs: 18
; NumVgprs: 36
; NumAgprs: 0
; TotalNumVgprs: 36
; ScratchSize: 0
; MemoryBound: 0
; FloatMode: 240
; IeeeMode: 1
; LDSByteSize: 512 bytes/workgroup (compile time only)
; SGPRBlocks: 2
; VGPRBlocks: 4
; NumSGPRsForWavesPerEU: 18
; NumVGPRsForWavesPerEU: 36
; AccumOffset: 36
; Occupancy: 8
; WaveLimiterHint : 0
; COMPUTE_PGM_RSRC2:SCRATCH_EN: 0
; COMPUTE_PGM_RSRC2:USER_SGPR: 2
; COMPUTE_PGM_RSRC2:TRAP_HANDLER: 0
; COMPUTE_PGM_RSRC2:TGID_X_EN: 1
; COMPUTE_PGM_RSRC2:TGID_Y_EN: 0
; COMPUTE_PGM_RSRC2:TGID_Z_EN: 0
; COMPUTE_PGM_RSRC2:TIDIG_COMP_CNT: 0
; COMPUTE_PGM_RSRC3_GFX90A:ACCUM_OFFSET: 8
; COMPUTE_PGM_RSRC3_GFX90A:TG_SPLIT: 0
	.section	.text._ZN5aiter14LLGemm1_kernelI6__halfLi4EEEvPKT_S4_PS2_i,"axG",@progbits,_ZN5aiter14LLGemm1_kernelI6__halfLi4EEEvPKT_S4_PS2_i,comdat
	.protected	_ZN5aiter14LLGemm1_kernelI6__halfLi4EEEvPKT_S4_PS2_i ; -- Begin function _ZN5aiter14LLGemm1_kernelI6__halfLi4EEEvPKT_S4_PS2_i
	.globl	_ZN5aiter14LLGemm1_kernelI6__halfLi4EEEvPKT_S4_PS2_i
	.p2align	8
	.type	_ZN5aiter14LLGemm1_kernelI6__halfLi4EEEvPKT_S4_PS2_i,@function
_ZN5aiter14LLGemm1_kernelI6__halfLi4EEEvPKT_S4_PS2_i: ; @_ZN5aiter14LLGemm1_kernelI6__halfLi4EEEvPKT_S4_PS2_i
; %bb.0:
	s_load_dword s3, s[0:1], 0x18
	s_load_dwordx4 s[4:7], s[0:1], 0x0
	s_load_dwordx2 s[8:9], s[0:1], 0x10
	v_lshlrev_b32_e32 v1, 3, v0
                                        ; implicit-def: $vgpr2
                                        ; implicit-def: $vgpr6
                                        ; implicit-def: $vgpr10
                                        ; implicit-def: $vgpr18
	s_waitcnt lgkmcnt(0)
	v_cmp_gt_i32_e32 vcc, s3, v1
	s_and_saveexec_b64 s[10:11], vcc
	s_cbranch_execz .LBB3_2
; %bb.1:
	s_mul_i32 s12, s2, s3
	s_bfe_u32 s12, s12, 0x1d0001
	v_add_u32_e32 v2, s12, v0
	s_lshr_b32 s12, s3, 3
	v_mov_b32_e32 v3, 0
	s_add_i32 s3, s12, s12
	v_lshl_add_u64 v[14:15], v[2:3], 4, s[4:5]
	v_add_u32_e32 v2, s3, v2
	s_mov_b32 s13, 0
	v_lshl_add_u64 v[22:23], v[2:3], 4, s[4:5]
	v_add_u32_e32 v2, s12, v2
	v_lshl_add_u64 v[16:17], s[12:13], 4, v[14:15]
	v_lshl_add_u64 v[24:25], v[2:3], 4, s[4:5]
	global_load_dwordx4 v[18:21], v[14:15], off nt
	global_load_dwordx4 v[10:13], v[16:17], off nt
	;; [unrolled: 1-line block ×4, first 2 shown]
.LBB3_2:
	s_or_b64 exec, exec, s[10:11]
	v_lshlrev_b32_e32 v1, 4, v0
	global_load_dwordx4 v[14:17], v1, s[6:7]
	v_mbcnt_lo_u32_b32 v1, -1, 0
	s_waitcnt vmcnt(1)
	v_cvt_f32_f16_e32 v39, v5
	v_cvt_f32_f16_sdwa v41, v5 dst_sel:DWORD dst_unused:UNUSED_PAD src0_sel:WORD_1
	v_mbcnt_hi_u32_b32 v5, -1, v1
	v_and_b32_e32 v1, 64, v5
	v_cvt_f32_f16_e32 v23, v10
	v_cvt_f32_f16_e32 v22, v18
	v_cvt_f32_f16_sdwa v25, v10 dst_sel:DWORD dst_unused:UNUSED_PAD src0_sel:WORD_1
	v_cvt_f32_f16_sdwa v24, v18 dst_sel:DWORD dst_unused:UNUSED_PAD src0_sel:WORD_1
	v_cvt_f32_f16_e32 v26, v19
	v_cvt_f32_f16_sdwa v10, v19 dst_sel:DWORD dst_unused:UNUSED_PAD src0_sel:WORD_1
	v_cvt_f32_f16_e32 v19, v2
	v_cvt_f32_f16_e32 v18, v6
	v_cvt_f32_f16_sdwa v29, v2 dst_sel:DWORD dst_unused:UNUSED_PAD src0_sel:WORD_1
	v_cvt_f32_f16_sdwa v28, v6 dst_sel:DWORD dst_unused:UNUSED_PAD src0_sel:WORD_1
	v_cvt_f32_f16_e32 v30, v7
	v_cvt_f32_f16_sdwa v2, v7 dst_sel:DWORD dst_unused:UNUSED_PAD src0_sel:WORD_1
	;; [unrolled: 6-line block ×3, first 2 shown]
	v_cvt_f32_f16_e32 v21, v4
	v_cvt_f32_f16_e32 v20, v8
	v_cvt_f32_f16_sdwa v37, v4 dst_sel:DWORD dst_unused:UNUSED_PAD src0_sel:WORD_1
	v_cvt_f32_f16_sdwa v36, v8 dst_sel:DWORD dst_unused:UNUSED_PAD src0_sel:WORD_1
	v_xor_b32_e32 v4, 32, v5
	v_add_u32_e32 v8, 64, v1
	v_cmp_lt_i32_e64 s[4:5], v4, v8
	v_cvt_f32_f16_e32 v27, v11
	v_cvt_f32_f16_sdwa v11, v11 dst_sel:DWORD dst_unused:UNUSED_PAD src0_sel:WORD_1
	v_cndmask_b32_e64 v1, v5, v4, s[4:5]
	v_cvt_f32_f16_e32 v31, v3
	v_cvt_f32_f16_sdwa v3, v3 dst_sel:DWORD dst_unused:UNUSED_PAD src0_sel:WORD_1
	v_cvt_f32_f16_e32 v35, v13
	v_cvt_f32_f16_sdwa v13, v13 dst_sel:DWORD dst_unused:UNUSED_PAD src0_sel:WORD_1
	;; [unrolled: 2-line block ×3, first 2 shown]
	v_xor_b32_e32 v43, 8, v5
	v_xor_b32_e32 v45, 4, v5
	;; [unrolled: 1-line block ×4, first 2 shown]
	v_lshlrev_b32_e32 v1, 2, v1
	v_xor_b32_e32 v9, 16, v5
	s_load_dword s3, s[0:1], 0x2c
	s_waitcnt vmcnt(0)
	v_cvt_f32_f16_e32 v4, v14
	v_cvt_f32_f16_sdwa v14, v14 dst_sel:DWORD dst_unused:UNUSED_PAD src0_sel:WORD_1
	v_cvt_f32_f16_e32 v42, v15
	v_cvt_f32_f16_sdwa v44, v15 dst_sel:DWORD dst_unused:UNUSED_PAD src0_sel:WORD_1
	;; [unrolled: 2-line block ×4, first 2 shown]
	v_pk_mul_f32 v[22:23], v[4:5], v[22:23] op_sel_hi:[0,1]
	v_pk_mul_f32 v[24:25], v[14:15], v[24:25] op_sel_hi:[0,1]
	;; [unrolled: 1-line block ×4, first 2 shown]
	v_pk_fma_f32 v[22:23], v[26:27], v[42:43], v[22:23] op_sel_hi:[1,0,1]
	v_pk_fma_f32 v[10:11], v[10:11], v[44:45], v[24:25] op_sel_hi:[1,0,1]
	;; [unrolled: 1-line block ×12, first 2 shown]
	v_pk_add_f32 v[6:7], v[6:7], v[10:11]
	v_pk_add_f32 v[2:3], v[12:13], v[2:3]
	v_cndmask_b32_e32 v7, 0, v7, vcc
	v_cndmask_b32_e32 v6, 0, v6, vcc
	;; [unrolled: 1-line block ×4, first 2 shown]
	ds_bpermute_b32 v10, v1, v6
	ds_bpermute_b32 v11, v1, v7
	ds_bpermute_b32 v12, v1, v2
	ds_bpermute_b32 v13, v1, v3
	v_cmp_lt_i32_e32 vcc, v9, v8
	s_waitcnt lgkmcnt(0)
	v_pk_add_f32 v[6:7], v[6:7], v[10:11]
	v_cndmask_b32_e32 v1, v5, v9, vcc
	v_lshlrev_b32_e32 v1, 2, v1
	v_pk_add_f32 v[2:3], v[2:3], v[12:13]
	ds_bpermute_b32 v10, v1, v6
	ds_bpermute_b32 v11, v1, v7
	;; [unrolled: 1-line block ×4, first 2 shown]
	v_cmp_lt_i32_e32 vcc, v43, v8
	v_and_b32_e32 v9, 63, v0
	s_waitcnt lgkmcnt(2)
	v_pk_add_f32 v[6:7], v[6:7], v[10:11]
	v_cndmask_b32_e32 v1, v5, v43, vcc
	v_lshlrev_b32_e32 v1, 2, v1
	s_waitcnt lgkmcnt(0)
	v_pk_add_f32 v[2:3], v[2:3], v[12:13]
	ds_bpermute_b32 v10, v1, v6
	ds_bpermute_b32 v11, v1, v7
	ds_bpermute_b32 v12, v1, v2
	ds_bpermute_b32 v13, v1, v3
	v_cmp_lt_i32_e32 vcc, v45, v8
	s_waitcnt lgkmcnt(2)
	v_pk_add_f32 v[6:7], v[6:7], v[10:11]
	v_cndmask_b32_e32 v1, v5, v45, vcc
	v_lshlrev_b32_e32 v1, 2, v1
	s_waitcnt lgkmcnt(0)
	v_pk_add_f32 v[2:3], v[2:3], v[12:13]
	ds_bpermute_b32 v10, v1, v6
	ds_bpermute_b32 v11, v1, v7
	ds_bpermute_b32 v12, v1, v2
	ds_bpermute_b32 v13, v1, v3
	v_cmp_lt_i32_e32 vcc, v47, v8
	;; [unrolled: 11-line block ×3, first 2 shown]
	s_waitcnt lgkmcnt(2)
	v_pk_add_f32 v[6:7], v[6:7], v[10:11]
	v_cndmask_b32_e32 v1, v5, v49, vcc
	v_lshlrev_b32_e32 v1, 2, v1
	s_waitcnt lgkmcnt(0)
	v_pk_add_f32 v[2:3], v[2:3], v[12:13]
	ds_bpermute_b32 v10, v1, v6
	ds_bpermute_b32 v12, v1, v2
	;; [unrolled: 1-line block ×4, first 2 shown]
	v_cmp_gt_u32_e32 vcc, 4, v9
	s_waitcnt lgkmcnt(1)
	v_pk_add_f32 v[2:3], v[2:3], v[12:13]
	s_waitcnt lgkmcnt(0)
	v_pk_add_f32 v[6:7], v[6:7], v[10:11]
	s_and_saveexec_b64 s[0:1], vcc
	s_cbranch_execz .LBB3_4
; %bb.3:
	v_cmp_eq_u32_e32 vcc, 1, v9
	v_lshrrev_b32_e32 v1, 4, v0
	v_and_b32_e32 v1, 60, v1
	v_cndmask_b32_e32 v4, v6, v7, vcc
	v_cmp_eq_u32_e32 vcc, 2, v9
	v_lshl_or_b32 v1, v9, 8, v1
	s_nop 0
	v_cndmask_b32_e32 v4, v4, v2, vcc
	v_cmp_eq_u32_e32 vcc, 3, v9
	s_nop 1
	v_cndmask_b32_e32 v4, v4, v3, vcc
	ds_write_b32 v1, v4
.LBB3_4:
	s_or_b64 exec, exec, s[0:1]
	s_and_b32 s0, 0xffff, s3
	s_lshr_b32 s3, s0, 6
	v_cvt_f32_u32_e32 v1, s3
	v_cvt_f32_u32_e32 v4, v0
	s_waitcnt lgkmcnt(0)
	s_barrier
	v_rcp_iflag_f32_e32 v10, v1
	s_nop 0
	v_mul_f32_e32 v10, v4, v10
	v_trunc_f32_e32 v10, v10
	v_cvt_u32_f32_e32 v11, v10
	v_fma_f32 v4, -v10, v1, v4
	v_cmp_ge_f32_e64 vcc, |v4|, v1
	s_nop 1
	v_addc_co_u32_e32 v10, vcc, 0, v11, vcc
	v_cmp_gt_u16_e32 vcc, 4, v10
	s_and_saveexec_b64 s[4:5], vcc
	s_cbranch_execz .LBB3_10
; %bb.5:
	v_mul_lo_u16_e32 v1, s3, v10
	v_sub_u16_e32 v0, v0, v1
	v_and_b32_e32 v4, 0xffff, v10
	v_lshlrev_b32_e32 v0, 2, v0
	v_lshl_add_u32 v0, v4, 8, v0
	ds_read_b32 v0, v0
	v_cmp_eq_u16_e32 vcc, 3, v10
	s_cmpk_lt_u32 s0, 0x80
	s_waitcnt lgkmcnt(0)
	v_cndmask_b32_e32 v3, v3, v0, vcc
	v_cmp_eq_u16_e32 vcc, 2, v10
	s_nop 1
	v_cndmask_b32_e32 v2, v2, v0, vcc
	v_cmp_eq_u16_e32 vcc, 1, v10
	s_nop 1
	;; [unrolled: 3-line block ×3, first 2 shown]
	v_cndmask_b32_e32 v0, v6, v0, vcc
	s_cbranch_scc1 .LBB3_8
; %bb.6:
	s_lshr_b32 s10, s0, 7
.LBB3_7:                                ; =>This Inner Loop Header: Depth=1
	v_cmp_eq_u32_e32 vcc, 1, v4
	v_xor_b32_e32 v7, s10, v5
	v_cmp_eq_u32_e64 s[0:1], 2, v4
	v_cndmask_b32_e32 v6, v0, v1, vcc
	v_cmp_lt_i32_e64 s[6:7], v7, v8
	v_cndmask_b32_e64 v6, v6, v2, s[0:1]
	v_cmp_eq_u32_e64 s[4:5], 3, v4
	v_cndmask_b32_e64 v7, v5, v7, s[6:7]
	v_lshlrev_b32_e32 v7, 2, v7
	v_cndmask_b32_e64 v6, v6, v3, s[4:5]
	ds_bpermute_b32 v7, v7, v6
	s_waitcnt lgkmcnt(0)
	v_add_f32_e32 v6, v6, v7
	v_cndmask_b32_e64 v2, v2, v6, s[0:1]
	v_cndmask_b32_e32 v1, v1, v6, vcc
	v_cmp_eq_u32_e32 vcc, 0, v4
	s_lshr_b32 s0, s10, 1
	v_cndmask_b32_e64 v3, v3, v6, s[4:5]
	v_cndmask_b32_e32 v0, v0, v6, vcc
	s_cmp_lt_u32 s10, 2
	s_mov_b32 s10, s0
	s_cbranch_scc0 .LBB3_7
.LBB3_8:
	v_cmp_eq_u32_e32 vcc, 1, v4
	s_lshl_b32 s0, s3, 1
	s_nop 0
	v_cndmask_b32_e32 v0, v0, v1, vcc
	v_cmp_eq_u32_e32 vcc, 2, v4
	v_xor_b32_e32 v1, s3, v5
	s_nop 0
	v_cndmask_b32_e32 v0, v0, v2, vcc
	v_cvt_f32_u32_e32 v2, s0
	v_cmp_eq_u32_e32 vcc, 3, v4
	v_cvt_f32_ubyte0_e32 v4, v9
	s_nop 0
	v_cndmask_b32_e32 v0, v0, v3, vcc
	v_rcp_iflag_f32_e32 v3, v2
	v_cmp_lt_i32_e32 vcc, v1, v8
	v_mul_f32_e32 v3, v4, v3
	v_trunc_f32_e32 v3, v3
	v_cndmask_b32_e32 v1, v5, v1, vcc
	v_cvt_u32_f32_e32 v5, v3
	v_fma_f32 v3, -v3, v2, v4
	v_lshlrev_b32_e32 v1, 2, v1
	v_cmp_ge_f32_e64 vcc, |v3|, v2
	ds_bpermute_b32 v1, v1, v0
	s_nop 0
	v_addc_co_u32_e32 v2, vcc, 0, v5, vcc
	v_mul_lo_u32 v2, v2, s0
	v_sub_u32_e32 v2, v9, v2
	v_and_b32_e32 v2, 0x7ff, v2
	v_cmp_eq_u32_e32 vcc, 0, v2
	s_and_b64 exec, exec, vcc
	s_cbranch_execz .LBB3_10
; %bb.9:
	v_cvt_f16_f32_e32 v2, v0
	s_waitcnt lgkmcnt(0)
	v_cvt_f16_f32_e32 v3, v1
	s_lshl_b32 s0, s2, 1
	s_and_b32 s0, s0, 0x7ffffffe
	v_mov_b32_e32 v0, s8
	v_pack_b32_f16 v4, v2, v3
	v_lshrrev_b16_e32 v2, 1, v10
	v_mov_b32_e32 v1, s9
	v_or_b32_e32 v2, s0, v2
	v_mov_b32_e32 v3, 0
	v_lshl_add_u64 v[0:1], v[2:3], 2, v[0:1]
	global_store_dword v[0:1], v4, off
.LBB3_10:
	s_endpgm
	.section	.rodata,"a",@progbits
	.p2align	6, 0x0
	.amdhsa_kernel _ZN5aiter14LLGemm1_kernelI6__halfLi4EEEvPKT_S4_PS2_i
		.amdhsa_group_segment_fixed_size 1024
		.amdhsa_private_segment_fixed_size 0
		.amdhsa_kernarg_size 288
		.amdhsa_user_sgpr_count 2
		.amdhsa_user_sgpr_dispatch_ptr 0
		.amdhsa_user_sgpr_queue_ptr 0
		.amdhsa_user_sgpr_kernarg_segment_ptr 1
		.amdhsa_user_sgpr_dispatch_id 0
		.amdhsa_user_sgpr_kernarg_preload_length 0
		.amdhsa_user_sgpr_kernarg_preload_offset 0
		.amdhsa_user_sgpr_private_segment_size 0
		.amdhsa_uses_dynamic_stack 0
		.amdhsa_enable_private_segment 0
		.amdhsa_system_sgpr_workgroup_id_x 1
		.amdhsa_system_sgpr_workgroup_id_y 0
		.amdhsa_system_sgpr_workgroup_id_z 0
		.amdhsa_system_sgpr_workgroup_info 0
		.amdhsa_system_vgpr_workitem_id 0
		.amdhsa_next_free_vgpr 52
		.amdhsa_next_free_sgpr 14
		.amdhsa_accum_offset 52
		.amdhsa_reserve_vcc 1
		.amdhsa_float_round_mode_32 0
		.amdhsa_float_round_mode_16_64 0
		.amdhsa_float_denorm_mode_32 3
		.amdhsa_float_denorm_mode_16_64 3
		.amdhsa_dx10_clamp 1
		.amdhsa_ieee_mode 1
		.amdhsa_fp16_overflow 0
		.amdhsa_tg_split 0
		.amdhsa_exception_fp_ieee_invalid_op 0
		.amdhsa_exception_fp_denorm_src 0
		.amdhsa_exception_fp_ieee_div_zero 0
		.amdhsa_exception_fp_ieee_overflow 0
		.amdhsa_exception_fp_ieee_underflow 0
		.amdhsa_exception_fp_ieee_inexact 0
		.amdhsa_exception_int_div_zero 0
	.end_amdhsa_kernel
	.section	.text._ZN5aiter14LLGemm1_kernelI6__halfLi4EEEvPKT_S4_PS2_i,"axG",@progbits,_ZN5aiter14LLGemm1_kernelI6__halfLi4EEEvPKT_S4_PS2_i,comdat
.Lfunc_end3:
	.size	_ZN5aiter14LLGemm1_kernelI6__halfLi4EEEvPKT_S4_PS2_i, .Lfunc_end3-_ZN5aiter14LLGemm1_kernelI6__halfLi4EEEvPKT_S4_PS2_i
                                        ; -- End function
	.section	.AMDGPU.csdata,"",@progbits
; Kernel info:
; codeLenInByte = 1636
; NumSgprs: 20
; NumVgprs: 52
; NumAgprs: 0
; TotalNumVgprs: 52
; ScratchSize: 0
; MemoryBound: 0
; FloatMode: 240
; IeeeMode: 1
; LDSByteSize: 1024 bytes/workgroup (compile time only)
; SGPRBlocks: 2
; VGPRBlocks: 6
; NumSGPRsForWavesPerEU: 20
; NumVGPRsForWavesPerEU: 52
; AccumOffset: 52
; Occupancy: 8
; WaveLimiterHint : 0
; COMPUTE_PGM_RSRC2:SCRATCH_EN: 0
; COMPUTE_PGM_RSRC2:USER_SGPR: 2
; COMPUTE_PGM_RSRC2:TRAP_HANDLER: 0
; COMPUTE_PGM_RSRC2:TGID_X_EN: 1
; COMPUTE_PGM_RSRC2:TGID_Y_EN: 0
; COMPUTE_PGM_RSRC2:TGID_Z_EN: 0
; COMPUTE_PGM_RSRC2:TIDIG_COMP_CNT: 0
; COMPUTE_PGM_RSRC3_GFX90A:ACCUM_OFFSET: 12
; COMPUTE_PGM_RSRC3_GFX90A:TG_SPLIT: 0
	.section	.text._ZN5aiter14LLGemm1_kernelI6__halfLi8EEEvPKT_S4_PS2_i,"axG",@progbits,_ZN5aiter14LLGemm1_kernelI6__halfLi8EEEvPKT_S4_PS2_i,comdat
	.protected	_ZN5aiter14LLGemm1_kernelI6__halfLi8EEEvPKT_S4_PS2_i ; -- Begin function _ZN5aiter14LLGemm1_kernelI6__halfLi8EEEvPKT_S4_PS2_i
	.globl	_ZN5aiter14LLGemm1_kernelI6__halfLi8EEEvPKT_S4_PS2_i
	.p2align	8
	.type	_ZN5aiter14LLGemm1_kernelI6__halfLi8EEEvPKT_S4_PS2_i,@function
_ZN5aiter14LLGemm1_kernelI6__halfLi8EEEvPKT_S4_PS2_i: ; @_ZN5aiter14LLGemm1_kernelI6__halfLi8EEEvPKT_S4_PS2_i
; %bb.0:
	s_load_dword s3, s[0:1], 0x18
	s_load_dwordx4 s[4:7], s[0:1], 0x0
	s_load_dwordx2 s[16:17], s[0:1], 0x10
	v_lshlrev_b32_e32 v1, 3, v0
                                        ; implicit-def: $vgpr2
                                        ; implicit-def: $vgpr6
                                        ; implicit-def: $vgpr14
                                        ; implicit-def: $vgpr10
                                        ; implicit-def: $vgpr18
                                        ; implicit-def: $vgpr22
                                        ; implicit-def: $vgpr26
                                        ; implicit-def: $vgpr30
	s_waitcnt lgkmcnt(0)
	v_cmp_gt_i32_e32 vcc, s3, v1
	s_and_saveexec_b64 s[8:9], vcc
	s_cbranch_execz .LBB4_2
; %bb.1:
	s_mul_i32 s10, s2, s3
	s_and_b32 s10, s10, 0x1fffffff
	v_add_u32_e32 v2, s10, v0
	s_lshr_b32 s10, s3, 3
	v_mov_b32_e32 v3, 0
	s_add_i32 s3, s10, s10
	v_lshl_add_u64 v[34:35], v[2:3], 4, s[4:5]
	v_add_u32_e32 v2, s3, v2
	v_lshl_add_u64 v[38:39], v[2:3], 4, s[4:5]
	v_add_u32_e32 v2, s10, v2
	;; [unrolled: 2-line block ×5, first 2 shown]
	s_mov_b32 s11, 0
	v_lshl_add_u64 v[46:47], v[2:3], 4, s[4:5]
	v_add_u32_e32 v2, s10, v2
	v_lshl_add_u64 v[36:37], s[10:11], 4, v[34:35]
	v_lshl_add_u64 v[48:49], v[2:3], 4, s[4:5]
	global_load_dwordx4 v[30:33], v[34:35], off nt
	global_load_dwordx4 v[26:29], v[36:37], off nt
	;; [unrolled: 1-line block ×8, first 2 shown]
.LBB4_2:
	s_or_b64 exec, exec, s[8:9]
	v_lshlrev_b32_e32 v1, 4, v0
	global_load_dwordx4 v[34:37], v1, s[6:7]
	s_waitcnt vmcnt(7)
	v_cvt_f32_f16_e32 v43, v26
	v_cvt_f32_f16_e32 v42, v30
	v_cvt_f32_f16_sdwa v39, v26 dst_sel:DWORD dst_unused:UNUSED_PAD src0_sel:WORD_1
	v_cvt_f32_f16_sdwa v38, v30 dst_sel:DWORD dst_unused:UNUSED_PAD src0_sel:WORD_1
	s_waitcnt vmcnt(5)
	v_cvt_f32_f16_e32 v51, v18
	v_cvt_f32_f16_e32 v50, v22
	v_cvt_f32_f16_sdwa v47, v18 dst_sel:DWORD dst_unused:UNUSED_PAD src0_sel:WORD_1
	v_cvt_f32_f16_sdwa v46, v22 dst_sel:DWORD dst_unused:UNUSED_PAD src0_sel:WORD_1
	v_cvt_f32_f16_e32 v52, v32
	v_cvt_f32_f16_sdwa v54, v32 dst_sel:DWORD dst_unused:UNUSED_PAD src0_sel:WORD_1
	v_cvt_f32_f16_e32 v61, v20
	v_cvt_f32_f16_e32 v60, v24
	v_cvt_f32_f16_sdwa v63, v20 dst_sel:DWORD dst_unused:UNUSED_PAD src0_sel:WORD_1
	v_cvt_f32_f16_sdwa v62, v24 dst_sel:DWORD dst_unused:UNUSED_PAD src0_sel:WORD_1
	s_waitcnt vmcnt(1)
	v_cvt_f32_f16_e32 v69, v2
	v_cvt_f32_f16_e32 v68, v6
	v_cvt_f32_f16_e32 v41, v27
	v_cvt_f32_f16_e32 v40, v31
	v_cvt_f32_f16_sdwa v27, v27 dst_sel:DWORD dst_unused:UNUSED_PAD src0_sel:WORD_1
	v_cvt_f32_f16_sdwa v26, v31 dst_sel:DWORD dst_unused:UNUSED_PAD src0_sel:WORD_1
	v_cvt_f32_f16_e32 v53, v28
	v_cvt_f32_f16_sdwa v55, v28 dst_sel:DWORD dst_unused:UNUSED_PAD src0_sel:WORD_1
	v_cvt_f32_f16_e32 v45, v19
	v_cvt_f32_f16_e32 v44, v23
	v_cvt_f32_f16_sdwa v49, v19 dst_sel:DWORD dst_unused:UNUSED_PAD src0_sel:WORD_1
	v_cvt_f32_f16_sdwa v48, v23 dst_sel:DWORD dst_unused:UNUSED_PAD src0_sel:WORD_1
	v_cvt_f32_f16_e32 v57, v29
	v_cvt_f32_f16_e32 v56, v33
	v_cvt_f32_f16_sdwa v59, v29 dst_sel:DWORD dst_unused:UNUSED_PAD src0_sel:WORD_1
	v_cvt_f32_f16_sdwa v58, v33 dst_sel:DWORD dst_unused:UNUSED_PAD src0_sel:WORD_1
	v_mbcnt_lo_u32_b32 v1, -1, 0
	v_cvt_f32_f16_sdwa v71, v2 dst_sel:DWORD dst_unused:UNUSED_PAD src0_sel:WORD_1
	s_load_dword s3, s[0:1], 0x2c
	v_cvt_f32_f16_e32 v65, v21
	v_cvt_f32_f16_e32 v64, v25
	v_cvt_f32_f16_sdwa v67, v21 dst_sel:DWORD dst_unused:UNUSED_PAD src0_sel:WORD_1
	v_cvt_f32_f16_sdwa v66, v25 dst_sel:DWORD dst_unused:UNUSED_PAD src0_sel:WORD_1
	;; [unrolled: 1-line block ×3, first 2 shown]
	s_waitcnt vmcnt(0)
	v_cvt_f32_f16_e32 v32, v34
	v_cvt_f32_f16_sdwa v34, v34 dst_sel:DWORD dst_unused:UNUSED_PAD src0_sel:WORD_1
	v_cvt_f32_f16_e32 v20, v36
	v_cvt_f32_f16_sdwa v22, v36 dst_sel:DWORD dst_unused:UNUSED_PAD src0_sel:WORD_1
	v_cvt_f32_f16_e32 v24, v37
	v_cvt_f32_f16_sdwa v18, v37 dst_sel:DWORD dst_unused:UNUSED_PAD src0_sel:WORD_1
	v_cvt_f32_f16_e32 v37, v14
	v_cvt_f32_f16_e32 v36, v10
	;; [unrolled: 1-line block ×3, first 2 shown]
	v_cvt_f32_f16_sdwa v30, v35 dst_sel:DWORD dst_unused:UNUSED_PAD src0_sel:WORD_1
	v_pk_mul_f32 v[42:43], v[32:33], v[42:43] op_sel_hi:[0,1]
	v_pk_mul_f32 v[50:51], v[32:33], v[50:51] op_sel_hi:[0,1]
	;; [unrolled: 1-line block ×4, first 2 shown]
	v_cvt_f32_f16_sdwa v69, v14 dst_sel:DWORD dst_unused:UNUSED_PAD src0_sel:WORD_1
	v_pk_mul_f32 v[38:39], v[34:35], v[38:39] op_sel_hi:[0,1]
	v_mbcnt_hi_u32_b32 v14, -1, v1
	v_pk_mul_f32 v[46:47], v[34:35], v[46:47] op_sel_hi:[0,1]
	v_pk_fma_f32 v[40:41], v[40:41], v[28:29], v[42:43] op_sel_hi:[1,0,1]
	v_pk_fma_f32 v[26:27], v[26:27], v[30:31], v[38:39] op_sel_hi:[1,0,1]
	v_and_b32_e32 v1, 64, v14
	v_pk_fma_f32 v[38:39], v[44:45], v[28:29], v[50:51] op_sel_hi:[1,0,1]
	v_pk_fma_f32 v[42:43], v[48:49], v[30:31], v[46:47] op_sel_hi:[1,0,1]
	;; [unrolled: 1-line block ×4, first 2 shown]
	v_cvt_f32_f16_e32 v45, v15
	v_cvt_f32_f16_sdwa v47, v15 dst_sel:DWORD dst_unused:UNUSED_PAD src0_sel:WORD_1
	v_xor_b32_e32 v2, 32, v14
	v_add_u32_e32 v15, 64, v1
	v_pk_fma_f32 v[40:41], v[56:57], v[24:25], v[40:41] op_sel_hi:[1,0,1]
	v_cmp_lt_i32_e64 s[0:1], v2, v15
	v_pk_fma_f32 v[26:27], v[58:59], v[18:19], v[26:27] op_sel_hi:[1,0,1]
	v_pk_fma_f32 v[38:39], v[60:61], v[20:21], v[38:39] op_sel_hi:[1,0,1]
	v_cndmask_b32_e64 v1, v14, v2, s[0:1]
	v_pk_add_f32 v[26:27], v[40:41], v[26:27]
	v_lshlrev_b32_e32 v1, 2, v1
	v_cndmask_b32_e32 v27, 0, v27, vcc
	v_cndmask_b32_e32 v26, 0, v26, vcc
	ds_bpermute_b32 v40, v1, v26
	ds_bpermute_b32 v41, v1, v27
	v_xor_b32_e32 v2, 16, v14
	v_cmp_lt_i32_e64 s[0:1], v2, v15
	v_pk_fma_f32 v[42:43], v[62:63], v[22:23], v[42:43] op_sel_hi:[1,0,1]
	v_pk_fma_f32 v[38:39], v[64:65], v[24:25], v[38:39] op_sel_hi:[1,0,1]
	v_cndmask_b32_e64 v2, v14, v2, s[0:1]
	v_lshlrev_b32_e32 v19, 2, v2
	s_waitcnt lgkmcnt(0)
	v_pk_add_f32 v[26:27], v[26:27], v[40:41]
	ds_bpermute_b32 v40, v19, v26
	ds_bpermute_b32 v41, v19, v27
	v_xor_b32_e32 v2, 8, v14
	v_pk_fma_f32 v[42:43], v[66:67], v[18:19], v[42:43] op_sel_hi:[1,0,1]
	v_cmp_lt_i32_e64 s[0:1], v2, v15
	v_pk_add_f32 v[38:39], v[38:39], v[42:43]
	s_waitcnt lgkmcnt(0)
	v_pk_add_f32 v[26:27], v[26:27], v[40:41]
	v_cndmask_b32_e64 v2, v14, v2, s[0:1]
	v_cndmask_b32_e32 v39, 0, v39, vcc
	v_cndmask_b32_e32 v38, 0, v38, vcc
	v_lshlrev_b32_e32 v21, 2, v2
	ds_bpermute_b32 v42, v1, v38
	ds_bpermute_b32 v43, v1, v39
	;; [unrolled: 1-line block ×4, first 2 shown]
	v_xor_b32_e32 v6, 4, v14
	v_cmp_lt_i32_e64 s[0:1], v6, v15
	s_waitcnt lgkmcnt(2)
	v_pk_add_f32 v[38:39], v[38:39], v[42:43]
	ds_bpermute_b32 v42, v19, v38
	v_cndmask_b32_e64 v6, v14, v6, s[0:1]
	v_lshlrev_b32_e32 v23, 2, v6
	s_waitcnt lgkmcnt(1)
	v_pk_add_f32 v[26:27], v[26:27], v[40:41]
	ds_bpermute_b32 v43, v19, v39
	ds_bpermute_b32 v40, v23, v26
	;; [unrolled: 1-line block ×3, first 2 shown]
	v_xor_b32_e32 v2, 2, v14
	v_cmp_lt_i32_e64 s[0:1], v2, v15
	s_waitcnt lgkmcnt(2)
	v_pk_add_f32 v[38:39], v[38:39], v[42:43]
	ds_bpermute_b32 v42, v21, v38
	v_cndmask_b32_e64 v2, v14, v2, s[0:1]
	v_lshlrev_b32_e32 v25, 2, v2
	s_waitcnt lgkmcnt(1)
	v_pk_add_f32 v[26:27], v[26:27], v[40:41]
	ds_bpermute_b32 v43, v21, v39
	ds_bpermute_b32 v40, v25, v26
	;; [unrolled: 1-line block ×3, first 2 shown]
	v_cvt_f32_f16_sdwa v68, v10 dst_sel:DWORD dst_unused:UNUSED_PAD src0_sel:WORD_1
	v_cvt_f32_f16_e32 v10, v7
	v_cvt_f32_f16_sdwa v48, v7 dst_sel:DWORD dst_unused:UNUSED_PAD src0_sel:WORD_1
	s_waitcnt lgkmcnt(2)
	v_pk_add_f32 v[6:7], v[38:39], v[42:43]
	v_cvt_f32_f16_e32 v44, v11
	v_cvt_f32_f16_sdwa v46, v11 dst_sel:DWORD dst_unused:UNUSED_PAD src0_sel:WORD_1
	v_cvt_f32_f16_e32 v11, v3
	v_cvt_f32_f16_sdwa v49, v3 dst_sel:DWORD dst_unused:UNUSED_PAD src0_sel:WORD_1
	s_waitcnt lgkmcnt(0)
	v_pk_add_f32 v[2:3], v[26:27], v[40:41]
	ds_bpermute_b32 v26, v23, v6
	ds_bpermute_b32 v27, v23, v7
	v_xor_b32_e32 v29, 1, v14
	v_cvt_f32_f16_e32 v39, v16
	v_cvt_f32_f16_sdwa v41, v16 dst_sel:DWORD dst_unused:UNUSED_PAD src0_sel:WORD_1
	v_cvt_f32_f16_e32 v38, v12
	v_cvt_f32_f16_sdwa v40, v12 dst_sel:DWORD dst_unused:UNUSED_PAD src0_sel:WORD_1
	v_cmp_lt_i32_e64 s[0:1], v29, v15
	v_cvt_f32_f16_e32 v43, v17
	v_cvt_f32_f16_sdwa v17, v17 dst_sel:DWORD dst_unused:UNUSED_PAD src0_sel:WORD_1
	v_cvt_f32_f16_sdwa v16, v13 dst_sel:DWORD dst_unused:UNUSED_PAD src0_sel:WORD_1
	v_pk_mul_f32 v[68:69], v[34:35], v[68:69] op_sel_hi:[0,1]
	v_cndmask_b32_e64 v29, v14, v29, s[0:1]
	s_waitcnt lgkmcnt(0)
	v_pk_add_f32 v[6:7], v[6:7], v[26:27]
	v_pk_fma_f32 v[26:27], v[44:45], v[28:29], v[36:37] op_sel_hi:[1,0,1]
	v_pk_fma_f32 v[36:37], v[46:47], v[30:31], v[68:69] op_sel_hi:[1,0,1]
	v_pk_mul_f32 v[34:35], v[34:35], v[70:71] op_sel_hi:[0,1]
	v_cvt_f32_f16_e32 v42, v13
	v_pk_fma_f32 v[12:13], v[38:39], v[20:21], v[26:27] op_sel_hi:[1,0,1]
	v_pk_fma_f32 v[26:27], v[40:41], v[22:23], v[36:37] op_sel_hi:[1,0,1]
	v_lshlrev_b32_e32 v50, 2, v29
	v_pk_fma_f32 v[16:17], v[16:17], v[18:19], v[26:27] op_sel_hi:[1,0,1]
	v_pk_fma_f32 v[10:11], v[10:11], v[28:29], v[32:33] op_sel_hi:[1,0,1]
	;; [unrolled: 1-line block ×3, first 2 shown]
	v_cvt_f32_f16_e32 v29, v4
	v_cvt_f32_f16_e32 v28, v8
	v_cvt_f32_f16_sdwa v31, v4 dst_sel:DWORD dst_unused:UNUSED_PAD src0_sel:WORD_1
	v_cvt_f32_f16_sdwa v30, v8 dst_sel:DWORD dst_unused:UNUSED_PAD src0_sel:WORD_1
	v_cvt_f32_f16_e32 v33, v5
	v_cvt_f32_f16_e32 v32, v9
	v_cvt_f32_f16_sdwa v5, v5 dst_sel:DWORD dst_unused:UNUSED_PAD src0_sel:WORD_1
	v_cvt_f32_f16_sdwa v4, v9 dst_sel:DWORD dst_unused:UNUSED_PAD src0_sel:WORD_1
	v_pk_fma_f32 v[8:9], v[28:29], v[20:21], v[10:11] op_sel_hi:[1,0,1]
	v_pk_fma_f32 v[10:11], v[30:31], v[22:23], v[26:27] op_sel_hi:[1,0,1]
	;; [unrolled: 1-line block ×5, first 2 shown]
	v_pk_add_f32 v[12:13], v[12:13], v[16:17]
	v_pk_add_f32 v[4:5], v[8:9], v[4:5]
	v_cndmask_b32_e32 v13, 0, v13, vcc
	v_cndmask_b32_e32 v12, 0, v12, vcc
	;; [unrolled: 1-line block ×4, first 2 shown]
	ds_bpermute_b32 v16, v1, v12
	ds_bpermute_b32 v17, v1, v13
	;; [unrolled: 1-line block ×6, first 2 shown]
	s_waitcnt lgkmcnt(4)
	v_pk_add_f32 v[12:13], v[12:13], v[16:17]
	ds_bpermute_b32 v16, v19, v12
	s_waitcnt lgkmcnt(3)
	v_pk_add_f32 v[4:5], v[4:5], v[8:9]
	ds_bpermute_b32 v17, v19, v13
	ds_bpermute_b32 v8, v19, v4
	;; [unrolled: 1-line block ×3, first 2 shown]
	s_waitcnt lgkmcnt(4)
	v_pk_add_f32 v[6:7], v[6:7], v[10:11]
	ds_bpermute_b32 v44, v50, v2
	s_waitcnt lgkmcnt(3)
	v_pk_add_f32 v[12:13], v[12:13], v[16:17]
	ds_bpermute_b32 v16, v21, v12
	s_waitcnt lgkmcnt(2)
	v_pk_add_f32 v[4:5], v[4:5], v[8:9]
	ds_bpermute_b32 v17, v21, v13
	ds_bpermute_b32 v8, v21, v4
	ds_bpermute_b32 v9, v21, v5
	;; [unrolled: 1-line block ×3, first 2 shown]
	s_waitcnt lgkmcnt(3)
	v_pk_add_f32 v[10:11], v[12:13], v[16:17]
	ds_bpermute_b32 v12, v23, v10
	s_waitcnt lgkmcnt(2)
	v_pk_add_f32 v[4:5], v[4:5], v[8:9]
	ds_bpermute_b32 v13, v23, v11
	ds_bpermute_b32 v8, v23, v4
	;; [unrolled: 1-line block ×5, first 2 shown]
	s_waitcnt lgkmcnt(4)
	v_pk_add_f32 v[10:11], v[10:11], v[12:13]
	ds_bpermute_b32 v12, v25, v10
	s_waitcnt lgkmcnt(3)
	v_pk_add_f32 v[4:5], v[4:5], v[8:9]
	ds_bpermute_b32 v13, v25, v11
	ds_bpermute_b32 v8, v25, v4
	;; [unrolled: 1-line block ×3, first 2 shown]
	s_waitcnt lgkmcnt(2)
	v_pk_add_f32 v[12:13], v[10:11], v[12:13]
	ds_bpermute_b32 v18, v50, v12
	s_waitcnt lgkmcnt(1)
	v_pk_add_f32 v[20:21], v[4:5], v[8:9]
	ds_bpermute_b32 v19, v50, v13
	ds_bpermute_b32 v22, v50, v20
	;; [unrolled: 1-line block ×3, first 2 shown]
	v_and_b32_e32 v9, 63, v0
	v_pk_add_f32 v[10:11], v[2:3], v[44:45]
	v_pk_add_f32 v[2:3], v[6:7], v[16:17]
	s_waitcnt lgkmcnt(2)
	v_pk_add_f32 v[4:5], v[12:13], v[18:19]
	s_waitcnt lgkmcnt(0)
	v_pk_add_f32 v[6:7], v[20:21], v[22:23]
	v_cmp_gt_u32_e32 vcc, 8, v9
	s_and_saveexec_b64 s[0:1], vcc
	s_cbranch_execz .LBB4_4
; %bb.3:
	v_cmp_eq_u32_e32 vcc, 1, v9
	v_lshrrev_b32_e32 v1, 4, v0
	v_and_b32_e32 v1, 60, v1
	v_cndmask_b32_e32 v8, v10, v11, vcc
	v_cmp_eq_u32_e32 vcc, 2, v9
	v_lshl_or_b32 v1, v9, 8, v1
	s_nop 0
	v_cndmask_b32_e32 v8, v8, v2, vcc
	v_cmp_eq_u32_e32 vcc, 3, v9
	s_nop 1
	v_cndmask_b32_e32 v8, v8, v3, vcc
	v_cmp_eq_u32_e32 vcc, 4, v9
	;; [unrolled: 3-line block ×5, first 2 shown]
	s_nop 1
	v_cndmask_b32_e32 v8, v8, v7, vcc
	ds_write_b32 v1, v8
.LBB4_4:
	s_or_b64 exec, exec, s[0:1]
	s_and_b32 s4, 0xffff, s3
	s_lshr_b32 s3, s4, 6
	v_cvt_f32_u32_e32 v1, s3
	v_cvt_f32_u32_e32 v8, v0
	s_waitcnt lgkmcnt(0)
	s_barrier
	v_rcp_iflag_f32_e32 v12, v1
	s_nop 0
	v_mul_f32_e32 v12, v8, v12
	v_trunc_f32_e32 v12, v12
	v_cvt_u32_f32_e32 v13, v12
	v_fma_f32 v8, -v12, v1, v8
	v_cmp_ge_f32_e64 vcc, |v8|, v1
	s_nop 1
	v_addc_co_u32_e32 v12, vcc, 0, v13, vcc
	v_cmp_gt_u16_e32 vcc, 8, v12
	s_and_saveexec_b64 s[0:1], vcc
	s_cbranch_execz .LBB4_10
; %bb.5:
	v_mul_lo_u16_e32 v1, s3, v12
	v_sub_u16_e32 v0, v0, v1
	v_and_b32_e32 v8, 0xffff, v12
	v_lshlrev_b32_e32 v0, 2, v0
	v_lshl_add_u32 v0, v8, 8, v0
	ds_read_b32 v0, v0
	v_cmp_eq_u16_e32 vcc, 7, v12
	v_cmp_eq_u16_e64 s[0:1], 1, v12
	s_cmpk_lt_u32 s4, 0x80
	s_waitcnt lgkmcnt(0)
	v_cndmask_b32_e32 v7, v7, v0, vcc
	v_cmp_eq_u16_e32 vcc, 6, v12
	v_cndmask_b32_e64 v1, v11, v0, s[0:1]
	s_nop 0
	v_cndmask_b32_e32 v6, v6, v0, vcc
	v_cmp_eq_u16_e32 vcc, 5, v12
	s_nop 1
	v_cndmask_b32_e32 v5, v5, v0, vcc
	v_cmp_eq_u16_e32 vcc, 4, v12
	;; [unrolled: 3-line block ×5, first 2 shown]
	s_nop 1
	v_cndmask_b32_e32 v0, v10, v0, vcc
	s_cbranch_scc1 .LBB4_8
; %bb.6:
	s_lshr_b32 s18, s4, 7
.LBB4_7:                                ; =>This Inner Loop Header: Depth=1
	v_cmp_eq_u32_e32 vcc, 1, v8
	v_cmp_eq_u32_e64 s[0:1], 2, v8
	v_cmp_eq_u32_e64 s[4:5], 3, v8
	v_cndmask_b32_e32 v10, v0, v1, vcc
	v_cndmask_b32_e64 v10, v10, v2, s[0:1]
	v_cndmask_b32_e64 v10, v10, v3, s[4:5]
	v_cmp_eq_u32_e64 s[6:7], 4, v8
	v_cmp_eq_u32_e64 s[8:9], 5, v8
	v_xor_b32_e32 v11, s18, v14
	v_cndmask_b32_e64 v10, v10, v4, s[6:7]
	v_cndmask_b32_e64 v10, v10, v5, s[8:9]
	v_cmp_eq_u32_e64 s[10:11], 6, v8
	v_cmp_lt_i32_e64 s[14:15], v11, v15
	v_cmp_eq_u32_e64 s[12:13], 7, v8
	v_cndmask_b32_e64 v10, v10, v6, s[10:11]
	v_cndmask_b32_e64 v11, v14, v11, s[14:15]
	;; [unrolled: 1-line block ×3, first 2 shown]
	v_lshlrev_b32_e32 v11, 2, v11
	ds_bpermute_b32 v11, v11, v10
	s_waitcnt lgkmcnt(0)
	v_add_f32_e32 v10, v10, v11
	v_cndmask_b32_e64 v2, v2, v10, s[0:1]
	v_cndmask_b32_e32 v1, v1, v10, vcc
	v_cmp_eq_u32_e32 vcc, 0, v8
	s_lshr_b32 s0, s18, 1
	v_cndmask_b32_e64 v7, v7, v10, s[12:13]
	v_cndmask_b32_e64 v6, v6, v10, s[10:11]
	;; [unrolled: 1-line block ×5, first 2 shown]
	v_cndmask_b32_e32 v0, v0, v10, vcc
	s_cmp_lt_u32 s18, 2
	s_mov_b32 s18, s0
	s_cbranch_scc0 .LBB4_7
.LBB4_8:
	v_cmp_eq_u32_e32 vcc, 1, v8
	s_lshl_b32 s0, s3, 1
	s_nop 0
	v_cndmask_b32_e32 v0, v0, v1, vcc
	v_cmp_eq_u32_e32 vcc, 2, v8
	v_xor_b32_e32 v1, s3, v14
	s_nop 0
	v_cndmask_b32_e32 v0, v0, v2, vcc
	v_cvt_f32_u32_e32 v2, s0
	v_cmp_eq_u32_e32 vcc, 3, v8
	s_nop 1
	v_cndmask_b32_e32 v0, v0, v3, vcc
	v_rcp_iflag_f32_e32 v3, v2
	v_cmp_eq_u32_e32 vcc, 4, v8
	s_nop 1
	v_cndmask_b32_e32 v0, v0, v4, vcc
	v_cvt_f32_ubyte0_e32 v4, v9
	v_cmp_eq_u32_e32 vcc, 5, v8
	v_mul_f32_e32 v3, v4, v3
	v_trunc_f32_e32 v3, v3
	v_cndmask_b32_e32 v0, v0, v5, vcc
	v_cmp_eq_u32_e32 vcc, 6, v8
	v_cvt_u32_f32_e32 v5, v3
	v_fma_f32 v3, -v3, v2, v4
	v_cndmask_b32_e32 v0, v0, v6, vcc
	v_cmp_eq_u32_e32 vcc, 7, v8
	s_nop 1
	v_cndmask_b32_e32 v0, v0, v7, vcc
	v_cmp_lt_i32_e32 vcc, v1, v15
	s_nop 1
	v_cndmask_b32_e32 v1, v14, v1, vcc
	v_lshlrev_b32_e32 v1, 2, v1
	v_cmp_ge_f32_e64 vcc, |v3|, v2
	ds_bpermute_b32 v1, v1, v0
	s_nop 0
	v_addc_co_u32_e32 v2, vcc, 0, v5, vcc
	v_mul_lo_u32 v2, v2, s0
	v_sub_u32_e32 v2, v9, v2
	v_and_b32_e32 v2, 0x7ff, v2
	v_cmp_eq_u32_e32 vcc, 0, v2
	s_and_b64 exec, exec, vcc
	s_cbranch_execz .LBB4_10
; %bb.9:
	v_cvt_f16_f32_e32 v2, v0
	s_waitcnt lgkmcnt(0)
	v_cvt_f16_f32_e32 v3, v1
	s_lshl_b32 s0, s2, 2
	s_and_b32 s0, s0, 0x7ffffffc
	v_mov_b32_e32 v0, s16
	v_pack_b32_f16 v4, v2, v3
	v_lshrrev_b16_e32 v2, 1, v12
	v_mov_b32_e32 v1, s17
	v_or_b32_e32 v2, s0, v2
	v_mov_b32_e32 v3, 0
	v_lshl_add_u64 v[0:1], v[2:3], 2, v[0:1]
	global_store_dword v[0:1], v4, off
.LBB4_10:
	s_endpgm
	.section	.rodata,"a",@progbits
	.p2align	6, 0x0
	.amdhsa_kernel _ZN5aiter14LLGemm1_kernelI6__halfLi8EEEvPKT_S4_PS2_i
		.amdhsa_group_segment_fixed_size 2048
		.amdhsa_private_segment_fixed_size 0
		.amdhsa_kernarg_size 288
		.amdhsa_user_sgpr_count 2
		.amdhsa_user_sgpr_dispatch_ptr 0
		.amdhsa_user_sgpr_queue_ptr 0
		.amdhsa_user_sgpr_kernarg_segment_ptr 1
		.amdhsa_user_sgpr_dispatch_id 0
		.amdhsa_user_sgpr_kernarg_preload_length 0
		.amdhsa_user_sgpr_kernarg_preload_offset 0
		.amdhsa_user_sgpr_private_segment_size 0
		.amdhsa_uses_dynamic_stack 0
		.amdhsa_enable_private_segment 0
		.amdhsa_system_sgpr_workgroup_id_x 1
		.amdhsa_system_sgpr_workgroup_id_y 0
		.amdhsa_system_sgpr_workgroup_id_z 0
		.amdhsa_system_sgpr_workgroup_info 0
		.amdhsa_system_vgpr_workitem_id 0
		.amdhsa_next_free_vgpr 72
		.amdhsa_next_free_sgpr 19
		.amdhsa_accum_offset 72
		.amdhsa_reserve_vcc 1
		.amdhsa_float_round_mode_32 0
		.amdhsa_float_round_mode_16_64 0
		.amdhsa_float_denorm_mode_32 3
		.amdhsa_float_denorm_mode_16_64 3
		.amdhsa_dx10_clamp 1
		.amdhsa_ieee_mode 1
		.amdhsa_fp16_overflow 0
		.amdhsa_tg_split 0
		.amdhsa_exception_fp_ieee_invalid_op 0
		.amdhsa_exception_fp_denorm_src 0
		.amdhsa_exception_fp_ieee_div_zero 0
		.amdhsa_exception_fp_ieee_overflow 0
		.amdhsa_exception_fp_ieee_underflow 0
		.amdhsa_exception_fp_ieee_inexact 0
		.amdhsa_exception_int_div_zero 0
	.end_amdhsa_kernel
	.section	.text._ZN5aiter14LLGemm1_kernelI6__halfLi8EEEvPKT_S4_PS2_i,"axG",@progbits,_ZN5aiter14LLGemm1_kernelI6__halfLi8EEEvPKT_S4_PS2_i,comdat
.Lfunc_end4:
	.size	_ZN5aiter14LLGemm1_kernelI6__halfLi8EEEvPKT_S4_PS2_i, .Lfunc_end4-_ZN5aiter14LLGemm1_kernelI6__halfLi8EEEvPKT_S4_PS2_i
                                        ; -- End function
	.section	.AMDGPU.csdata,"",@progbits
; Kernel info:
; codeLenInByte = 2688
; NumSgprs: 25
; NumVgprs: 72
; NumAgprs: 0
; TotalNumVgprs: 72
; ScratchSize: 0
; MemoryBound: 0
; FloatMode: 240
; IeeeMode: 1
; LDSByteSize: 2048 bytes/workgroup (compile time only)
; SGPRBlocks: 3
; VGPRBlocks: 8
; NumSGPRsForWavesPerEU: 25
; NumVGPRsForWavesPerEU: 72
; AccumOffset: 72
; Occupancy: 7
; WaveLimiterHint : 0
; COMPUTE_PGM_RSRC2:SCRATCH_EN: 0
; COMPUTE_PGM_RSRC2:USER_SGPR: 2
; COMPUTE_PGM_RSRC2:TRAP_HANDLER: 0
; COMPUTE_PGM_RSRC2:TGID_X_EN: 1
; COMPUTE_PGM_RSRC2:TGID_Y_EN: 0
; COMPUTE_PGM_RSRC2:TGID_Z_EN: 0
; COMPUTE_PGM_RSRC2:TIDIG_COMP_CNT: 0
; COMPUTE_PGM_RSRC3_GFX90A:ACCUM_OFFSET: 17
; COMPUTE_PGM_RSRC3_GFX90A:TG_SPLIT: 0
	.section	.text._ZN5aiter14LLGemm1_kernelI6__halfLi16EEEvPKT_S4_PS2_i,"axG",@progbits,_ZN5aiter14LLGemm1_kernelI6__halfLi16EEEvPKT_S4_PS2_i,comdat
	.protected	_ZN5aiter14LLGemm1_kernelI6__halfLi16EEEvPKT_S4_PS2_i ; -- Begin function _ZN5aiter14LLGemm1_kernelI6__halfLi16EEEvPKT_S4_PS2_i
	.globl	_ZN5aiter14LLGemm1_kernelI6__halfLi16EEEvPKT_S4_PS2_i
	.p2align	8
	.type	_ZN5aiter14LLGemm1_kernelI6__halfLi16EEEvPKT_S4_PS2_i,@function
_ZN5aiter14LLGemm1_kernelI6__halfLi16EEEvPKT_S4_PS2_i: ; @_ZN5aiter14LLGemm1_kernelI6__halfLi16EEEvPKT_S4_PS2_i
; %bb.0:
	s_load_dword s3, s[0:1], 0x18
	s_load_dwordx4 s[4:7], s[0:1], 0x0
	s_load_dwordx2 s[34:35], s[0:1], 0x10
	v_lshlrev_b32_e32 v1, 3, v0
                                        ; implicit-def: $vgpr72
                                        ; implicit-def: $vgpr6
                                        ; implicit-def: $vgpr14
                                        ; implicit-def: $vgpr10
                                        ; implicit-def: $vgpr22
                                        ; implicit-def: $vgpr18
                                        ; implicit-def: $vgpr30
                                        ; implicit-def: $vgpr26
                                        ; implicit-def: $vgpr38
                                        ; implicit-def: $vgpr34
                                        ; implicit-def: $vgpr46
                                        ; implicit-def: $vgpr42
                                        ; implicit-def: $vgpr54
                                        ; implicit-def: $vgpr50
                                        ; implicit-def: $vgpr62
                                        ; implicit-def: $vgpr58
	s_waitcnt lgkmcnt(0)
	v_cmp_gt_i32_e32 vcc, s3, v1
	s_and_saveexec_b64 s[8:9], vcc
	s_cbranch_execz .LBB5_2
; %bb.1:
	s_mul_i32 s10, s2, s3
	s_lshl_b32 s10, s10, 1
	s_and_b32 s10, s10, 0x1ffffffe
	v_add_u32_e32 v2, s10, v0
	v_mov_b32_e32 v3, 0
	s_lshr_b32 s10, s3, 3
	s_mov_b32 s11, 0
	v_lshl_add_u64 v[4:5], v[2:3], 4, s[4:5]
	v_lshl_add_u64 v[6:7], s[10:11], 4, v[4:5]
	s_add_i32 s11, s10, s10
	v_add_u32_e32 v8, s11, v2
	v_mov_b32_e32 v9, v3
	v_lshl_add_u64 v[10:11], v[8:9], 4, s[4:5]
	v_add_u32_e32 v8, s10, v8
	v_lshl_add_u64 v[12:13], v[8:9], 4, s[4:5]
	v_add_u32_e32 v8, s10, v8
	;; [unrolled: 2-line block ×4, first 2 shown]
	s_and_b32 s3, s3, -8
	v_lshl_add_u64 v[18:19], v[8:9], 4, s[4:5]
	v_add_u32_e32 v8, s10, v8
	v_add_u32_e32 v2, s3, v2
	v_lshl_add_u64 v[24:25], v[2:3], 4, s[4:5]
	v_lshl_add_u32 v2, s10, 1, v8
	v_lshl_add_u64 v[22:23], v[8:9], 4, s[4:5]
	v_lshl_add_u64 v[8:9], v[2:3], 4, s[4:5]
	v_add_u32_e32 v2, s10, v2
	v_lshl_add_u64 v[66:67], v[2:3], 4, s[4:5]
	v_add_u32_e32 v2, s10, v2
	;; [unrolled: 2-line block ×6, first 2 shown]
	v_lshl_add_u64 v[2:3], v[2:3], 4, s[4:5]
	global_load_dwordx4 v[58:61], v[4:5], off nt
	global_load_dwordx4 v[62:65], v[6:7], off nt
	;; [unrolled: 1-line block ×7, first 2 shown]
                                        ; kill: killed $vgpr12_vgpr13
                                        ; kill: killed $vgpr4_vgpr5
                                        ; kill: killed $vgpr14_vgpr15
                                        ; kill: killed $vgpr16_vgpr17
                                        ; kill: killed $vgpr18_vgpr19
                                        ; kill: killed $vgpr6_vgpr7
                                        ; kill: killed $vgpr10_vgpr11
	global_load_dwordx4 v[38:41], v[22:23], off nt
	global_load_dwordx4 v[26:29], v[24:25], off nt
	global_load_dwordx4 v[30:33], v[8:9], off nt
	s_nop 0
	global_load_dwordx4 v[18:21], v[66:67], off nt
                                        ; kill: killed $vgpr66_vgpr67
                                        ; kill: killed $vgpr24_vgpr25
                                        ; kill: killed $vgpr22_vgpr23
                                        ; kill: killed $vgpr8_vgpr9
	global_load_dwordx4 v[22:25], v[68:69], off nt
	global_load_dwordx4 v[10:13], v[70:71], off nt
                                        ; kill: killed $vgpr68_vgpr69
                                        ; kill: killed $vgpr70_vgpr71
	global_load_dwordx4 v[14:17], v[72:73], off nt
	global_load_dwordx4 v[6:9], v[74:75], off nt
	s_nop 0
	global_load_dwordx4 v[72:75], v[2:3], off nt
.LBB5_2:
	s_or_b64 exec, exec, s[8:9]
	v_lshlrev_b32_e32 v1, 4, v0
	global_load_dwordx4 v[122:125], v1, s[6:7]
	s_waitcnt vmcnt(15)
	v_cvt_f32_f16_e32 v5, v63
	v_cvt_f32_f16_e32 v4, v59
	v_cvt_f32_f16_sdwa v71, v63 dst_sel:DWORD dst_unused:UNUSED_PAD src0_sel:WORD_1
	v_cvt_f32_f16_sdwa v70, v59 dst_sel:DWORD dst_unused:UNUSED_PAD src0_sel:WORD_1
	s_waitcnt vmcnt(13)
	v_cvt_f32_f16_e32 v59, v54
	scratch_store_dwordx2 off, v[4:5], off offset:16 ; 8-byte Folded Spill
	v_cvt_f32_f16_sdwa v115, v54 dst_sel:DWORD dst_unused:UNUSED_PAD src0_sel:WORD_1
	scratch_store_dwordx2 off, v[70:71], off offset:8 ; 8-byte Folded Spill
	v_cvt_f32_f16_e32 v113, v55
	v_cvt_f32_f16_sdwa v111, v55 dst_sel:DWORD dst_unused:UNUSED_PAD src0_sel:WORD_1
	v_cvt_f32_f16_e32 v108, v52
	v_cvt_f32_f16_sdwa v106, v52 dst_sel:DWORD dst_unused:UNUSED_PAD src0_sel:WORD_1
	;; [unrolled: 2-line block ×3, first 2 shown]
	s_waitcnt vmcnt(12)
	v_cvt_f32_f16_e32 v84, v36
	v_cvt_f32_f16_sdwa v82, v36 dst_sel:DWORD dst_unused:UNUSED_PAD src0_sel:WORD_1
	s_waitcnt vmcnt(9)
	v_cvt_f32_f16_e32 v55, v32
	v_cvt_f32_f16_sdwa v53, v32 dst_sel:DWORD dst_unused:UNUSED_PAD src0_sel:WORD_1
	v_cvt_f32_f16_e32 v36, v26
	v_cvt_f32_f16_sdwa v120, v26 dst_sel:DWORD dst_unused:UNUSED_PAD src0_sel:WORD_1
	;; [unrolled: 2-line block ×6, first 2 shown]
	v_cvt_f32_f16_e32 v101, v47
	scratch_store_dwordx2 off, v[2:3], off  ; 8-byte Folded Spill
	v_cvt_f32_f16_sdwa v99, v47 dst_sel:DWORD dst_unused:UNUSED_PAD src0_sel:WORD_1
	v_cvt_f32_f16_e32 v96, v44
	v_cvt_f32_f16_sdwa v94, v44 dst_sel:DWORD dst_unused:UNUSED_PAD src0_sel:WORD_1
	v_cvt_f32_f16_e32 v92, v45
	;; [unrolled: 2-line block ×4, first 2 shown]
	v_cvt_f32_f16_sdwa v87, v39 dst_sel:DWORD dst_unused:UNUSED_PAD src0_sel:WORD_1
	s_waitcnt vmcnt(8)
	v_cvt_f32_f16_e32 v39, v22
	v_cvt_f32_f16_sdwa v117, v22 dst_sel:DWORD dst_unused:UNUSED_PAD src0_sel:WORD_1
	v_cvt_f32_f16_e32 v47, v24
	v_cvt_f32_f16_sdwa v45, v24 dst_sel:DWORD dst_unused:UNUSED_PAD src0_sel:WORD_1
	;; [unrolled: 2-line block ×6, first 2 shown]
	v_cvt_f32_f16_e32 v2, v34
	v_cvt_f32_f16_e32 v77, v65
	v_cvt_f32_f16_sdwa v65, v65 dst_sel:DWORD dst_unused:UNUSED_PAD src0_sel:WORD_1
	v_cvt_f32_f16_sdwa v64, v61 dst_sel:DWORD dst_unused:UNUSED_PAD src0_sel:WORD_1
	v_cvt_f32_f16_e32 v76, v61
	v_mbcnt_lo_u32_b32 v1, -1, 0
	v_cvt_f32_f16_e32 v58, v50
	v_cvt_f32_f16_sdwa v114, v50 dst_sel:DWORD dst_unused:UNUSED_PAD src0_sel:WORD_1
	v_cvt_f32_f16_e32 v97, v48
	v_cvt_f32_f16_sdwa v95, v48 dst_sel:DWORD dst_unused:UNUSED_PAD src0_sel:WORD_1
	;; [unrolled: 2-line block ×9, first 2 shown]
	v_cvt_f32_f16_sdwa v4, v34 dst_sel:DWORD dst_unused:UNUSED_PAD src0_sel:WORD_1
	v_cvt_f32_f16_e32 v88, v35
	v_cvt_f32_f16_sdwa v86, v35 dst_sel:DWORD dst_unused:UNUSED_PAD src0_sel:WORD_1
	v_cvt_f32_f16_e32 v109, v56
	s_waitcnt vmcnt(3)
	v_cvt_f32_f16_e32 v70, v122
	v_cvt_f32_f16_sdwa v32, v122 dst_sel:DWORD dst_unused:UNUSED_PAD src0_sel:WORD_1
	v_cvt_f32_f16_e32 v26, v123
	v_cvt_f32_f16_sdwa v28, v123 dst_sel:DWORD dst_unused:UNUSED_PAD src0_sel:WORD_1
	scratch_load_dwordx2 v[122:123], off, off offset:16 ; 8-byte Folded Reload
	v_pk_mul_f32 v[68:69], v[70:71], v[68:69] op_sel_hi:[0,1]
	v_cvt_f32_f16_e32 v20, v124
	v_cvt_f32_f16_sdwa v22, v124 dst_sel:DWORD dst_unused:UNUSED_PAD src0_sel:WORD_1
	v_cvt_f32_f16_e32 v24, v125
	v_cvt_f32_f16_sdwa v18, v125 dst_sel:DWORD dst_unused:UNUSED_PAD src0_sel:WORD_1
	v_cvt_f32_f16_sdwa v107, v56 dst_sel:DWORD dst_unused:UNUSED_PAD src0_sel:WORD_1
	v_cvt_f32_f16_e32 v60, v27
	v_cvt_f32_f16_sdwa v56, v27 dst_sel:DWORD dst_unused:UNUSED_PAD src0_sel:WORD_1
	v_cvt_f32_f16_e32 v81, v41
	;; [unrolled: 2-line block ×3, first 2 shown]
	v_cvt_f32_f16_sdwa v78, v37 dst_sel:DWORD dst_unused:UNUSED_PAD src0_sel:WORD_1
	v_pk_mul_f32 v[4:5], v[32:33], v[4:5] op_sel_hi:[0,1]
	v_pk_fma_f32 v[4:5], v[86:87], v[28:29], v[4:5] op_sel_hi:[1,0,1]
	v_cvt_f32_f16_e32 v100, v43
	v_cvt_f32_f16_sdwa v98, v43 dst_sel:DWORD dst_unused:UNUSED_PAD src0_sel:WORD_1
	v_cvt_f32_f16_e32 v43, v25
	v_cvt_f32_f16_sdwa v41, v25 dst_sel:DWORD dst_unused:UNUSED_PAD src0_sel:WORD_1
	v_cvt_f32_f16_e32 v37, v30
	v_cvt_f32_f16_e32 v105, v57
	v_cvt_f32_f16_sdwa v103, v57 dst_sel:DWORD dst_unused:UNUSED_PAD src0_sel:WORD_1
	v_cvt_f32_f16_sdwa v121, v30 dst_sel:DWORD dst_unused:UNUSED_PAD src0_sel:WORD_1
	v_cvt_f32_f16_e32 v61, v31
	v_cvt_f32_f16_sdwa v57, v31 dst_sel:DWORD dst_unused:UNUSED_PAD src0_sel:WORD_1
	v_pk_mul_f32 v[58:59], v[70:71], v[58:59] op_sel_hi:[0,1]
	v_cvt_f32_f16_e32 v35, v33
	v_cvt_f32_f16_sdwa v31, v33 dst_sel:DWORD dst_unused:UNUSED_PAD src0_sel:WORD_1
	v_cvt_f32_f16_e32 v34, v29
	v_cvt_f32_f16_sdwa v30, v29 dst_sel:DWORD dst_unused:UNUSED_PAD src0_sel:WORD_1
	s_load_dword s3, s[0:1], 0x2c
	scratch_load_dwordx2 v[124:125], off, off offset:8 ; 8-byte Folded Reload
	s_waitcnt vmcnt(1)
	v_pk_fma_f32 v[68:69], v[122:123], v[26:27], v[68:69] op_sel_hi:[1,0,1]
	scratch_load_dwordx2 v[122:123], off, off ; 8-byte Folded Reload
	v_pk_fma_f32 v[66:67], v[66:67], v[20:21], v[68:69] op_sel_hi:[1,0,1]
	v_pk_mul_f32 v[68:69], v[70:71], v[2:3] op_sel_hi:[0,1]
	s_waitcnt vmcnt(0)
	v_pk_mul_f32 v[122:123], v[32:33], v[122:123] op_sel_hi:[0,1]
	v_pk_fma_f32 v[122:123], v[124:125], v[28:29], v[122:123] op_sel_hi:[1,0,1]
	v_pk_mul_f32 v[124:125], v[70:71], v[126:127] op_sel_hi:[0,1]
	v_pk_fma_f32 v[2:3], v[62:63], v[22:23], v[122:123] op_sel_hi:[1,0,1]
	v_pk_fma_f32 v[62:63], v[76:77], v[24:25], v[66:67] op_sel_hi:[1,0,1]
	;; [unrolled: 1-line block ×3, first 2 shown]
	v_mbcnt_hi_u32_b32 v19, -1, v1
	v_and_b32_e32 v1, 64, v19
	v_add_u32_e32 v21, 64, v1
	v_xor_b32_e32 v1, 32, v19
	v_cmp_lt_i32_e64 s[4:5], v1, v21
	v_pk_add_f32 v[2:3], v[62:63], v[2:3]
	v_xor_b32_e32 v23, 16, v19
	v_cndmask_b32_e64 v1, v19, v1, s[4:5]
	v_cndmask_b32_e32 v3, 0, v3, vcc
	v_cndmask_b32_e32 v2, 0, v2, vcc
	v_lshlrev_b32_e32 v1, 2, v1
	ds_bpermute_b32 v64, v1, v2
	ds_bpermute_b32 v65, v1, v3
	v_cmp_lt_i32_e64 s[4:5], v23, v21
	v_cvt_f32_f16_e32 v123, v14
	v_cvt_f32_f16_e32 v122, v10
	v_cndmask_b32_e64 v23, v19, v23, s[4:5]
	s_waitcnt lgkmcnt(0)
	v_pk_add_f32 v[2:3], v[2:3], v[64:65]
	v_lshlrev_b32_e32 v27, 2, v23
	ds_bpermute_b32 v64, v27, v2
	ds_bpermute_b32 v65, v27, v3
	v_xor_b32_e32 v23, 8, v19
	v_cmp_lt_i32_e64 s[4:5], v23, v21
	v_pk_fma_f32 v[68:69], v[88:89], v[26:27], v[68:69] op_sel_hi:[1,0,1]
	v_cvt_f32_f16_e32 v77, v72
	v_cndmask_b32_e64 v23, v19, v23, s[4:5]
	v_lshlrev_b32_e32 v25, 2, v23
	v_pk_fma_f32 v[68:69], v[84:85], v[20:21], v[68:69] op_sel_hi:[1,0,1]
	v_pk_fma_f32 v[4:5], v[82:83], v[22:23], v[4:5] op_sel_hi:[1,0,1]
	;; [unrolled: 1-line block ×4, first 2 shown]
	s_waitcnt lgkmcnt(0)
	v_pk_add_f32 v[2:3], v[2:3], v[64:65]
	v_pk_add_f32 v[4:5], v[68:69], v[4:5]
	v_cvt_f32_f16_e32 v76, v6
	ds_bpermute_b32 v64, v25, v2
	ds_bpermute_b32 v65, v25, v3
	v_cndmask_b32_e32 v5, 0, v5, vcc
	v_cndmask_b32_e32 v4, 0, v4, vcc
	ds_bpermute_b32 v68, v1, v4
	ds_bpermute_b32 v69, v1, v5
	v_pk_mul_f32 v[66:67], v[70:71], v[36:37] op_sel_hi:[0,1]
	v_pk_mul_f32 v[62:63], v[70:71], v[38:39] op_sel_hi:[0,1]
	;; [unrolled: 1-line block ×5, first 2 shown]
	s_waitcnt lgkmcnt(2)
	v_pk_add_f32 v[64:65], v[2:3], v[64:65]
	v_pk_fma_f32 v[2:3], v[112:113], v[26:27], v[58:59] op_sel_hi:[1,0,1]
	v_pk_fma_f32 v[58:59], v[110:111], v[28:29], v[70:71] op_sel_hi:[1,0,1]
	;; [unrolled: 1-line block ×4, first 2 shown]
	s_waitcnt lgkmcnt(0)
	v_pk_add_f32 v[4:5], v[4:5], v[68:69]
	v_pk_mul_f32 v[76:77], v[32:33], v[118:119] op_sel_hi:[0,1]
	v_pk_mul_f32 v[118:119], v[32:33], v[120:121] op_sel_hi:[0,1]
	v_pk_fma_f32 v[2:3], v[104:105], v[24:25], v[2:3] op_sel_hi:[1,0,1]
	v_pk_fma_f32 v[58:59], v[102:103], v[18:19], v[58:59] op_sel_hi:[1,0,1]
	ds_bpermute_b32 v68, v27, v4
	ds_bpermute_b32 v69, v27, v5
	v_pk_add_f32 v[2:3], v[2:3], v[58:59]
	v_pk_fma_f32 v[60:61], v[60:61], v[26:27], v[66:67] op_sel_hi:[1,0,1]
	v_pk_fma_f32 v[56:57], v[56:57], v[28:29], v[118:119] op_sel_hi:[1,0,1]
	v_cndmask_b32_e32 v59, 0, v3, vcc
	v_cndmask_b32_e32 v58, 0, v2, vcc
	v_pk_fma_f32 v[54:55], v[54:55], v[20:21], v[60:61] op_sel_hi:[1,0,1]
	v_pk_fma_f32 v[52:53], v[52:53], v[22:23], v[56:57] op_sel_hi:[1,0,1]
	ds_bpermute_b32 v70, v1, v58
	ds_bpermute_b32 v71, v1, v59
	v_pk_fma_f32 v[34:35], v[34:35], v[24:25], v[54:55] op_sel_hi:[1,0,1]
	v_pk_fma_f32 v[30:31], v[30:31], v[18:19], v[52:53] op_sel_hi:[1,0,1]
	v_cvt_f32_f16_sdwa v112, v6 dst_sel:DWORD dst_unused:UNUSED_PAD src0_sel:WORD_1
	v_pk_add_f32 v[30:31], v[34:35], v[30:31]
	v_xor_b32_e32 v6, 4, v19
	s_waitcnt lgkmcnt(2)
	v_pk_add_f32 v[4:5], v[4:5], v[68:69]
	v_cndmask_b32_e32 v53, 0, v31, vcc
	v_cndmask_b32_e32 v52, 0, v30, vcc
	v_cmp_lt_i32_e64 s[4:5], v6, v21
	ds_bpermute_b32 v68, v25, v4
	ds_bpermute_b32 v69, v25, v5
	ds_bpermute_b32 v54, v1, v52
	ds_bpermute_b32 v55, v1, v53
	v_cndmask_b32_e64 v2, v19, v6, s[4:5]
	v_lshlrev_b32_e32 v2, 2, v2
	s_waitcnt lgkmcnt(4)
	v_pk_add_f32 v[70:71], v[58:59], v[70:71]
	ds_bpermute_b32 v102, v2, v64
	ds_bpermute_b32 v103, v2, v65
	;; [unrolled: 1-line block ×4, first 2 shown]
	v_pk_fma_f32 v[100:101], v[100:101], v[26:27], v[124:125] op_sel_hi:[1,0,1]
	v_pk_fma_f32 v[76:77], v[98:99], v[28:29], v[76:77] op_sel_hi:[1,0,1]
	;; [unrolled: 1-line block ×5, first 2 shown]
	s_waitcnt lgkmcnt(6)
	v_pk_add_f32 v[4:5], v[4:5], v[68:69]
	s_waitcnt lgkmcnt(4)
	v_pk_add_f32 v[52:53], v[52:53], v[54:55]
	v_pk_fma_f32 v[46:47], v[46:47], v[20:21], v[50:51] op_sel_hi:[1,0,1]
	v_pk_mul_f32 v[106:107], v[32:33], v[116:117] op_sel_hi:[0,1]
	v_pk_fma_f32 v[92:93], v[92:93], v[24:25], v[96:97] op_sel_hi:[1,0,1]
	v_pk_fma_f32 v[76:77], v[90:91], v[18:19], v[76:77] op_sel_hi:[1,0,1]
	ds_bpermute_b32 v56, v2, v4
	ds_bpermute_b32 v57, v2, v5
	v_pk_fma_f32 v[42:43], v[42:43], v[24:25], v[46:47] op_sel_hi:[1,0,1]
	ds_bpermute_b32 v46, v27, v52
	ds_bpermute_b32 v47, v27, v53
	v_pk_add_f32 v[76:77], v[92:93], v[76:77]
	v_pk_fma_f32 v[48:49], v[48:49], v[28:29], v[106:107] op_sel_hi:[1,0,1]
	v_and_b32_e32 v23, 63, v0
	s_waitcnt lgkmcnt(6)
	v_pk_add_f32 v[102:103], v[64:65], v[102:103]
	v_xor_b32_e32 v3, 2, v19
	s_waitcnt lgkmcnt(4)
	v_pk_add_f32 v[64:65], v[70:71], v[104:105]
	v_cndmask_b32_e32 v77, 0, v77, vcc
	v_cndmask_b32_e32 v76, 0, v76, vcc
	v_pk_fma_f32 v[44:45], v[44:45], v[22:23], v[48:49] op_sel_hi:[1,0,1]
	ds_bpermute_b32 v70, v25, v64
	ds_bpermute_b32 v71, v25, v65
	;; [unrolled: 1-line block ×4, first 2 shown]
	v_cmp_lt_i32_e64 s[4:5], v3, v21
	v_pk_fma_f32 v[40:41], v[40:41], v[18:19], v[44:45] op_sel_hi:[1,0,1]
	s_waitcnt lgkmcnt(6)
	v_pk_add_f32 v[4:5], v[4:5], v[56:57]
	v_cndmask_b32_e64 v3, v19, v3, s[4:5]
	v_pk_add_f32 v[40:41], v[42:43], v[40:41]
	v_lshlrev_b32_e32 v6, 2, v3
	v_cndmask_b32_e32 v41, 0, v41, vcc
	v_cndmask_b32_e32 v40, 0, v40, vcc
	s_waitcnt lgkmcnt(4)
	v_pk_add_f32 v[44:45], v[52:53], v[46:47]
	ds_bpermute_b32 v48, v6, v4
	ds_bpermute_b32 v42, v1, v40
	;; [unrolled: 1-line block ×6, first 2 shown]
	s_waitcnt lgkmcnt(8)
	v_pk_add_f32 v[64:65], v[64:65], v[70:71]
	s_waitcnt lgkmcnt(6)
	v_pk_add_f32 v[76:77], v[76:77], v[90:91]
	ds_bpermute_b32 v70, v2, v64
	ds_bpermute_b32 v71, v2, v65
	;; [unrolled: 1-line block ×4, first 2 shown]
	v_cvt_f32_f16_sdwa v115, v14 dst_sel:DWORD dst_unused:UNUSED_PAD src0_sel:WORD_1
	v_cvt_f32_f16_sdwa v114, v10 dst_sel:DWORD dst_unused:UNUSED_PAD src0_sel:WORD_1
	v_cvt_f32_f16_e32 v50, v11
	s_waitcnt lgkmcnt(7)
	v_pk_add_f32 v[40:41], v[40:41], v[42:43]
	v_cvt_f32_f16_sdwa v14, v11 dst_sel:DWORD dst_unused:UNUSED_PAD src0_sel:WORD_1
	s_waitcnt lgkmcnt(6)
	v_pk_add_f32 v[10:11], v[4:5], v[48:49]
	s_waitcnt lgkmcnt(4)
	v_pk_add_f32 v[4:5], v[44:45], v[46:47]
	ds_bpermute_b32 v42, v27, v40
	ds_bpermute_b32 v43, v27, v41
	;; [unrolled: 1-line block ×4, first 2 shown]
	s_waitcnt lgkmcnt(6)
	v_pk_add_f32 v[70:71], v[64:65], v[70:71]
	s_waitcnt lgkmcnt(4)
	v_pk_add_f32 v[64:65], v[76:77], v[90:91]
	ds_bpermute_b32 v76, v25, v64
	ds_bpermute_b32 v77, v25, v65
	s_waitcnt lgkmcnt(4)
	v_pk_add_f32 v[40:41], v[40:41], v[42:43]
	s_waitcnt lgkmcnt(2)
	v_pk_add_f32 v[4:5], v[4:5], v[48:49]
	v_cvt_f32_f16_e32 v43, v16
	v_cvt_f32_f16_sdwa v45, v16 dst_sel:DWORD dst_unused:UNUSED_PAD src0_sel:WORD_1
	v_cvt_f32_f16_e32 v42, v12
	v_cvt_f32_f16_sdwa v44, v12 dst_sel:DWORD dst_unused:UNUSED_PAD src0_sel:WORD_1
	;; [unrolled: 2-line block ×3, first 2 shown]
	ds_bpermute_b32 v12, v25, v40
	ds_bpermute_b32 v13, v25, v41
	;; [unrolled: 1-line block ×4, first 2 shown]
	s_waitcnt lgkmcnt(4)
	v_pk_add_f32 v[64:65], v[64:65], v[76:77]
	v_cvt_f32_f16_e32 v51, v15
	v_cvt_f32_f16_sdwa v15, v15 dst_sel:DWORD dst_unused:UNUSED_PAD src0_sel:WORD_1
	ds_bpermute_b32 v76, v2, v64
	ds_bpermute_b32 v77, v2, v65
	v_cvt_f32_f16_sdwa v113, v72 dst_sel:DWORD dst_unused:UNUSED_PAD src0_sel:WORD_1
	v_cvt_f32_f16_e32 v47, v17
	v_cvt_f32_f16_sdwa v17, v17 dst_sel:DWORD dst_unused:UNUSED_PAD src0_sel:WORD_1
	v_pk_mul_f32 v[58:59], v[32:33], v[114:115] op_sel_hi:[0,1]
	s_waitcnt lgkmcnt(4)
	v_pk_add_f32 v[40:41], v[40:41], v[12:13]
	s_waitcnt lgkmcnt(2)
	v_pk_add_f32 v[12:13], v[4:5], v[48:49]
	v_cvt_f32_f16_sdwa v5, v73 dst_sel:DWORD dst_unused:UNUSED_PAD src0_sel:WORD_1
	v_cvt_f32_f16_sdwa v4, v7 dst_sel:DWORD dst_unused:UNUSED_PAD src0_sel:WORD_1
	v_pk_fma_f32 v[38:39], v[50:51], v[26:27], v[38:39] op_sel_hi:[1,0,1]
	v_pk_fma_f32 v[14:15], v[14:15], v[28:29], v[58:59] op_sel_hi:[1,0,1]
	;; [unrolled: 1-line block ×4, first 2 shown]
	s_waitcnt lgkmcnt(0)
	v_pk_add_f32 v[76:77], v[64:65], v[76:77]
	v_pk_mul_f32 v[64:65], v[32:33], v[112:113] op_sel_hi:[0,1]
	v_cvt_f32_f16_e32 v53, v73
	v_cvt_f32_f16_e32 v52, v7
	v_pk_fma_f32 v[38:39], v[46:47], v[24:25], v[38:39] op_sel_hi:[1,0,1]
	v_pk_fma_f32 v[14:15], v[16:17], v[18:19], v[14:15] op_sel_hi:[1,0,1]
	;; [unrolled: 1-line block ×3, first 2 shown]
	v_pk_add_f32 v[14:15], v[38:39], v[14:15]
	v_cvt_f32_f16_e32 v29, v74
	v_cvt_f32_f16_e32 v28, v8
	v_cvt_f32_f16_sdwa v39, v74 dst_sel:DWORD dst_unused:UNUSED_PAD src0_sel:WORD_1
	v_cvt_f32_f16_sdwa v38, v8 dst_sel:DWORD dst_unused:UNUSED_PAD src0_sel:WORD_1
	v_cvt_f32_f16_e32 v43, v75
	v_cvt_f32_f16_e32 v42, v9
	v_cvt_f32_f16_sdwa v45, v75 dst_sel:DWORD dst_unused:UNUSED_PAD src0_sel:WORD_1
	v_cvt_f32_f16_sdwa v44, v9 dst_sel:DWORD dst_unused:UNUSED_PAD src0_sel:WORD_1
	v_pk_fma_f32 v[36:37], v[52:53], v[26:27], v[36:37] op_sel_hi:[1,0,1]
	v_pk_fma_f32 v[4:5], v[38:39], v[22:23], v[4:5] op_sel_hi:[1,0,1]
	;; [unrolled: 1-line block ×5, first 2 shown]
	v_cndmask_b32_e32 v15, 0, v15, vcc
	v_pk_add_f32 v[4:5], v[8:9], v[4:5]
	v_cndmask_b32_e32 v14, 0, v14, vcc
	v_cndmask_b32_e32 v5, 0, v5, vcc
	;; [unrolled: 1-line block ×3, first 2 shown]
	ds_bpermute_b32 v16, v1, v14
	ds_bpermute_b32 v17, v1, v15
	;; [unrolled: 1-line block ×6, first 2 shown]
	s_waitcnt lgkmcnt(4)
	v_pk_add_f32 v[14:15], v[14:15], v[16:17]
	ds_bpermute_b32 v16, v27, v14
	s_waitcnt lgkmcnt(3)
	v_pk_add_f32 v[4:5], v[4:5], v[8:9]
	ds_bpermute_b32 v17, v27, v15
	ds_bpermute_b32 v8, v27, v4
	;; [unrolled: 1-line block ×3, first 2 shown]
	v_xor_b32_e32 v3, 1, v19
	v_cmp_lt_i32_e64 s[4:5], v3, v21
	s_waitcnt lgkmcnt(2)
	v_pk_add_f32 v[14:15], v[14:15], v[16:17]
	ds_bpermute_b32 v16, v25, v14
	s_waitcnt lgkmcnt(1)
	v_pk_add_f32 v[4:5], v[4:5], v[8:9]
	ds_bpermute_b32 v17, v25, v15
	ds_bpermute_b32 v8, v25, v4
	;; [unrolled: 1-line block ×3, first 2 shown]
	v_cndmask_b32_e64 v3, v19, v3, s[4:5]
	v_lshlrev_b32_e32 v72, 2, v3
	s_waitcnt lgkmcnt(2)
	v_pk_add_f32 v[14:15], v[14:15], v[16:17]
	ds_bpermute_b32 v16, v2, v14
	s_waitcnt lgkmcnt(1)
	v_pk_add_f32 v[4:5], v[4:5], v[8:9]
	ds_bpermute_b32 v17, v2, v15
	ds_bpermute_b32 v8, v2, v4
	;; [unrolled: 1-line block ×3, first 2 shown]
	v_pk_add_f32 v[40:41], v[40:41], v[54:55]
	ds_bpermute_b32 v92, v6, v102
	s_waitcnt lgkmcnt(3)
	v_pk_add_f32 v[2:3], v[14:15], v[16:17]
	ds_bpermute_b32 v93, v6, v103
	s_waitcnt lgkmcnt(2)
	v_pk_add_f32 v[4:5], v[4:5], v[8:9]
	ds_bpermute_b32 v78, v6, v70
	ds_bpermute_b32 v79, v6, v71
	;; [unrolled: 1-line block ×10, first 2 shown]
	s_waitcnt lgkmcnt(10)
	v_pk_add_f32 v[32:33], v[102:103], v[92:93]
	s_waitcnt lgkmcnt(8)
	v_pk_add_f32 v[70:71], v[70:71], v[78:79]
	;; [unrolled: 2-line block ×6, first 2 shown]
	ds_bpermute_b32 v66, v72, v32
	ds_bpermute_b32 v67, v72, v33
	;; [unrolled: 1-line block ×16, first 2 shown]
	s_waitcnt lgkmcnt(14)
	v_pk_add_f32 v[30:31], v[32:33], v[66:67]
	s_waitcnt lgkmcnt(12)
	v_pk_add_f32 v[32:33], v[70:71], v[68:69]
	;; [unrolled: 2-line block ×8, first 2 shown]
	v_cmp_gt_u32_e32 vcc, 16, v23
	s_and_saveexec_b64 s[0:1], vcc
	s_cbranch_execz .LBB5_4
; %bb.3:
	v_cmp_eq_u32_e32 vcc, 1, v23
	v_lshrrev_b32_e32 v1, 4, v0
	v_and_b32_e32 v1, 60, v1
	v_cndmask_b32_e32 v12, v30, v31, vcc
	v_cmp_eq_u32_e32 vcc, 2, v23
	v_lshl_or_b32 v1, v23, 8, v1
	s_nop 0
	v_cndmask_b32_e32 v12, v12, v32, vcc
	v_cmp_eq_u32_e32 vcc, 3, v23
	s_nop 1
	v_cndmask_b32_e32 v12, v12, v33, vcc
	v_cmp_eq_u32_e32 vcc, 4, v23
	;; [unrolled: 3-line block ×13, first 2 shown]
	s_nop 1
	v_cndmask_b32_e32 v12, v12, v11, vcc
	ds_write_b32 v1, v12
.LBB5_4:
	s_or_b64 exec, exec, s[0:1]
	s_and_b32 s20, 0xffff, s3
	s_lshr_b32 s3, s20, 6
	v_cvt_f32_u32_e32 v1, s3
	v_cvt_f32_u32_e32 v12, v0
	s_waitcnt lgkmcnt(0)
	s_barrier
	v_rcp_iflag_f32_e32 v13, v1
	s_nop 0
	v_mul_f32_e32 v13, v12, v13
	v_trunc_f32_e32 v13, v13
	v_cvt_u32_f32_e32 v14, v13
	v_fma_f32 v12, -v13, v1, v12
	v_cmp_ge_f32_e64 vcc, |v12|, v1
	s_nop 1
	v_addc_co_u32_e32 v17, vcc, 0, v14, vcc
	v_cmp_gt_u16_e32 vcc, 16, v17
	s_and_saveexec_b64 s[0:1], vcc
	s_cbranch_execz .LBB5_10
; %bb.5:
	v_mul_lo_u16_e32 v1, s3, v17
	v_sub_u16_e32 v0, v0, v1
	v_and_b32_e32 v16, 0xffff, v17
	v_lshlrev_b32_e32 v0, 2, v0
	v_lshl_add_u32 v0, v16, 8, v0
	ds_read_b32 v0, v0
	v_cmp_eq_u16_e32 vcc, 15, v17
	v_cmp_eq_u16_e64 s[0:1], 7, v17
	v_cmp_eq_u16_e64 s[4:5], 6, v17
	;; [unrolled: 1-line block ×3, first 2 shown]
	s_waitcnt lgkmcnt(0)
	v_cndmask_b32_e32 v15, v11, v0, vcc
	v_cmp_eq_u16_e32 vcc, 14, v17
	v_cmp_eq_u16_e64 s[8:9], 4, v17
	v_cmp_eq_u16_e64 s[10:11], 3, v17
	v_cndmask_b32_e32 v14, v10, v0, vcc
	v_cmp_eq_u16_e32 vcc, 13, v17
	v_cmp_eq_u16_e64 s[12:13], 2, v17
	v_cmp_eq_u16_e64 s[14:15], 1, v17
	v_cndmask_b32_e32 v13, v9, v0, vcc
	v_cmp_eq_u16_e32 vcc, 12, v17
	v_cmp_eq_u16_e64 s[16:17], 0, v17
	v_cmp_eq_u16_e64 s[18:19], 9, v17
	v_cndmask_b32_e32 v12, v8, v0, vcc
	v_cmp_eq_u16_e32 vcc, 11, v17
	s_cmpk_lt_u32 s20, 0x80
	v_cndmask_b32_e64 v9, v5, v0, s[18:19]
	v_cndmask_b32_e32 v11, v7, v0, vcc
	v_cmp_eq_u16_e32 vcc, 10, v17
	v_cndmask_b32_e64 v7, v3, v0, s[0:1]
	v_cndmask_b32_e64 v5, v35, v0, s[6:7]
	v_cndmask_b32_e32 v10, v6, v0, vcc
	v_cmp_eq_u16_e32 vcc, 8, v17
	v_cndmask_b32_e64 v6, v2, v0, s[4:5]
	v_cndmask_b32_e64 v3, v33, v0, s[10:11]
	v_cndmask_b32_e32 v8, v4, v0, vcc
	v_cndmask_b32_e64 v4, v34, v0, s[8:9]
	v_cndmask_b32_e64 v2, v32, v0, s[12:13]
	;; [unrolled: 1-line block ×4, first 2 shown]
	s_cbranch_scc1 .LBB5_8
; %bb.6:
	s_lshr_b32 s33, s20, 7
.LBB5_7:                                ; =>This Inner Loop Header: Depth=1
	v_cmp_eq_u32_e32 vcc, 1, v16
	v_cmp_eq_u32_e64 s[0:1], 2, v16
	v_cmp_eq_u32_e64 s[4:5], 3, v16
	v_cndmask_b32_e32 v18, v0, v1, vcc
	v_cndmask_b32_e64 v18, v18, v2, s[0:1]
	v_cndmask_b32_e64 v18, v18, v3, s[4:5]
	v_cmp_eq_u32_e64 s[6:7], 4, v16
	v_cmp_eq_u32_e64 s[8:9], 5, v16
	v_cmp_eq_u32_e64 s[10:11], 6, v16
	v_cndmask_b32_e64 v18, v18, v4, s[6:7]
	v_cndmask_b32_e64 v18, v18, v5, s[8:9]
	v_cndmask_b32_e64 v18, v18, v6, s[10:11]
	v_cmp_eq_u32_e64 s[12:13], 7, v16
	v_cmp_eq_u32_e64 s[14:15], 8, v16
	v_cmp_eq_u32_e64 s[16:17], 9, v16
	v_cndmask_b32_e64 v18, v18, v7, s[12:13]
	;; [unrolled: 6-line block ×3, first 2 shown]
	v_cndmask_b32_e64 v18, v18, v11, s[20:21]
	v_cndmask_b32_e64 v18, v18, v12, s[22:23]
	v_cmp_eq_u32_e64 s[24:25], 13, v16
	v_xor_b32_e32 v20, s33, v19
	v_cmp_eq_u32_e64 s[26:27], 14, v16
	v_cndmask_b32_e64 v18, v18, v13, s[24:25]
	v_cmp_lt_i32_e64 s[30:31], v20, v21
	v_cndmask_b32_e64 v18, v18, v14, s[26:27]
	v_cmp_eq_u32_e64 s[28:29], 15, v16
	v_cndmask_b32_e64 v20, v19, v20, s[30:31]
	v_lshlrev_b32_e32 v20, 2, v20
	v_cndmask_b32_e64 v18, v18, v15, s[28:29]
	ds_bpermute_b32 v20, v20, v18
	s_waitcnt lgkmcnt(0)
	v_add_f32_e32 v18, v18, v20
	v_cndmask_b32_e64 v2, v2, v18, s[0:1]
	v_cndmask_b32_e32 v1, v1, v18, vcc
	v_cmp_eq_u32_e32 vcc, 0, v16
	s_lshr_b32 s0, s33, 1
	v_cndmask_b32_e64 v15, v15, v18, s[28:29]
	v_cndmask_b32_e64 v14, v14, v18, s[26:27]
	;; [unrolled: 1-line block ×13, first 2 shown]
	v_cndmask_b32_e32 v0, v0, v18, vcc
	s_cmp_lt_u32 s33, 2
	s_mov_b32 s33, s0
	s_cbranch_scc0 .LBB5_7
.LBB5_8:
	v_cmp_eq_u32_e32 vcc, 1, v16
	s_lshl_b32 s0, s3, 1
	s_nop 0
	v_cndmask_b32_e32 v0, v0, v1, vcc
	v_cmp_eq_u32_e32 vcc, 2, v16
	v_xor_b32_e32 v1, s3, v19
	s_nop 0
	v_cndmask_b32_e32 v0, v0, v2, vcc
	v_cmp_eq_u32_e32 vcc, 3, v16
	v_cvt_f32_u32_e32 v2, s0
	s_nop 0
	v_cndmask_b32_e32 v0, v0, v3, vcc
	v_cmp_eq_u32_e32 vcc, 4, v16
	v_rcp_iflag_f32_e32 v3, v2
	s_nop 0
	v_cndmask_b32_e32 v0, v0, v4, vcc
	v_cmp_eq_u32_e32 vcc, 5, v16
	v_cvt_f32_ubyte0_e32 v4, v23
	v_mul_f32_e32 v3, v4, v3
	v_cndmask_b32_e32 v0, v0, v5, vcc
	v_cmp_eq_u32_e32 vcc, 6, v16
	v_trunc_f32_e32 v3, v3
	v_cvt_u32_f32_e32 v5, v3
	v_cndmask_b32_e32 v0, v0, v6, vcc
	v_cmp_eq_u32_e32 vcc, 7, v16
	v_fma_f32 v3, -v3, v2, v4
	s_nop 0
	v_cndmask_b32_e32 v0, v0, v7, vcc
	v_cmp_eq_u32_e32 vcc, 8, v16
	s_nop 1
	v_cndmask_b32_e32 v0, v0, v8, vcc
	v_cmp_eq_u32_e32 vcc, 9, v16
	;; [unrolled: 3-line block ×8, first 2 shown]
	s_nop 1
	v_cndmask_b32_e32 v0, v0, v15, vcc
	v_cmp_lt_i32_e32 vcc, v1, v21
	s_nop 1
	v_cndmask_b32_e32 v1, v19, v1, vcc
	v_lshlrev_b32_e32 v1, 2, v1
	v_cmp_ge_f32_e64 vcc, |v3|, v2
	ds_bpermute_b32 v1, v1, v0
	s_nop 0
	v_addc_co_u32_e32 v2, vcc, 0, v5, vcc
	v_mul_lo_u32 v2, v2, s0
	v_sub_u32_e32 v2, v23, v2
	v_and_b32_e32 v2, 0x7ff, v2
	v_cmp_eq_u32_e32 vcc, 0, v2
	s_and_b64 exec, exec, vcc
	s_cbranch_execz .LBB5_10
; %bb.9:
	v_cvt_f16_f32_e32 v2, v0
	s_waitcnt lgkmcnt(0)
	v_cvt_f16_f32_e32 v3, v1
	s_lshl_b32 s0, s2, 3
	s_and_b32 s0, s0, 0x7ffffff8
	v_mov_b32_e32 v0, s34
	v_pack_b32_f16 v4, v2, v3
	v_lshrrev_b16_e32 v2, 1, v17
	v_mov_b32_e32 v1, s35
	v_or_b32_e32 v2, s0, v2
	v_mov_b32_e32 v3, 0
	v_lshl_add_u64 v[0:1], v[2:3], 2, v[0:1]
	global_store_dword v[0:1], v4, off
.LBB5_10:
	s_endpgm
	.section	.rodata,"a",@progbits
	.p2align	6, 0x0
	.amdhsa_kernel _ZN5aiter14LLGemm1_kernelI6__halfLi16EEEvPKT_S4_PS2_i
		.amdhsa_group_segment_fixed_size 4096
		.amdhsa_private_segment_fixed_size 28
		.amdhsa_kernarg_size 288
		.amdhsa_user_sgpr_count 2
		.amdhsa_user_sgpr_dispatch_ptr 0
		.amdhsa_user_sgpr_queue_ptr 0
		.amdhsa_user_sgpr_kernarg_segment_ptr 1
		.amdhsa_user_sgpr_dispatch_id 0
		.amdhsa_user_sgpr_kernarg_preload_length 0
		.amdhsa_user_sgpr_kernarg_preload_offset 0
		.amdhsa_user_sgpr_private_segment_size 0
		.amdhsa_uses_dynamic_stack 0
		.amdhsa_enable_private_segment 1
		.amdhsa_system_sgpr_workgroup_id_x 1
		.amdhsa_system_sgpr_workgroup_id_y 0
		.amdhsa_system_sgpr_workgroup_id_z 0
		.amdhsa_system_sgpr_workgroup_info 0
		.amdhsa_system_vgpr_workitem_id 0
		.amdhsa_next_free_vgpr 128
		.amdhsa_next_free_sgpr 36
		.amdhsa_accum_offset 128
		.amdhsa_reserve_vcc 1
		.amdhsa_float_round_mode_32 0
		.amdhsa_float_round_mode_16_64 0
		.amdhsa_float_denorm_mode_32 3
		.amdhsa_float_denorm_mode_16_64 3
		.amdhsa_dx10_clamp 1
		.amdhsa_ieee_mode 1
		.amdhsa_fp16_overflow 0
		.amdhsa_tg_split 0
		.amdhsa_exception_fp_ieee_invalid_op 0
		.amdhsa_exception_fp_denorm_src 0
		.amdhsa_exception_fp_ieee_div_zero 0
		.amdhsa_exception_fp_ieee_overflow 0
		.amdhsa_exception_fp_ieee_underflow 0
		.amdhsa_exception_fp_ieee_inexact 0
		.amdhsa_exception_int_div_zero 0
	.end_amdhsa_kernel
	.section	.text._ZN5aiter14LLGemm1_kernelI6__halfLi16EEEvPKT_S4_PS2_i,"axG",@progbits,_ZN5aiter14LLGemm1_kernelI6__halfLi16EEEvPKT_S4_PS2_i,comdat
.Lfunc_end5:
	.size	_ZN5aiter14LLGemm1_kernelI6__halfLi16EEEvPKT_S4_PS2_i, .Lfunc_end5-_ZN5aiter14LLGemm1_kernelI6__halfLi16EEEvPKT_S4_PS2_i
                                        ; -- End function
	.section	.AMDGPU.csdata,"",@progbits
; Kernel info:
; codeLenInByte = 4804
; NumSgprs: 42
; NumVgprs: 128
; NumAgprs: 0
; TotalNumVgprs: 128
; ScratchSize: 28
; MemoryBound: 0
; FloatMode: 240
; IeeeMode: 1
; LDSByteSize: 4096 bytes/workgroup (compile time only)
; SGPRBlocks: 5
; VGPRBlocks: 15
; NumSGPRsForWavesPerEU: 42
; NumVGPRsForWavesPerEU: 128
; AccumOffset: 128
; Occupancy: 4
; WaveLimiterHint : 0
; COMPUTE_PGM_RSRC2:SCRATCH_EN: 1
; COMPUTE_PGM_RSRC2:USER_SGPR: 2
; COMPUTE_PGM_RSRC2:TRAP_HANDLER: 0
; COMPUTE_PGM_RSRC2:TGID_X_EN: 1
; COMPUTE_PGM_RSRC2:TGID_Y_EN: 0
; COMPUTE_PGM_RSRC2:TGID_Z_EN: 0
; COMPUTE_PGM_RSRC2:TIDIG_COMP_CNT: 0
; COMPUTE_PGM_RSRC3_GFX90A:ACCUM_OFFSET: 31
; COMPUTE_PGM_RSRC3_GFX90A:TG_SPLIT: 0
	.section	.text._ZN5aiter14LLGemm1_kernelI12hip_bfloat16Li2EEEvPKT_S4_PS2_i,"axG",@progbits,_ZN5aiter14LLGemm1_kernelI12hip_bfloat16Li2EEEvPKT_S4_PS2_i,comdat
	.protected	_ZN5aiter14LLGemm1_kernelI12hip_bfloat16Li2EEEvPKT_S4_PS2_i ; -- Begin function _ZN5aiter14LLGemm1_kernelI12hip_bfloat16Li2EEEvPKT_S4_PS2_i
	.globl	_ZN5aiter14LLGemm1_kernelI12hip_bfloat16Li2EEEvPKT_S4_PS2_i
	.p2align	8
	.type	_ZN5aiter14LLGemm1_kernelI12hip_bfloat16Li2EEEvPKT_S4_PS2_i,@function
_ZN5aiter14LLGemm1_kernelI12hip_bfloat16Li2EEEvPKT_S4_PS2_i: ; @_ZN5aiter14LLGemm1_kernelI12hip_bfloat16Li2EEEvPKT_S4_PS2_i
; %bb.0:
	s_load_dword s3, s[0:1], 0x18
	s_load_dwordx4 s[4:7], s[0:1], 0x0
	s_load_dwordx2 s[8:9], s[0:1], 0x10
	v_lshlrev_b32_e32 v1, 3, v0
                                        ; implicit-def: $vgpr2
                                        ; implicit-def: $vgpr6
	s_waitcnt lgkmcnt(0)
	v_cmp_gt_i32_e32 vcc, s3, v1
	s_and_saveexec_b64 s[10:11], vcc
	s_cbranch_execz .LBB6_2
; %bb.1:
	v_mov_b32_e32 v2, s4
	s_mul_i32 s4, s2, s3
	s_bfe_u32 s4, s4, 0x1d0002
	v_mov_b32_e32 v3, s5
	v_add_u32_e32 v4, s4, v0
	v_mov_b32_e32 v5, 0
	s_lshr_b32 s4, s3, 3
	s_mov_b32 s5, 0
	v_lshl_add_u64 v[10:11], v[4:5], 4, v[2:3]
	v_lshl_add_u64 v[12:13], s[4:5], 4, v[10:11]
	global_load_dwordx4 v[6:9], v[10:11], off nt
	global_load_dwordx4 v[2:5], v[12:13], off nt
.LBB6_2:
	s_or_b64 exec, exec, s[10:11]
	v_lshlrev_b32_e32 v1, 4, v0
	global_load_dwordx4 v[10:13], v1, s[6:7]
	v_mbcnt_lo_u32_b32 v1, -1, 0
	s_waitcnt vmcnt(1)
	v_lshlrev_b32_e32 v23, 16, v3
	v_and_b32_e32 v25, 0xffff0000, v3
	v_mbcnt_hi_u32_b32 v3, -1, v1
	v_and_b32_e32 v1, 64, v3
	v_lshlrev_b32_e32 v19, 16, v2
	v_lshlrev_b32_e32 v18, 16, v6
	v_and_b32_e32 v21, 0xffff0000, v2
	v_and_b32_e32 v20, 0xffff0000, v6
	v_xor_b32_e32 v2, 32, v3
	v_add_u32_e32 v6, 64, v1
	v_cmp_lt_i32_e64 s[4:5], v2, v6
	v_lshlrev_b32_e32 v14, 16, v8
	v_and_b32_e32 v16, 0xffff0000, v8
	v_cndmask_b32_e64 v1, v3, v2, s[4:5]
	v_lshlrev_b32_e32 v22, 16, v7
	v_and_b32_e32 v24, 0xffff0000, v7
	v_lshlrev_b32_e32 v15, 16, v4
	v_and_b32_e32 v17, 0xffff0000, v4
	;; [unrolled: 2-line block ×4, first 2 shown]
	v_lshlrev_b32_e32 v1, 2, v1
	s_load_dword s3, s[0:1], 0x2c
	v_and_b32_e32 v7, 63, v0
	s_waitcnt vmcnt(0)
	v_lshlrev_b32_e32 v2, 16, v10
	v_and_b32_e32 v8, 0xffff0000, v10
	v_lshlrev_b32_e32 v10, 16, v11
	v_and_b32_e32 v28, 0xffff0000, v11
	v_pk_mul_f32 v[18:19], v[2:3], v[18:19] op_sel_hi:[0,1]
	v_pk_mul_f32 v[8:9], v[8:9], v[20:21] op_sel_hi:[0,1]
	v_lshlrev_b32_e32 v30, 16, v12
	v_and_b32_e32 v12, 0xffff0000, v12
	v_pk_fma_f32 v[10:11], v[22:23], v[10:11], v[18:19] op_sel_hi:[1,0,1]
	v_pk_fma_f32 v[8:9], v[24:25], v[28:29], v[8:9] op_sel_hi:[1,0,1]
	v_lshlrev_b32_e32 v32, 16, v13
	v_and_b32_e32 v34, 0xffff0000, v13
	v_pk_fma_f32 v[10:11], v[14:15], v[30:31], v[10:11] op_sel_hi:[1,0,1]
	v_pk_fma_f32 v[8:9], v[16:17], v[12:13], v[8:9] op_sel_hi:[1,0,1]
	;; [unrolled: 1-line block ×4, first 2 shown]
	s_nop 0
	v_pk_add_f32 v[4:5], v[10:11], v[4:5]
	s_nop 0
	v_cndmask_b32_e32 v5, 0, v5, vcc
	v_cndmask_b32_e32 v4, 0, v4, vcc
	ds_bpermute_b32 v8, v1, v4
	ds_bpermute_b32 v9, v1, v5
	v_xor_b32_e32 v1, 16, v3
	v_cmp_lt_i32_e32 vcc, v1, v6
	s_waitcnt lgkmcnt(0)
	v_pk_add_f32 v[4:5], v[4:5], v[8:9]
	v_cndmask_b32_e32 v1, v3, v1, vcc
	v_lshlrev_b32_e32 v1, 2, v1
	ds_bpermute_b32 v8, v1, v4
	ds_bpermute_b32 v9, v1, v5
	v_xor_b32_e32 v1, 8, v3
	v_cmp_lt_i32_e32 vcc, v1, v6
	s_waitcnt lgkmcnt(0)
	v_pk_add_f32 v[4:5], v[4:5], v[8:9]
	v_cndmask_b32_e32 v1, v3, v1, vcc
	v_lshlrev_b32_e32 v1, 2, v1
	;; [unrolled: 8-line block ×5, first 2 shown]
	ds_bpermute_b32 v8, v1, v4
	ds_bpermute_b32 v9, v1, v5
	v_cmp_gt_u32_e32 vcc, 2, v7
	s_waitcnt lgkmcnt(0)
	v_pk_add_f32 v[4:5], v[4:5], v[8:9]
	s_and_saveexec_b64 s[0:1], vcc
	s_cbranch_execz .LBB6_4
; %bb.3:
	v_lshrrev_b32_e32 v1, 4, v0
	v_and_b32_e32 v1, 60, v1
	v_cmp_eq_u32_e32 vcc, 1, v7
	v_lshl_or_b32 v1, v7, 8, v1
	s_nop 0
	v_cndmask_b32_e32 v2, v4, v5, vcc
	ds_write_b32 v1, v2
.LBB6_4:
	s_or_b64 exec, exec, s[0:1]
	s_and_b32 s0, 0xffff, s3
	s_lshr_b32 s3, s0, 6
	v_cvt_f32_u32_e32 v1, s3
	v_cvt_f32_u32_e32 v2, v0
	s_waitcnt lgkmcnt(0)
	s_barrier
	v_rcp_iflag_f32_e32 v8, v1
	s_nop 0
	v_mul_f32_e32 v8, v2, v8
	v_trunc_f32_e32 v8, v8
	v_cvt_u32_f32_e32 v9, v8
	v_fma_f32 v2, -v8, v1, v2
	v_cmp_ge_f32_e64 vcc, |v2|, v1
	s_nop 1
	v_addc_co_u32_e32 v8, vcc, 0, v9, vcc
	v_cmp_gt_u16_e32 vcc, 2, v8
	s_and_saveexec_b64 s[4:5], vcc
	s_cbranch_execz .LBB6_18
; %bb.5:
	v_mul_lo_u16_e32 v1, s3, v8
	v_sub_u16_e32 v0, v0, v1
	v_and_b32_e32 v2, 0xffff, v8
	v_lshlrev_b32_e32 v0, 2, v0
	v_lshl_add_u32 v0, v2, 8, v0
	ds_read_b32 v0, v0
	v_cmp_eq_u16_e32 vcc, 1, v8
	s_cmpk_lt_u32 s0, 0x80
	s_waitcnt lgkmcnt(0)
	v_cndmask_b32_e32 v1, v5, v0, vcc
	v_cmp_eq_u16_e32 vcc, 0, v8
	s_nop 1
	v_cndmask_b32_e32 v0, v4, v0, vcc
	s_cbranch_scc1 .LBB6_8
; %bb.6:
	s_lshr_b32 s4, s0, 7
.LBB6_7:                                ; =>This Inner Loop Header: Depth=1
	v_xor_b32_e32 v5, s4, v3
	v_cmp_lt_i32_e64 s[0:1], v5, v6
	v_cmp_eq_u32_e32 vcc, 1, v2
	s_lshr_b32 s5, s4, 1
	v_cndmask_b32_e64 v5, v3, v5, s[0:1]
	v_cndmask_b32_e32 v4, v0, v1, vcc
	v_lshlrev_b32_e32 v5, 2, v5
	ds_bpermute_b32 v5, v5, v4
	v_cmp_eq_u32_e64 s[0:1], 0, v2
	s_cmp_lt_u32 s4, 2
	s_mov_b32 s4, s5
	s_waitcnt lgkmcnt(0)
	v_add_f32_e32 v4, v4, v5
	v_cndmask_b32_e32 v1, v1, v4, vcc
	v_cndmask_b32_e64 v0, v0, v4, s[0:1]
	s_cbranch_scc0 .LBB6_7
.LBB6_8:
	v_cmp_eq_u32_e32 vcc, 1, v2
	s_lshl_b32 s0, s3, 1
	v_cvt_f32_ubyte0_e32 v4, v7
	v_cndmask_b32_e32 v2, v0, v1, vcc
	v_cvt_f32_u32_e32 v1, s0
	v_xor_b32_e32 v0, s3, v3
	v_cmp_lt_i32_e32 vcc, v0, v6
	s_nop 1
	v_cndmask_b32_e32 v0, v3, v0, vcc
	v_rcp_iflag_f32_e32 v3, v1
	v_lshlrev_b32_e32 v0, 2, v0
	ds_bpermute_b32 v0, v0, v2
	v_mul_f32_e32 v3, v4, v3
	v_trunc_f32_e32 v3, v3
	v_cvt_u32_f32_e32 v5, v3
	v_fma_f32 v3, -v3, v1, v4
	v_cmp_ge_f32_e64 vcc, |v3|, v1
	s_nop 1
	v_addc_co_u32_e32 v1, vcc, 0, v5, vcc
	v_mul_lo_u32 v1, v1, s0
	v_sub_u32_e32 v1, v7, v1
	v_and_b32_e32 v1, 0x7ff, v1
	v_cmp_eq_u32_e32 vcc, 0, v1
	s_and_b64 exec, exec, vcc
	s_cbranch_execz .LBB6_18
; %bb.9:
	s_mov_b32 s0, 0x7f800000
	v_and_b32_e32 v1, 0x7f800000, v2
	v_cmp_ne_u32_e32 vcc, s0, v1
                                        ; implicit-def: $vgpr1
	s_and_saveexec_b64 s[0:1], vcc
	s_xor_b64 s[0:1], exec, s[0:1]
; %bb.10:
	v_bfe_u32 v1, v2, 16, 1
	s_movk_i32 s3, 0x7fff
	v_add3_u32 v1, v2, v1, s3
                                        ; implicit-def: $vgpr2
; %bb.11:
	s_andn2_saveexec_b64 s[0:1], s[0:1]
; %bb.12:
	v_mov_b32_e32 v1, 0
	v_or_b32_e32 v3, 0x10000, v2
	v_cmp_eq_u32_sdwa vcc, v2, v1 src0_sel:WORD_0 src1_sel:DWORD
	s_nop 1
	v_cndmask_b32_e32 v1, v3, v2, vcc
; %bb.13:
	s_or_b64 exec, exec, s[0:1]
	s_mov_b32 s0, 0x7f800000
	s_waitcnt lgkmcnt(0)
	v_and_b32_e32 v2, 0x7f800000, v0
	v_cmp_ne_u32_e32 vcc, s0, v2
                                        ; implicit-def: $vgpr2
	s_and_saveexec_b64 s[0:1], vcc
	s_xor_b64 s[0:1], exec, s[0:1]
; %bb.14:
	v_bfe_u32 v2, v0, 16, 1
	s_movk_i32 s3, 0x7fff
	v_add3_u32 v2, v0, v2, s3
                                        ; implicit-def: $vgpr0
; %bb.15:
	s_andn2_saveexec_b64 s[0:1], s[0:1]
; %bb.16:
	v_mov_b32_e32 v2, 0
	v_or_b32_e32 v3, 0x10000, v0
	v_cmp_eq_u32_sdwa vcc, v0, v2 src0_sel:WORD_0 src1_sel:DWORD
	s_nop 1
	v_cndmask_b32_e32 v2, v3, v0, vcc
; %bb.17:
	s_or_b64 exec, exec, s[0:1]
	s_and_b32 s0, s2, 0x7fffffff
	s_mov_b32 s1, 0
	s_lshl_b64 s[0:1], s[0:1], 2
	s_add_u32 s0, s8, s0
	s_mov_b32 s2, 0x7060302
	s_addc_u32 s1, s9, s1
	v_mov_b32_e32 v0, 0
	v_perm_b32 v1, v2, v1, s2
	global_store_dword v0, v1, s[0:1]
.LBB6_18:
	s_endpgm
	.section	.rodata,"a",@progbits
	.p2align	6, 0x0
	.amdhsa_kernel _ZN5aiter14LLGemm1_kernelI12hip_bfloat16Li2EEEvPKT_S4_PS2_i
		.amdhsa_group_segment_fixed_size 512
		.amdhsa_private_segment_fixed_size 0
		.amdhsa_kernarg_size 288
		.amdhsa_user_sgpr_count 2
		.amdhsa_user_sgpr_dispatch_ptr 0
		.amdhsa_user_sgpr_queue_ptr 0
		.amdhsa_user_sgpr_kernarg_segment_ptr 1
		.amdhsa_user_sgpr_dispatch_id 0
		.amdhsa_user_sgpr_kernarg_preload_length 0
		.amdhsa_user_sgpr_kernarg_preload_offset 0
		.amdhsa_user_sgpr_private_segment_size 0
		.amdhsa_uses_dynamic_stack 0
		.amdhsa_enable_private_segment 0
		.amdhsa_system_sgpr_workgroup_id_x 1
		.amdhsa_system_sgpr_workgroup_id_y 0
		.amdhsa_system_sgpr_workgroup_id_z 0
		.amdhsa_system_sgpr_workgroup_info 0
		.amdhsa_system_vgpr_workitem_id 0
		.amdhsa_next_free_vgpr 36
		.amdhsa_next_free_sgpr 12
		.amdhsa_accum_offset 36
		.amdhsa_reserve_vcc 1
		.amdhsa_float_round_mode_32 0
		.amdhsa_float_round_mode_16_64 0
		.amdhsa_float_denorm_mode_32 3
		.amdhsa_float_denorm_mode_16_64 3
		.amdhsa_dx10_clamp 1
		.amdhsa_ieee_mode 1
		.amdhsa_fp16_overflow 0
		.amdhsa_tg_split 0
		.amdhsa_exception_fp_ieee_invalid_op 0
		.amdhsa_exception_fp_denorm_src 0
		.amdhsa_exception_fp_ieee_div_zero 0
		.amdhsa_exception_fp_ieee_overflow 0
		.amdhsa_exception_fp_ieee_underflow 0
		.amdhsa_exception_fp_ieee_inexact 0
		.amdhsa_exception_int_div_zero 0
	.end_amdhsa_kernel
	.section	.text._ZN5aiter14LLGemm1_kernelI12hip_bfloat16Li2EEEvPKT_S4_PS2_i,"axG",@progbits,_ZN5aiter14LLGemm1_kernelI12hip_bfloat16Li2EEEvPKT_S4_PS2_i,comdat
.Lfunc_end6:
	.size	_ZN5aiter14LLGemm1_kernelI12hip_bfloat16Li2EEEvPKT_S4_PS2_i, .Lfunc_end6-_ZN5aiter14LLGemm1_kernelI12hip_bfloat16Li2EEEvPKT_S4_PS2_i
                                        ; -- End function
	.section	.AMDGPU.csdata,"",@progbits
; Kernel info:
; codeLenInByte = 1316
; NumSgprs: 18
; NumVgprs: 36
; NumAgprs: 0
; TotalNumVgprs: 36
; ScratchSize: 0
; MemoryBound: 0
; FloatMode: 240
; IeeeMode: 1
; LDSByteSize: 512 bytes/workgroup (compile time only)
; SGPRBlocks: 2
; VGPRBlocks: 4
; NumSGPRsForWavesPerEU: 18
; NumVGPRsForWavesPerEU: 36
; AccumOffset: 36
; Occupancy: 8
; WaveLimiterHint : 0
; COMPUTE_PGM_RSRC2:SCRATCH_EN: 0
; COMPUTE_PGM_RSRC2:USER_SGPR: 2
; COMPUTE_PGM_RSRC2:TRAP_HANDLER: 0
; COMPUTE_PGM_RSRC2:TGID_X_EN: 1
; COMPUTE_PGM_RSRC2:TGID_Y_EN: 0
; COMPUTE_PGM_RSRC2:TGID_Z_EN: 0
; COMPUTE_PGM_RSRC2:TIDIG_COMP_CNT: 0
; COMPUTE_PGM_RSRC3_GFX90A:ACCUM_OFFSET: 8
; COMPUTE_PGM_RSRC3_GFX90A:TG_SPLIT: 0
	.section	.text._ZN5aiter14LLGemm1_kernelI12hip_bfloat16Li4EEEvPKT_S4_PS2_i,"axG",@progbits,_ZN5aiter14LLGemm1_kernelI12hip_bfloat16Li4EEEvPKT_S4_PS2_i,comdat
	.protected	_ZN5aiter14LLGemm1_kernelI12hip_bfloat16Li4EEEvPKT_S4_PS2_i ; -- Begin function _ZN5aiter14LLGemm1_kernelI12hip_bfloat16Li4EEEvPKT_S4_PS2_i
	.globl	_ZN5aiter14LLGemm1_kernelI12hip_bfloat16Li4EEEvPKT_S4_PS2_i
	.p2align	8
	.type	_ZN5aiter14LLGemm1_kernelI12hip_bfloat16Li4EEEvPKT_S4_PS2_i,@function
_ZN5aiter14LLGemm1_kernelI12hip_bfloat16Li4EEEvPKT_S4_PS2_i: ; @_ZN5aiter14LLGemm1_kernelI12hip_bfloat16Li4EEEvPKT_S4_PS2_i
; %bb.0:
	s_load_dword s3, s[0:1], 0x18
	s_load_dwordx4 s[4:7], s[0:1], 0x0
	s_load_dwordx2 s[8:9], s[0:1], 0x10
	v_lshlrev_b32_e32 v1, 3, v0
                                        ; implicit-def: $vgpr2
                                        ; implicit-def: $vgpr6
                                        ; implicit-def: $vgpr10
                                        ; implicit-def: $vgpr14
	s_waitcnt lgkmcnt(0)
	v_cmp_gt_i32_e32 vcc, s3, v1
	s_and_saveexec_b64 s[10:11], vcc
	s_cbranch_execz .LBB7_2
; %bb.1:
	s_mul_i32 s12, s2, s3
	s_bfe_u32 s12, s12, 0x1d0001
	v_add_u32_e32 v2, s12, v0
	s_lshr_b32 s12, s3, 3
	v_mov_b32_e32 v3, 0
	s_add_i32 s3, s12, s12
	s_mov_b32 s13, 0
	v_lshl_add_u64 v[4:5], v[2:3], 4, s[4:5]
	v_add_u32_e32 v2, s3, v2
	v_lshl_add_u64 v[6:7], s[12:13], 4, v[4:5]
	v_lshl_add_u64 v[18:19], v[2:3], 4, s[4:5]
	v_add_u32_e32 v2, s12, v2
	global_load_dwordx4 v[14:17], v[4:5], off nt
	global_load_dwordx4 v[10:13], v[6:7], off nt
	v_lshl_add_u64 v[20:21], v[2:3], 4, s[4:5]
	global_load_dwordx4 v[6:9], v[18:19], off nt
	global_load_dwordx4 v[2:5], v[20:21], off nt
.LBB7_2:
	s_or_b64 exec, exec, s[10:11]
	v_lshlrev_b32_e32 v1, 4, v0
	global_load_dwordx4 v[18:21], v1, s[6:7]
	v_mbcnt_lo_u32_b32 v1, -1, 0
	s_waitcnt vmcnt(3)
	v_lshlrev_b32_e32 v25, 16, v12
	v_and_b32_e32 v23, 0xffff0000, v12
	s_waitcnt vmcnt(2)
	v_lshlrev_b32_e32 v34, 16, v6
	v_and_b32_e32 v36, 0xffff0000, v6
	v_lshlrev_b32_e32 v6, 16, v17
	v_and_b32_e32 v12, 0xffff0000, v17
	s_waitcnt vmcnt(1)
	v_lshlrev_b32_e32 v17, 16, v5
	v_and_b32_e32 v41, 0xffff0000, v5
	v_mbcnt_hi_u32_b32 v5, -1, v1
	v_and_b32_e32 v1, 64, v5
	v_lshlrev_b32_e32 v27, 16, v10
	v_lshlrev_b32_e32 v26, 16, v14
	v_and_b32_e32 v29, 0xffff0000, v10
	v_and_b32_e32 v28, 0xffff0000, v14
	v_lshlrev_b32_e32 v30, 16, v15
	v_and_b32_e32 v10, 0xffff0000, v15
	v_lshlrev_b32_e32 v32, 16, v8
	;; [unrolled: 2-line block ×3, first 2 shown]
	v_and_b32_e32 v15, 0xffff0000, v4
	v_xor_b32_e32 v4, 32, v5
	v_add_u32_e32 v8, 64, v1
	v_lshlrev_b32_e32 v24, 16, v16
	v_and_b32_e32 v22, 0xffff0000, v16
	v_lshlrev_b32_e32 v16, 16, v9
	v_and_b32_e32 v40, 0xffff0000, v9
	v_xor_b32_e32 v9, 16, v5
	v_cmp_lt_i32_e64 s[4:5], v4, v8
	v_xor_b32_e32 v42, 8, v5
	v_xor_b32_e32 v43, 4, v5
	v_cndmask_b32_e64 v1, v5, v4, s[4:5]
	v_cmp_lt_i32_e64 s[4:5], v9, v8
	v_xor_b32_e32 v44, 2, v5
	v_lshlrev_b32_e32 v35, 16, v2
	v_cndmask_b32_e64 v9, v5, v9, s[4:5]
	v_cmp_lt_i32_e64 s[4:5], v42, v8
	v_and_b32_e32 v37, 0xffff0000, v2
	v_lshlrev_b32_e32 v31, 16, v11
	v_cndmask_b32_e64 v47, v5, v42, s[4:5]
	v_cmp_lt_i32_e64 s[4:5], v43, v8
	v_and_b32_e32 v11, 0xffff0000, v11
	v_lshlrev_b32_e32 v39, 16, v3
	v_cndmask_b32_e64 v43, v5, v43, s[4:5]
	v_cmp_lt_i32_e64 s[4:5], v44, v8
	v_lshlrev_b32_e32 v38, 16, v7
	v_and_b32_e32 v3, 0xffff0000, v3
	v_and_b32_e32 v2, 0xffff0000, v7
	v_xor_b32_e32 v45, 1, v5
	v_cndmask_b32_e64 v49, v5, v44, s[4:5]
	v_lshlrev_b32_e32 v7, 16, v13
	v_and_b32_e32 v13, 0xffff0000, v13
	v_lshlrev_b32_e32 v1, 2, v1
	s_load_dword s3, s[0:1], 0x2c
	s_waitcnt vmcnt(0)
	v_lshlrev_b32_e32 v4, 16, v18
	v_and_b32_e32 v18, 0xffff0000, v18
	v_lshlrev_b32_e32 v42, 16, v19
	v_and_b32_e32 v44, 0xffff0000, v19
	v_pk_mul_f32 v[26:27], v[4:5], v[26:27] op_sel_hi:[0,1]
	v_pk_mul_f32 v[28:29], v[18:19], v[28:29] op_sel_hi:[0,1]
	;; [unrolled: 1-line block ×4, first 2 shown]
	v_lshlrev_b32_e32 v46, 16, v20
	v_and_b32_e32 v20, 0xffff0000, v20
	v_pk_fma_f32 v[26:27], v[30:31], v[42:43], v[26:27] op_sel_hi:[1,0,1]
	v_pk_fma_f32 v[10:11], v[10:11], v[44:45], v[28:29] op_sel_hi:[1,0,1]
	;; [unrolled: 1-line block ×4, first 2 shown]
	v_lshlrev_b32_e32 v48, 16, v21
	v_and_b32_e32 v50, 0xffff0000, v21
	v_pk_fma_f32 v[18:19], v[24:25], v[46:47], v[26:27] op_sel_hi:[1,0,1]
	v_pk_fma_f32 v[10:11], v[22:23], v[20:21], v[10:11] op_sel_hi:[1,0,1]
	;; [unrolled: 1-line block ×8, first 2 shown]
	v_pk_add_f32 v[6:7], v[6:7], v[10:11]
	v_pk_add_f32 v[2:3], v[12:13], v[2:3]
	v_cndmask_b32_e32 v7, 0, v7, vcc
	v_cndmask_b32_e32 v6, 0, v6, vcc
	;; [unrolled: 1-line block ×4, first 2 shown]
	ds_bpermute_b32 v10, v1, v6
	ds_bpermute_b32 v11, v1, v7
	;; [unrolled: 1-line block ×4, first 2 shown]
	v_lshlrev_b32_e32 v1, 2, v9
	v_cmp_lt_i32_e32 vcc, v45, v8
	s_waitcnt lgkmcnt(0)
	v_pk_add_f32 v[6:7], v[6:7], v[10:11]
	ds_bpermute_b32 v10, v1, v6
	v_pk_add_f32 v[2:3], v[2:3], v[12:13]
	ds_bpermute_b32 v11, v1, v7
	ds_bpermute_b32 v12, v1, v2
	ds_bpermute_b32 v13, v1, v3
	v_lshlrev_b32_e32 v1, 2, v47
	s_waitcnt lgkmcnt(2)
	v_pk_add_f32 v[6:7], v[6:7], v[10:11]
	ds_bpermute_b32 v10, v1, v6
	s_waitcnt lgkmcnt(1)
	v_pk_add_f32 v[2:3], v[2:3], v[12:13]
	ds_bpermute_b32 v11, v1, v7
	ds_bpermute_b32 v12, v1, v2
	ds_bpermute_b32 v13, v1, v3
	v_lshlrev_b32_e32 v1, 2, v43
	s_waitcnt lgkmcnt(2)
	v_pk_add_f32 v[6:7], v[6:7], v[10:11]
	ds_bpermute_b32 v10, v1, v6
	s_waitcnt lgkmcnt(1)
	;; [unrolled: 9-line block ×3, first 2 shown]
	v_pk_add_f32 v[2:3], v[2:3], v[12:13]
	ds_bpermute_b32 v11, v1, v7
	ds_bpermute_b32 v12, v1, v2
	;; [unrolled: 1-line block ×3, first 2 shown]
	v_cndmask_b32_e32 v1, v5, v45, vcc
	v_lshlrev_b32_e32 v1, 2, v1
	s_waitcnt lgkmcnt(2)
	v_pk_add_f32 v[6:7], v[6:7], v[10:11]
	ds_bpermute_b32 v14, v1, v6
	s_waitcnt lgkmcnt(1)
	v_pk_add_f32 v[2:3], v[2:3], v[12:13]
	ds_bpermute_b32 v12, v1, v2
	ds_bpermute_b32 v13, v1, v3
	;; [unrolled: 1-line block ×3, first 2 shown]
	v_and_b32_e32 v10, 63, v0
	v_cmp_gt_u32_e32 vcc, 4, v10
	s_waitcnt lgkmcnt(1)
	v_pk_add_f32 v[2:3], v[2:3], v[12:13]
	s_waitcnt lgkmcnt(0)
	v_pk_add_f32 v[6:7], v[6:7], v[14:15]
	s_and_saveexec_b64 s[0:1], vcc
	s_cbranch_execz .LBB7_4
; %bb.3:
	v_cmp_eq_u32_e32 vcc, 1, v10
	v_lshrrev_b32_e32 v1, 4, v0
	v_and_b32_e32 v1, 60, v1
	v_cndmask_b32_e32 v4, v6, v7, vcc
	v_cmp_eq_u32_e32 vcc, 2, v10
	v_lshl_or_b32 v1, v10, 8, v1
	s_nop 0
	v_cndmask_b32_e32 v4, v4, v2, vcc
	v_cmp_eq_u32_e32 vcc, 3, v10
	s_nop 1
	v_cndmask_b32_e32 v4, v4, v3, vcc
	ds_write_b32 v1, v4
.LBB7_4:
	s_or_b64 exec, exec, s[0:1]
	s_and_b32 s0, 0xffff, s3
	s_lshr_b32 s3, s0, 6
	v_cvt_f32_u32_e32 v1, s3
	v_cvt_f32_u32_e32 v4, v0
	s_waitcnt lgkmcnt(0)
	s_barrier
	v_rcp_iflag_f32_e32 v9, v1
	s_nop 0
	v_mul_f32_e32 v9, v4, v9
	v_trunc_f32_e32 v9, v9
	v_cvt_u32_f32_e32 v11, v9
	v_fma_f32 v4, -v9, v1, v4
	v_cmp_ge_f32_e64 vcc, |v4|, v1
	s_nop 1
	v_addc_co_u32_e32 v9, vcc, 0, v11, vcc
	v_cmp_gt_u16_e32 vcc, 4, v9
	s_and_saveexec_b64 s[4:5], vcc
	s_cbranch_execz .LBB7_18
; %bb.5:
	v_mul_lo_u16_e32 v1, s3, v9
	v_sub_u16_e32 v0, v0, v1
	v_and_b32_e32 v4, 0xffff, v9
	v_lshlrev_b32_e32 v0, 2, v0
	v_lshl_add_u32 v0, v4, 8, v0
	ds_read_b32 v0, v0
	v_cmp_eq_u16_e32 vcc, 3, v9
	s_cmpk_lt_u32 s0, 0x80
	s_waitcnt lgkmcnt(0)
	v_cndmask_b32_e32 v3, v3, v0, vcc
	v_cmp_eq_u16_e32 vcc, 2, v9
	s_nop 1
	v_cndmask_b32_e32 v2, v2, v0, vcc
	v_cmp_eq_u16_e32 vcc, 1, v9
	s_nop 1
	;; [unrolled: 3-line block ×3, first 2 shown]
	v_cndmask_b32_e32 v0, v6, v0, vcc
	s_cbranch_scc1 .LBB7_8
; %bb.6:
	s_lshr_b32 s10, s0, 7
.LBB7_7:                                ; =>This Inner Loop Header: Depth=1
	v_cmp_eq_u32_e32 vcc, 1, v4
	v_xor_b32_e32 v7, s10, v5
	v_cmp_eq_u32_e64 s[0:1], 2, v4
	v_cndmask_b32_e32 v6, v0, v1, vcc
	v_cmp_lt_i32_e64 s[6:7], v7, v8
	v_cndmask_b32_e64 v6, v6, v2, s[0:1]
	v_cmp_eq_u32_e64 s[4:5], 3, v4
	v_cndmask_b32_e64 v7, v5, v7, s[6:7]
	v_lshlrev_b32_e32 v7, 2, v7
	v_cndmask_b32_e64 v6, v6, v3, s[4:5]
	ds_bpermute_b32 v7, v7, v6
	s_waitcnt lgkmcnt(0)
	v_add_f32_e32 v6, v6, v7
	v_cndmask_b32_e64 v2, v2, v6, s[0:1]
	v_cndmask_b32_e32 v1, v1, v6, vcc
	v_cmp_eq_u32_e32 vcc, 0, v4
	s_lshr_b32 s0, s10, 1
	v_cndmask_b32_e64 v3, v3, v6, s[4:5]
	v_cndmask_b32_e32 v0, v0, v6, vcc
	s_cmp_lt_u32 s10, 2
	s_mov_b32 s10, s0
	s_cbranch_scc0 .LBB7_7
.LBB7_8:
	v_cmp_eq_u32_e32 vcc, 1, v4
	s_lshl_b32 s0, s3, 1
	s_nop 0
	v_cndmask_b32_e32 v0, v0, v1, vcc
	v_cvt_f32_u32_e32 v1, s0
	v_cmp_eq_u32_e32 vcc, 2, v4
	s_nop 1
	v_cndmask_b32_e32 v0, v0, v2, vcc
	v_cmp_eq_u32_e32 vcc, 3, v4
	v_cvt_f32_ubyte0_e32 v4, v10
	s_nop 0
	v_cndmask_b32_e32 v2, v0, v3, vcc
	v_rcp_iflag_f32_e32 v3, v1
	v_xor_b32_e32 v0, s3, v5
	v_cmp_lt_i32_e32 vcc, v0, v8
	v_mul_f32_e32 v3, v4, v3
	v_trunc_f32_e32 v3, v3
	v_cndmask_b32_e32 v0, v5, v0, vcc
	v_cvt_u32_f32_e32 v5, v3
	v_fma_f32 v3, -v3, v1, v4
	v_lshlrev_b32_e32 v0, 2, v0
	v_cmp_ge_f32_e64 vcc, |v3|, v1
	ds_bpermute_b32 v0, v0, v2
	s_nop 0
	v_addc_co_u32_e32 v1, vcc, 0, v5, vcc
	v_mul_lo_u32 v1, v1, s0
	v_sub_u32_e32 v1, v10, v1
	v_and_b32_e32 v1, 0x7ff, v1
	v_cmp_eq_u32_e32 vcc, 0, v1
	s_and_b64 exec, exec, vcc
	s_cbranch_execz .LBB7_18
; %bb.9:
	s_mov_b32 s0, 0x7f800000
	v_and_b32_e32 v1, 0x7f800000, v2
	v_cmp_ne_u32_e32 vcc, s0, v1
                                        ; implicit-def: $vgpr1
	s_and_saveexec_b64 s[0:1], vcc
	s_xor_b64 s[0:1], exec, s[0:1]
; %bb.10:
	v_bfe_u32 v1, v2, 16, 1
	s_movk_i32 s3, 0x7fff
	v_add3_u32 v1, v2, v1, s3
                                        ; implicit-def: $vgpr2
; %bb.11:
	s_andn2_saveexec_b64 s[0:1], s[0:1]
; %bb.12:
	v_mov_b32_e32 v1, 0
	v_or_b32_e32 v3, 0x10000, v2
	v_cmp_eq_u32_sdwa vcc, v2, v1 src0_sel:WORD_0 src1_sel:DWORD
	s_nop 1
	v_cndmask_b32_e32 v1, v3, v2, vcc
; %bb.13:
	s_or_b64 exec, exec, s[0:1]
	s_mov_b32 s0, 0x7f800000
	s_waitcnt lgkmcnt(0)
	v_and_b32_e32 v2, 0x7f800000, v0
	v_cmp_ne_u32_e32 vcc, s0, v2
                                        ; implicit-def: $vgpr2
	s_and_saveexec_b64 s[0:1], vcc
	s_xor_b64 s[0:1], exec, s[0:1]
; %bb.14:
	v_bfe_u32 v2, v0, 16, 1
	s_movk_i32 s3, 0x7fff
	v_add3_u32 v2, v0, v2, s3
                                        ; implicit-def: $vgpr0
; %bb.15:
	s_andn2_saveexec_b64 s[0:1], s[0:1]
; %bb.16:
	v_mov_b32_e32 v2, 0
	v_or_b32_e32 v3, 0x10000, v0
	v_cmp_eq_u32_sdwa vcc, v0, v2 src0_sel:WORD_0 src1_sel:DWORD
	s_nop 1
	v_cndmask_b32_e32 v2, v3, v0, vcc
; %bb.17:
	s_or_b64 exec, exec, s[0:1]
	s_lshl_b32 s0, s2, 1
	s_and_b32 s0, s0, 0x7ffffffe
	v_lshrrev_b16_e32 v0, 1, v9
	v_mov_b32_e32 v4, s8
	v_mov_b32_e32 v5, s9
	v_or_b32_e32 v6, s0, v0
	v_mov_b32_e32 v7, 0
	s_mov_b32 s0, 0x7060302
	v_lshl_add_u64 v[4:5], v[6:7], 2, v[4:5]
	v_perm_b32 v0, v2, v1, s0
	global_store_dword v[4:5], v0, off
.LBB7_18:
	s_endpgm
	.section	.rodata,"a",@progbits
	.p2align	6, 0x0
	.amdhsa_kernel _ZN5aiter14LLGemm1_kernelI12hip_bfloat16Li4EEEvPKT_S4_PS2_i
		.amdhsa_group_segment_fixed_size 1024
		.amdhsa_private_segment_fixed_size 0
		.amdhsa_kernarg_size 288
		.amdhsa_user_sgpr_count 2
		.amdhsa_user_sgpr_dispatch_ptr 0
		.amdhsa_user_sgpr_queue_ptr 0
		.amdhsa_user_sgpr_kernarg_segment_ptr 1
		.amdhsa_user_sgpr_dispatch_id 0
		.amdhsa_user_sgpr_kernarg_preload_length 0
		.amdhsa_user_sgpr_kernarg_preload_offset 0
		.amdhsa_user_sgpr_private_segment_size 0
		.amdhsa_uses_dynamic_stack 0
		.amdhsa_enable_private_segment 0
		.amdhsa_system_sgpr_workgroup_id_x 1
		.amdhsa_system_sgpr_workgroup_id_y 0
		.amdhsa_system_sgpr_workgroup_id_z 0
		.amdhsa_system_sgpr_workgroup_info 0
		.amdhsa_system_vgpr_workitem_id 0
		.amdhsa_next_free_vgpr 52
		.amdhsa_next_free_sgpr 14
		.amdhsa_accum_offset 52
		.amdhsa_reserve_vcc 1
		.amdhsa_float_round_mode_32 0
		.amdhsa_float_round_mode_16_64 0
		.amdhsa_float_denorm_mode_32 3
		.amdhsa_float_denorm_mode_16_64 3
		.amdhsa_dx10_clamp 1
		.amdhsa_ieee_mode 1
		.amdhsa_fp16_overflow 0
		.amdhsa_tg_split 0
		.amdhsa_exception_fp_ieee_invalid_op 0
		.amdhsa_exception_fp_denorm_src 0
		.amdhsa_exception_fp_ieee_div_zero 0
		.amdhsa_exception_fp_ieee_overflow 0
		.amdhsa_exception_fp_ieee_underflow 0
		.amdhsa_exception_fp_ieee_inexact 0
		.amdhsa_exception_int_div_zero 0
	.end_amdhsa_kernel
	.section	.text._ZN5aiter14LLGemm1_kernelI12hip_bfloat16Li4EEEvPKT_S4_PS2_i,"axG",@progbits,_ZN5aiter14LLGemm1_kernelI12hip_bfloat16Li4EEEvPKT_S4_PS2_i,comdat
.Lfunc_end7:
	.size	_ZN5aiter14LLGemm1_kernelI12hip_bfloat16Li4EEEvPKT_S4_PS2_i, .Lfunc_end7-_ZN5aiter14LLGemm1_kernelI12hip_bfloat16Li4EEEvPKT_S4_PS2_i
                                        ; -- End function
	.section	.AMDGPU.csdata,"",@progbits
; Kernel info:
; codeLenInByte = 1844
; NumSgprs: 20
; NumVgprs: 52
; NumAgprs: 0
; TotalNumVgprs: 52
; ScratchSize: 0
; MemoryBound: 0
; FloatMode: 240
; IeeeMode: 1
; LDSByteSize: 1024 bytes/workgroup (compile time only)
; SGPRBlocks: 2
; VGPRBlocks: 6
; NumSGPRsForWavesPerEU: 20
; NumVGPRsForWavesPerEU: 52
; AccumOffset: 52
; Occupancy: 8
; WaveLimiterHint : 0
; COMPUTE_PGM_RSRC2:SCRATCH_EN: 0
; COMPUTE_PGM_RSRC2:USER_SGPR: 2
; COMPUTE_PGM_RSRC2:TRAP_HANDLER: 0
; COMPUTE_PGM_RSRC2:TGID_X_EN: 1
; COMPUTE_PGM_RSRC2:TGID_Y_EN: 0
; COMPUTE_PGM_RSRC2:TGID_Z_EN: 0
; COMPUTE_PGM_RSRC2:TIDIG_COMP_CNT: 0
; COMPUTE_PGM_RSRC3_GFX90A:ACCUM_OFFSET: 12
; COMPUTE_PGM_RSRC3_GFX90A:TG_SPLIT: 0
	.section	.text._ZN5aiter14LLGemm1_kernelI12hip_bfloat16Li8EEEvPKT_S4_PS2_i,"axG",@progbits,_ZN5aiter14LLGemm1_kernelI12hip_bfloat16Li8EEEvPKT_S4_PS2_i,comdat
	.protected	_ZN5aiter14LLGemm1_kernelI12hip_bfloat16Li8EEEvPKT_S4_PS2_i ; -- Begin function _ZN5aiter14LLGemm1_kernelI12hip_bfloat16Li8EEEvPKT_S4_PS2_i
	.globl	_ZN5aiter14LLGemm1_kernelI12hip_bfloat16Li8EEEvPKT_S4_PS2_i
	.p2align	8
	.type	_ZN5aiter14LLGemm1_kernelI12hip_bfloat16Li8EEEvPKT_S4_PS2_i,@function
_ZN5aiter14LLGemm1_kernelI12hip_bfloat16Li8EEEvPKT_S4_PS2_i: ; @_ZN5aiter14LLGemm1_kernelI12hip_bfloat16Li8EEEvPKT_S4_PS2_i
; %bb.0:
	s_load_dword s3, s[0:1], 0x18
	s_load_dwordx4 s[4:7], s[0:1], 0x0
	s_load_dwordx2 s[16:17], s[0:1], 0x10
	v_lshlrev_b32_e32 v1, 3, v0
                                        ; implicit-def: $vgpr2
                                        ; implicit-def: $vgpr6
                                        ; implicit-def: $vgpr10
                                        ; implicit-def: $vgpr14
                                        ; implicit-def: $vgpr18
                                        ; implicit-def: $vgpr22
                                        ; implicit-def: $vgpr30
                                        ; implicit-def: $vgpr26
	s_waitcnt lgkmcnt(0)
	v_cmp_gt_i32_e32 vcc, s3, v1
	s_and_saveexec_b64 s[8:9], vcc
	s_cbranch_execz .LBB8_2
; %bb.1:
	s_mul_i32 s10, s2, s3
	s_and_b32 s10, s10, 0x1fffffff
	v_add_u32_e32 v2, s10, v0
	s_lshr_b32 s10, s3, 3
	v_mov_b32_e32 v3, 0
	s_add_i32 s3, s10, s10
	s_mov_b32 s11, 0
	v_lshl_add_u64 v[4:5], v[2:3], 4, s[4:5]
	v_add_u32_e32 v2, s3, v2
	v_lshl_add_u64 v[6:7], s[10:11], 4, v[4:5]
	global_load_dwordx4 v[26:29], v[4:5], off nt
	global_load_dwordx4 v[30:33], v[6:7], off nt
	v_lshl_add_u64 v[4:5], v[2:3], 4, s[4:5]
	v_add_u32_e32 v2, s10, v2
	v_lshl_add_u64 v[6:7], v[2:3], 4, s[4:5]
	v_add_u32_e32 v2, s10, v2
	global_load_dwordx4 v[22:25], v[4:5], off nt
	global_load_dwordx4 v[18:21], v[6:7], off nt
	v_lshl_add_u64 v[4:5], v[2:3], 4, s[4:5]
	v_add_u32_e32 v2, s10, v2
	v_lshl_add_u64 v[6:7], v[2:3], 4, s[4:5]
	v_add_u32_e32 v2, s10, v2
	;; [unrolled: 2-line block ×3, first 2 shown]
	global_load_dwordx4 v[14:17], v[4:5], off nt
	global_load_dwordx4 v[10:13], v[6:7], off nt
	v_lshl_add_u64 v[36:37], v[2:3], 4, s[4:5]
	global_load_dwordx4 v[6:9], v[34:35], off nt
	global_load_dwordx4 v[2:5], v[36:37], off nt
.LBB8_2:
	s_or_b64 exec, exec, s[8:9]
	v_lshlrev_b32_e32 v1, 4, v0
	global_load_dwordx4 v[34:37], v1, s[6:7]
	s_waitcnt vmcnt(8)
	v_lshlrev_b32_e32 v40, 16, v28
	v_and_b32_e32 v38, 0xffff0000, v28
	s_waitcnt vmcnt(7)
	v_lshlrev_b32_e32 v47, 16, v30
	v_lshlrev_b32_e32 v46, 16, v26
	v_and_b32_e32 v43, 0xffff0000, v30
	v_and_b32_e32 v42, 0xffff0000, v26
	v_lshlrev_b32_e32 v44, 16, v27
	v_and_b32_e32 v30, 0xffff0000, v27
	s_waitcnt vmcnt(6)
	v_lshlrev_b32_e32 v28, 16, v24
	v_and_b32_e32 v26, 0xffff0000, v24
	s_waitcnt vmcnt(5)
	v_lshlrev_b32_e32 v51, 16, v18
	v_lshlrev_b32_e32 v50, 16, v22
	v_and_b32_e32 v49, 0xffff0000, v18
	v_and_b32_e32 v48, 0xffff0000, v22
	v_lshlrev_b32_e32 v52, 16, v29
	v_and_b32_e32 v54, 0xffff0000, v29
	v_lshlrev_b32_e32 v29, 16, v20
	v_and_b32_e32 v27, 0xffff0000, v20
	s_waitcnt vmcnt(1)
	v_lshlrev_b32_e32 v69, 16, v2
	v_lshlrev_b32_e32 v68, 16, v6
	v_mbcnt_lo_u32_b32 v1, -1, 0
	v_lshlrev_b32_e32 v45, 16, v31
	v_and_b32_e32 v31, 0xffff0000, v31
	v_lshlrev_b32_e32 v41, 16, v32
	v_and_b32_e32 v39, 0xffff0000, v32
	;; [unrolled: 2-line block ×3, first 2 shown]
	s_load_dword s3, s[0:1], 0x2c
	v_lshlrev_b32_e32 v57, 16, v19
	v_lshlrev_b32_e32 v56, 16, v23
	v_and_b32_e32 v59, 0xffff0000, v19
	v_and_b32_e32 v58, 0xffff0000, v23
	v_lshlrev_b32_e32 v61, 16, v21
	v_lshlrev_b32_e32 v60, 16, v25
	v_and_b32_e32 v63, 0xffff0000, v21
	v_and_b32_e32 v62, 0xffff0000, v25
	s_waitcnt vmcnt(0)
	v_lshlrev_b32_e32 v64, 16, v34
	v_and_b32_e32 v66, 0xffff0000, v34
	v_lshlrev_b32_e32 v24, 16, v36
	v_and_b32_e32 v22, 0xffff0000, v36
	;; [unrolled: 2-line block ×3, first 2 shown]
	v_lshlrev_b32_e32 v37, 16, v10
	v_lshlrev_b32_e32 v36, 16, v14
	;; [unrolled: 1-line block ×3, first 2 shown]
	v_and_b32_e32 v34, 0xffff0000, v35
	v_pk_mul_f32 v[46:47], v[64:65], v[46:47] op_sel_hi:[0,1]
	v_pk_mul_f32 v[50:51], v[64:65], v[50:51] op_sel_hi:[0,1]
	;; [unrolled: 1-line block ×4, first 2 shown]
	v_and_b32_e32 v64, 0xffff0000, v14
	v_pk_mul_f32 v[72:73], v[66:67], v[42:43] op_sel_hi:[0,1]
	v_mbcnt_hi_u32_b32 v14, -1, v1
	v_pk_fma_f32 v[44:45], v[44:45], v[32:33], v[46:47] op_sel_hi:[1,0,1]
	v_pk_fma_f32 v[30:31], v[30:31], v[34:35], v[72:73] op_sel_hi:[1,0,1]
	v_and_b32_e32 v1, 64, v14
	v_and_b32_e32 v69, 0xffff0000, v2
	v_pk_fma_f32 v[40:41], v[40:41], v[24:25], v[44:45] op_sel_hi:[1,0,1]
	v_pk_fma_f32 v[30:31], v[38:39], v[22:23], v[30:31] op_sel_hi:[1,0,1]
	v_lshlrev_b32_e32 v38, 16, v16
	v_and_b32_e32 v44, 0xffff0000, v16
	v_xor_b32_e32 v2, 32, v14
	v_add_u32_e32 v16, 64, v1
	v_pk_fma_f32 v[40:41], v[52:53], v[20:21], v[40:41] op_sel_hi:[1,0,1]
	v_pk_fma_f32 v[30:31], v[54:55], v[18:19], v[30:31] op_sel_hi:[1,0,1]
	v_cmp_lt_i32_e64 s[0:1], v2, v16
	v_pk_add_f32 v[30:31], v[40:41], v[30:31]
	v_and_b32_e32 v68, 0xffff0000, v6
	v_cndmask_b32_e64 v1, v14, v2, s[0:1]
	v_xor_b32_e32 v2, 16, v14
	v_pk_mul_f32 v[48:49], v[66:67], v[48:49] op_sel_hi:[0,1]
	v_lshlrev_b32_e32 v1, 2, v1
	v_cndmask_b32_e32 v31, 0, v31, vcc
	v_cndmask_b32_e32 v30, 0, v30, vcc
	v_xor_b32_e32 v6, 8, v14
	v_cmp_lt_i32_e64 s[0:1], v2, v16
	v_pk_fma_f32 v[46:47], v[56:57], v[32:33], v[50:51] op_sel_hi:[1,0,1]
	v_pk_fma_f32 v[48:49], v[58:59], v[34:35], v[48:49] op_sel_hi:[1,0,1]
	ds_bpermute_b32 v40, v1, v30
	ds_bpermute_b32 v41, v1, v31
	v_cndmask_b32_e64 v2, v14, v2, s[0:1]
	v_cmp_lt_i32_e64 s[0:1], v6, v16
	v_pk_fma_f32 v[28:29], v[28:29], v[24:25], v[46:47] op_sel_hi:[1,0,1]
	v_lshlrev_b32_e32 v46, 16, v15
	v_pk_fma_f32 v[26:27], v[26:27], v[22:23], v[48:49] op_sel_hi:[1,0,1]
	v_and_b32_e32 v48, 0xffff0000, v15
	v_lshlrev_b32_e32 v15, 2, v2
	v_cndmask_b32_e64 v2, v14, v6, s[0:1]
	v_lshlrev_b32_e32 v19, 2, v2
	v_pk_fma_f32 v[28:29], v[60:61], v[20:21], v[28:29] op_sel_hi:[1,0,1]
	v_pk_fma_f32 v[26:27], v[62:63], v[18:19], v[26:27] op_sel_hi:[1,0,1]
	v_and_b32_e32 v65, 0xffff0000, v10
	v_pk_add_f32 v[26:27], v[28:29], v[26:27]
	v_lshlrev_b32_e32 v47, 16, v11
	v_and_b32_e32 v49, 0xffff0000, v11
	s_waitcnt lgkmcnt(0)
	v_pk_add_f32 v[10:11], v[30:31], v[40:41]
	v_cndmask_b32_e32 v27, 0, v27, vcc
	v_cndmask_b32_e32 v26, 0, v26, vcc
	ds_bpermute_b32 v30, v15, v10
	ds_bpermute_b32 v31, v15, v11
	;; [unrolled: 1-line block ×4, first 2 shown]
	v_xor_b32_e32 v2, 4, v14
	v_cmp_lt_i32_e64 s[0:1], v2, v16
	s_waitcnt lgkmcnt(2)
	v_pk_add_f32 v[10:11], v[10:11], v[30:31]
	ds_bpermute_b32 v30, v19, v10
	s_waitcnt lgkmcnt(1)
	v_pk_add_f32 v[26:27], v[26:27], v[28:29]
	ds_bpermute_b32 v31, v19, v11
	ds_bpermute_b32 v28, v15, v26
	;; [unrolled: 1-line block ×3, first 2 shown]
	v_cndmask_b32_e64 v2, v14, v2, s[0:1]
	v_lshlrev_b32_e32 v21, 2, v2
	s_waitcnt lgkmcnt(2)
	v_pk_add_f32 v[10:11], v[10:11], v[30:31]
	ds_bpermute_b32 v30, v21, v10
	s_waitcnt lgkmcnt(1)
	v_pk_add_f32 v[26:27], v[26:27], v[28:29]
	ds_bpermute_b32 v31, v21, v11
	ds_bpermute_b32 v28, v19, v26
	;; [unrolled: 1-line block ×3, first 2 shown]
	v_xor_b32_e32 v2, 2, v14
	v_cmp_lt_i32_e64 s[0:1], v2, v16
	s_waitcnt lgkmcnt(2)
	v_pk_add_f32 v[10:11], v[10:11], v[30:31]
	v_pk_mul_f32 v[64:65], v[66:67], v[64:65] op_sel_hi:[0,1]
	v_cndmask_b32_e64 v2, v14, v2, s[0:1]
	v_lshlrev_b32_e32 v25, 2, v2
	s_waitcnt lgkmcnt(0)
	v_pk_add_f32 v[26:27], v[26:27], v[28:29]
	ds_bpermute_b32 v30, v25, v10
	ds_bpermute_b32 v31, v25, v11
	;; [unrolled: 1-line block ×4, first 2 shown]
	v_pk_mul_f32 v[42:43], v[66:67], v[68:69] op_sel_hi:[0,1]
	v_pk_fma_f32 v[40:41], v[48:49], v[34:35], v[64:65] op_sel_hi:[1,0,1]
	s_waitcnt lgkmcnt(2)
	v_pk_add_f32 v[10:11], v[10:11], v[30:31]
	v_lshlrev_b32_e32 v31, 16, v3
	s_waitcnt lgkmcnt(0)
	v_pk_add_f32 v[26:27], v[26:27], v[28:29]
	v_pk_fma_f32 v[28:29], v[46:47], v[32:33], v[70:71] op_sel_hi:[1,0,1]
	v_lshlrev_b32_e32 v30, 16, v7
	v_and_b32_e32 v47, 0xffff0000, v3
	v_and_b32_e32 v46, 0xffff0000, v7
	v_lshlrev_b32_e32 v3, 16, v4
	v_and_b32_e32 v7, 0xffff0000, v4
	v_xor_b32_e32 v4, 1, v14
	v_cmp_lt_i32_e64 s[0:1], v4, v16
	v_lshlrev_b32_e32 v39, 16, v12
	v_and_b32_e32 v45, 0xffff0000, v12
	v_cndmask_b32_e64 v4, v14, v4, s[0:1]
	v_lshlrev_b32_e32 v35, 2, v4
	v_lshlrev_b32_e32 v2, 16, v8
	v_and_b32_e32 v6, 0xffff0000, v8
	v_pk_fma_f32 v[30:31], v[30:31], v[32:33], v[36:37] op_sel_hi:[1,0,1]
	v_pk_fma_f32 v[32:33], v[46:47], v[34:35], v[42:43] op_sel_hi:[1,0,1]
	;; [unrolled: 1-line block ×4, first 2 shown]
	v_lshlrev_b32_e32 v41, 16, v13
	v_lshlrev_b32_e32 v40, 16, v17
	v_and_b32_e32 v13, 0xffff0000, v13
	v_and_b32_e32 v12, 0xffff0000, v17
	v_pk_fma_f32 v[2:3], v[2:3], v[24:25], v[30:31] op_sel_hi:[1,0,1]
	v_pk_fma_f32 v[6:7], v[6:7], v[22:23], v[32:33] op_sel_hi:[1,0,1]
	v_lshlrev_b32_e32 v23, 16, v5
	v_lshlrev_b32_e32 v22, 16, v9
	v_and_b32_e32 v5, 0xffff0000, v5
	v_and_b32_e32 v4, 0xffff0000, v9
	v_pk_fma_f32 v[28:29], v[40:41], v[20:21], v[28:29] op_sel_hi:[1,0,1]
	v_pk_fma_f32 v[12:13], v[12:13], v[18:19], v[38:39] op_sel_hi:[1,0,1]
	;; [unrolled: 1-line block ×4, first 2 shown]
	v_pk_add_f32 v[12:13], v[28:29], v[12:13]
	v_pk_add_f32 v[2:3], v[2:3], v[4:5]
	v_cndmask_b32_e32 v13, 0, v13, vcc
	v_cndmask_b32_e32 v12, 0, v12, vcc
	;; [unrolled: 1-line block ×4, first 2 shown]
	ds_bpermute_b32 v28, v1, v12
	ds_bpermute_b32 v29, v1, v13
	;; [unrolled: 1-line block ×6, first 2 shown]
	s_waitcnt lgkmcnt(4)
	v_pk_add_f32 v[8:9], v[12:13], v[28:29]
	ds_bpermute_b32 v12, v15, v8
	s_waitcnt lgkmcnt(3)
	v_pk_add_f32 v[2:3], v[2:3], v[4:5]
	ds_bpermute_b32 v13, v15, v9
	ds_bpermute_b32 v4, v15, v2
	;; [unrolled: 1-line block ×3, first 2 shown]
	s_waitcnt lgkmcnt(4)
	v_pk_add_f32 v[6:7], v[26:27], v[6:7]
	ds_bpermute_b32 v40, v35, v10
	s_waitcnt lgkmcnt(3)
	v_pk_add_f32 v[8:9], v[8:9], v[12:13]
	ds_bpermute_b32 v12, v19, v8
	;; [unrolled: 3-line block ×3, first 2 shown]
	ds_bpermute_b32 v4, v19, v2
	ds_bpermute_b32 v5, v19, v3
	ds_bpermute_b32 v41, v35, v11
	ds_bpermute_b32 v18, v35, v6
	s_waitcnt lgkmcnt(4)
	v_pk_add_f32 v[8:9], v[8:9], v[12:13]
	ds_bpermute_b32 v12, v21, v8
	s_waitcnt lgkmcnt(3)
	v_pk_add_f32 v[2:3], v[2:3], v[4:5]
	ds_bpermute_b32 v13, v21, v9
	ds_bpermute_b32 v4, v21, v2
	;; [unrolled: 1-line block ×4, first 2 shown]
	s_waitcnt lgkmcnt(6)
	v_pk_add_f32 v[10:11], v[10:11], v[40:41]
	s_waitcnt lgkmcnt(3)
	v_pk_add_f32 v[8:9], v[8:9], v[12:13]
	ds_bpermute_b32 v12, v25, v8
	s_waitcnt lgkmcnt(2)
	v_pk_add_f32 v[2:3], v[2:3], v[4:5]
	ds_bpermute_b32 v13, v25, v9
	ds_bpermute_b32 v4, v25, v2
	;; [unrolled: 1-line block ×3, first 2 shown]
	s_waitcnt lgkmcnt(2)
	v_pk_add_f32 v[8:9], v[8:9], v[12:13]
	ds_bpermute_b32 v20, v35, v8
	s_waitcnt lgkmcnt(1)
	v_pk_add_f32 v[22:23], v[2:3], v[4:5]
	ds_bpermute_b32 v21, v35, v9
	ds_bpermute_b32 v24, v35, v22
	;; [unrolled: 1-line block ×3, first 2 shown]
	v_and_b32_e32 v12, 63, v0
	v_pk_add_f32 v[2:3], v[6:7], v[18:19]
	s_waitcnt lgkmcnt(2)
	v_pk_add_f32 v[4:5], v[8:9], v[20:21]
	v_cmp_gt_u32_e32 vcc, 8, v12
	s_waitcnt lgkmcnt(0)
	v_pk_add_f32 v[6:7], v[22:23], v[24:25]
	s_and_saveexec_b64 s[0:1], vcc
	s_cbranch_execz .LBB8_4
; %bb.3:
	v_cmp_eq_u32_e32 vcc, 1, v12
	v_lshrrev_b32_e32 v1, 4, v0
	v_and_b32_e32 v1, 60, v1
	v_cndmask_b32_e32 v8, v10, v11, vcc
	v_cmp_eq_u32_e32 vcc, 2, v12
	v_lshl_or_b32 v1, v12, 8, v1
	s_nop 0
	v_cndmask_b32_e32 v8, v8, v2, vcc
	v_cmp_eq_u32_e32 vcc, 3, v12
	s_nop 1
	v_cndmask_b32_e32 v8, v8, v3, vcc
	v_cmp_eq_u32_e32 vcc, 4, v12
	;; [unrolled: 3-line block ×5, first 2 shown]
	s_nop 1
	v_cndmask_b32_e32 v8, v8, v7, vcc
	ds_write_b32 v1, v8
.LBB8_4:
	s_or_b64 exec, exec, s[0:1]
	s_and_b32 s4, 0xffff, s3
	s_lshr_b32 s3, s4, 6
	v_cvt_f32_u32_e32 v1, s3
	v_cvt_f32_u32_e32 v8, v0
	s_waitcnt lgkmcnt(0)
	s_barrier
	v_rcp_iflag_f32_e32 v9, v1
	s_nop 0
	v_mul_f32_e32 v9, v8, v9
	v_trunc_f32_e32 v9, v9
	v_cvt_u32_f32_e32 v13, v9
	v_fma_f32 v8, -v9, v1, v8
	v_cmp_ge_f32_e64 vcc, |v8|, v1
	s_nop 1
	v_addc_co_u32_e32 v9, vcc, 0, v13, vcc
	v_cmp_gt_u16_e32 vcc, 8, v9
	s_and_saveexec_b64 s[0:1], vcc
	s_cbranch_execz .LBB8_18
; %bb.5:
	v_mul_lo_u16_e32 v1, s3, v9
	v_sub_u16_e32 v0, v0, v1
	v_and_b32_e32 v8, 0xffff, v9
	v_lshlrev_b32_e32 v0, 2, v0
	v_lshl_add_u32 v0, v8, 8, v0
	ds_read_b32 v0, v0
	v_cmp_eq_u16_e32 vcc, 7, v9
	v_cmp_eq_u16_e64 s[0:1], 1, v9
	s_cmpk_lt_u32 s4, 0x80
	s_waitcnt lgkmcnt(0)
	v_cndmask_b32_e32 v7, v7, v0, vcc
	v_cmp_eq_u16_e32 vcc, 6, v9
	v_cndmask_b32_e64 v1, v11, v0, s[0:1]
	s_nop 0
	v_cndmask_b32_e32 v6, v6, v0, vcc
	v_cmp_eq_u16_e32 vcc, 5, v9
	s_nop 1
	v_cndmask_b32_e32 v5, v5, v0, vcc
	v_cmp_eq_u16_e32 vcc, 4, v9
	;; [unrolled: 3-line block ×5, first 2 shown]
	s_nop 1
	v_cndmask_b32_e32 v0, v10, v0, vcc
	s_cbranch_scc1 .LBB8_8
; %bb.6:
	s_lshr_b32 s18, s4, 7
.LBB8_7:                                ; =>This Inner Loop Header: Depth=1
	v_cmp_eq_u32_e32 vcc, 1, v8
	v_cmp_eq_u32_e64 s[0:1], 2, v8
	v_cmp_eq_u32_e64 s[4:5], 3, v8
	v_cndmask_b32_e32 v10, v0, v1, vcc
	v_cndmask_b32_e64 v10, v10, v2, s[0:1]
	v_cndmask_b32_e64 v10, v10, v3, s[4:5]
	v_cmp_eq_u32_e64 s[6:7], 4, v8
	v_cmp_eq_u32_e64 s[8:9], 5, v8
	v_xor_b32_e32 v11, s18, v14
	v_cndmask_b32_e64 v10, v10, v4, s[6:7]
	v_cndmask_b32_e64 v10, v10, v5, s[8:9]
	v_cmp_eq_u32_e64 s[10:11], 6, v8
	v_cmp_lt_i32_e64 s[14:15], v11, v16
	v_cmp_eq_u32_e64 s[12:13], 7, v8
	v_cndmask_b32_e64 v10, v10, v6, s[10:11]
	v_cndmask_b32_e64 v11, v14, v11, s[14:15]
	;; [unrolled: 1-line block ×3, first 2 shown]
	v_lshlrev_b32_e32 v11, 2, v11
	ds_bpermute_b32 v11, v11, v10
	s_waitcnt lgkmcnt(0)
	v_add_f32_e32 v10, v10, v11
	v_cndmask_b32_e64 v2, v2, v10, s[0:1]
	v_cndmask_b32_e32 v1, v1, v10, vcc
	v_cmp_eq_u32_e32 vcc, 0, v8
	s_lshr_b32 s0, s18, 1
	v_cndmask_b32_e64 v7, v7, v10, s[12:13]
	v_cndmask_b32_e64 v6, v6, v10, s[10:11]
	;; [unrolled: 1-line block ×5, first 2 shown]
	v_cndmask_b32_e32 v0, v0, v10, vcc
	s_cmp_lt_u32 s18, 2
	s_mov_b32 s18, s0
	s_cbranch_scc0 .LBB8_7
.LBB8_8:
	v_cmp_eq_u32_e32 vcc, 1, v8
	s_lshl_b32 s0, s3, 1
	s_nop 0
	v_cndmask_b32_e32 v0, v0, v1, vcc
	v_cvt_f32_u32_e32 v1, s0
	v_cmp_eq_u32_e32 vcc, 2, v8
	s_nop 1
	v_cndmask_b32_e32 v0, v0, v2, vcc
	v_cmp_eq_u32_e32 vcc, 3, v8
	s_nop 1
	v_cndmask_b32_e32 v0, v0, v3, vcc
	v_rcp_iflag_f32_e32 v3, v1
	v_cmp_eq_u32_e32 vcc, 4, v8
	s_nop 1
	v_cndmask_b32_e32 v0, v0, v4, vcc
	v_cmp_eq_u32_e32 vcc, 5, v8
	v_cvt_f32_ubyte0_e32 v4, v12
	v_mul_f32_e32 v3, v4, v3
	v_cndmask_b32_e32 v0, v0, v5, vcc
	v_cmp_eq_u32_e32 vcc, 6, v8
	v_trunc_f32_e32 v3, v3
	v_cvt_u32_f32_e32 v5, v3
	v_cndmask_b32_e32 v0, v0, v6, vcc
	v_cmp_eq_u32_e32 vcc, 7, v8
	v_fma_f32 v3, -v3, v1, v4
	s_nop 0
	v_cndmask_b32_e32 v2, v0, v7, vcc
	v_xor_b32_e32 v0, s3, v14
	v_cmp_lt_i32_e32 vcc, v0, v16
	s_nop 1
	v_cndmask_b32_e32 v0, v14, v0, vcc
	v_lshlrev_b32_e32 v0, 2, v0
	v_cmp_ge_f32_e64 vcc, |v3|, v1
	ds_bpermute_b32 v0, v0, v2
	s_nop 0
	v_addc_co_u32_e32 v1, vcc, 0, v5, vcc
	v_mul_lo_u32 v1, v1, s0
	v_sub_u32_e32 v1, v12, v1
	v_and_b32_e32 v1, 0x7ff, v1
	v_cmp_eq_u32_e32 vcc, 0, v1
	s_and_b64 exec, exec, vcc
	s_cbranch_execz .LBB8_18
; %bb.9:
	s_mov_b32 s0, 0x7f800000
	v_and_b32_e32 v1, 0x7f800000, v2
	v_cmp_ne_u32_e32 vcc, s0, v1
                                        ; implicit-def: $vgpr1
	s_and_saveexec_b64 s[0:1], vcc
	s_xor_b64 s[0:1], exec, s[0:1]
; %bb.10:
	v_bfe_u32 v1, v2, 16, 1
	s_movk_i32 s3, 0x7fff
	v_add3_u32 v1, v2, v1, s3
                                        ; implicit-def: $vgpr2
; %bb.11:
	s_andn2_saveexec_b64 s[0:1], s[0:1]
; %bb.12:
	v_mov_b32_e32 v1, 0
	v_or_b32_e32 v3, 0x10000, v2
	v_cmp_eq_u32_sdwa vcc, v2, v1 src0_sel:WORD_0 src1_sel:DWORD
	s_nop 1
	v_cndmask_b32_e32 v1, v3, v2, vcc
; %bb.13:
	s_or_b64 exec, exec, s[0:1]
	s_mov_b32 s0, 0x7f800000
	s_waitcnt lgkmcnt(0)
	v_and_b32_e32 v2, 0x7f800000, v0
	v_cmp_ne_u32_e32 vcc, s0, v2
                                        ; implicit-def: $vgpr2
	s_and_saveexec_b64 s[0:1], vcc
	s_xor_b64 s[0:1], exec, s[0:1]
; %bb.14:
	v_bfe_u32 v2, v0, 16, 1
	s_movk_i32 s3, 0x7fff
	v_add3_u32 v2, v0, v2, s3
                                        ; implicit-def: $vgpr0
; %bb.15:
	s_andn2_saveexec_b64 s[0:1], s[0:1]
; %bb.16:
	v_mov_b32_e32 v2, 0
	v_or_b32_e32 v3, 0x10000, v0
	v_cmp_eq_u32_sdwa vcc, v0, v2 src0_sel:WORD_0 src1_sel:DWORD
	s_nop 1
	v_cndmask_b32_e32 v2, v3, v0, vcc
; %bb.17:
	s_or_b64 exec, exec, s[0:1]
	s_lshl_b32 s0, s2, 2
	s_and_b32 s0, s0, 0x7ffffffc
	v_lshrrev_b16_e32 v0, 1, v9
	v_mov_b32_e32 v4, s16
	v_mov_b32_e32 v5, s17
	v_or_b32_e32 v6, s0, v0
	v_mov_b32_e32 v7, 0
	s_mov_b32 s0, 0x7060302
	v_lshl_add_u64 v[4:5], v[6:7], 2, v[4:5]
	v_perm_b32 v0, v2, v1, s0
	global_store_dword v[4:5], v0, off
.LBB8_18:
	s_endpgm
	.section	.rodata,"a",@progbits
	.p2align	6, 0x0
	.amdhsa_kernel _ZN5aiter14LLGemm1_kernelI12hip_bfloat16Li8EEEvPKT_S4_PS2_i
		.amdhsa_group_segment_fixed_size 2048
		.amdhsa_private_segment_fixed_size 0
		.amdhsa_kernarg_size 288
		.amdhsa_user_sgpr_count 2
		.amdhsa_user_sgpr_dispatch_ptr 0
		.amdhsa_user_sgpr_queue_ptr 0
		.amdhsa_user_sgpr_kernarg_segment_ptr 1
		.amdhsa_user_sgpr_dispatch_id 0
		.amdhsa_user_sgpr_kernarg_preload_length 0
		.amdhsa_user_sgpr_kernarg_preload_offset 0
		.amdhsa_user_sgpr_private_segment_size 0
		.amdhsa_uses_dynamic_stack 0
		.amdhsa_enable_private_segment 0
		.amdhsa_system_sgpr_workgroup_id_x 1
		.amdhsa_system_sgpr_workgroup_id_y 0
		.amdhsa_system_sgpr_workgroup_id_z 0
		.amdhsa_system_sgpr_workgroup_info 0
		.amdhsa_system_vgpr_workitem_id 0
		.amdhsa_next_free_vgpr 74
		.amdhsa_next_free_sgpr 19
		.amdhsa_accum_offset 76
		.amdhsa_reserve_vcc 1
		.amdhsa_float_round_mode_32 0
		.amdhsa_float_round_mode_16_64 0
		.amdhsa_float_denorm_mode_32 3
		.amdhsa_float_denorm_mode_16_64 3
		.amdhsa_dx10_clamp 1
		.amdhsa_ieee_mode 1
		.amdhsa_fp16_overflow 0
		.amdhsa_tg_split 0
		.amdhsa_exception_fp_ieee_invalid_op 0
		.amdhsa_exception_fp_denorm_src 0
		.amdhsa_exception_fp_ieee_div_zero 0
		.amdhsa_exception_fp_ieee_overflow 0
		.amdhsa_exception_fp_ieee_underflow 0
		.amdhsa_exception_fp_ieee_inexact 0
		.amdhsa_exception_int_div_zero 0
	.end_amdhsa_kernel
	.section	.text._ZN5aiter14LLGemm1_kernelI12hip_bfloat16Li8EEEvPKT_S4_PS2_i,"axG",@progbits,_ZN5aiter14LLGemm1_kernelI12hip_bfloat16Li8EEEvPKT_S4_PS2_i,comdat
.Lfunc_end8:
	.size	_ZN5aiter14LLGemm1_kernelI12hip_bfloat16Li8EEEvPKT_S4_PS2_i, .Lfunc_end8-_ZN5aiter14LLGemm1_kernelI12hip_bfloat16Li8EEEvPKT_S4_PS2_i
                                        ; -- End function
	.section	.AMDGPU.csdata,"",@progbits
; Kernel info:
; codeLenInByte = 2868
; NumSgprs: 25
; NumVgprs: 74
; NumAgprs: 0
; TotalNumVgprs: 74
; ScratchSize: 0
; MemoryBound: 0
; FloatMode: 240
; IeeeMode: 1
; LDSByteSize: 2048 bytes/workgroup (compile time only)
; SGPRBlocks: 3
; VGPRBlocks: 9
; NumSGPRsForWavesPerEU: 25
; NumVGPRsForWavesPerEU: 74
; AccumOffset: 76
; Occupancy: 6
; WaveLimiterHint : 0
; COMPUTE_PGM_RSRC2:SCRATCH_EN: 0
; COMPUTE_PGM_RSRC2:USER_SGPR: 2
; COMPUTE_PGM_RSRC2:TRAP_HANDLER: 0
; COMPUTE_PGM_RSRC2:TGID_X_EN: 1
; COMPUTE_PGM_RSRC2:TGID_Y_EN: 0
; COMPUTE_PGM_RSRC2:TGID_Z_EN: 0
; COMPUTE_PGM_RSRC2:TIDIG_COMP_CNT: 0
; COMPUTE_PGM_RSRC3_GFX90A:ACCUM_OFFSET: 18
; COMPUTE_PGM_RSRC3_GFX90A:TG_SPLIT: 0
	.section	.text._ZN5aiter14LLGemm1_kernelI12hip_bfloat16Li16EEEvPKT_S4_PS2_i,"axG",@progbits,_ZN5aiter14LLGemm1_kernelI12hip_bfloat16Li16EEEvPKT_S4_PS2_i,comdat
	.protected	_ZN5aiter14LLGemm1_kernelI12hip_bfloat16Li16EEEvPKT_S4_PS2_i ; -- Begin function _ZN5aiter14LLGemm1_kernelI12hip_bfloat16Li16EEEvPKT_S4_PS2_i
	.globl	_ZN5aiter14LLGemm1_kernelI12hip_bfloat16Li16EEEvPKT_S4_PS2_i
	.p2align	8
	.type	_ZN5aiter14LLGemm1_kernelI12hip_bfloat16Li16EEEvPKT_S4_PS2_i,@function
_ZN5aiter14LLGemm1_kernelI12hip_bfloat16Li16EEEvPKT_S4_PS2_i: ; @_ZN5aiter14LLGemm1_kernelI12hip_bfloat16Li16EEEvPKT_S4_PS2_i
; %bb.0:
	s_load_dword s3, s[0:1], 0x18
	s_load_dwordx4 s[4:7], s[0:1], 0x0
	s_load_dwordx2 s[34:35], s[0:1], 0x10
	v_lshlrev_b32_e32 v1, 3, v0
                                        ; implicit-def: $vgpr66
                                        ; implicit-def: $vgpr6
                                        ; implicit-def: $vgpr14
                                        ; implicit-def: $vgpr10
                                        ; implicit-def: $vgpr22
                                        ; implicit-def: $vgpr18
                                        ; implicit-def: $vgpr30
                                        ; implicit-def: $vgpr26
                                        ; implicit-def: $vgpr38
                                        ; implicit-def: $vgpr34
                                        ; implicit-def: $vgpr46
                                        ; implicit-def: $vgpr42
                                        ; implicit-def: $vgpr54
                                        ; implicit-def: $vgpr50
                                        ; implicit-def: $vgpr62
                                        ; implicit-def: $vgpr58
	s_waitcnt lgkmcnt(0)
	v_cmp_gt_i32_e32 vcc, s3, v1
	s_and_saveexec_b64 s[8:9], vcc
	s_cbranch_execz .LBB9_2
; %bb.1:
	s_mul_i32 s10, s2, s3
	s_lshl_b32 s10, s10, 1
	s_and_b32 s10, s10, 0x1ffffffe
	v_add_u32_e32 v2, s10, v0
	v_mov_b32_e32 v3, 0
	s_lshr_b32 s10, s3, 3
	s_mov_b32 s11, 0
	v_lshl_add_u64 v[4:5], v[2:3], 4, s[4:5]
	v_lshl_add_u64 v[6:7], s[10:11], 4, v[4:5]
	s_add_i32 s11, s10, s10
	global_load_dwordx4 v[58:61], v[4:5], off nt
	global_load_dwordx4 v[62:65], v[6:7], off nt
	v_add_u32_e32 v4, s11, v2
	v_mov_b32_e32 v5, v3
	v_lshl_add_u64 v[6:7], v[4:5], 4, s[4:5]
	v_add_u32_e32 v4, s10, v4
	v_lshl_add_u64 v[8:9], v[4:5], 4, s[4:5]
	v_add_u32_e32 v4, s10, v4
	global_load_dwordx4 v[50:53], v[6:7], off nt
	global_load_dwordx4 v[54:57], v[8:9], off nt
	v_lshl_add_u64 v[6:7], v[4:5], 4, s[4:5]
	v_add_u32_e32 v4, s10, v4
	v_lshl_add_u64 v[8:9], v[4:5], 4, s[4:5]
	v_add_u32_e32 v4, s10, v4
	s_and_b32 s3, s3, -8
	global_load_dwordx4 v[42:45], v[6:7], off nt
	global_load_dwordx4 v[46:49], v[8:9], off nt
	v_lshl_add_u64 v[6:7], v[4:5], 4, s[4:5]
	v_add_u32_e32 v4, s10, v4
	v_add_u32_e32 v2, s3, v2
	v_lshl_add_u64 v[8:9], v[4:5], 4, s[4:5]
	global_load_dwordx4 v[34:37], v[6:7], off nt
	global_load_dwordx4 v[38:41], v[8:9], off nt
	v_lshl_add_u64 v[6:7], v[2:3], 4, s[4:5]
	v_lshl_add_u32 v2, s10, 1, v4
	v_lshl_add_u64 v[4:5], v[2:3], 4, s[4:5]
	v_add_u32_e32 v2, s10, v2
	global_load_dwordx4 v[26:29], v[6:7], off nt
	global_load_dwordx4 v[30:33], v[4:5], off nt
	v_lshl_add_u64 v[4:5], v[2:3], 4, s[4:5]
	v_add_u32_e32 v2, s10, v2
	v_lshl_add_u64 v[6:7], v[2:3], 4, s[4:5]
	v_add_u32_e32 v2, s10, v2
	global_load_dwordx4 v[18:21], v[4:5], off nt
	global_load_dwordx4 v[22:25], v[6:7], off nt
	v_lshl_add_u64 v[4:5], v[2:3], 4, s[4:5]
	v_add_u32_e32 v2, s10, v2
	v_lshl_add_u64 v[6:7], v[2:3], 4, s[4:5]
	v_add_u32_e32 v2, s10, v2
	;; [unrolled: 2-line block ×3, first 2 shown]
	v_lshl_add_u64 v[2:3], v[2:3], 4, s[4:5]
	global_load_dwordx4 v[10:13], v[4:5], off nt
	global_load_dwordx4 v[14:17], v[6:7], off nt
	s_nop 0
	global_load_dwordx4 v[6:9], v[8:9], off nt
	s_nop 0
	global_load_dwordx4 v[66:69], v[2:3], off nt
.LBB9_2:
	s_or_b64 exec, exec, s[8:9]
	v_lshlrev_b32_e32 v1, 4, v0
	global_load_dwordx4 v[118:121], v1, s[6:7]
	s_waitcnt vmcnt(15)
	v_and_b32_e32 v75, 0xffff0000, v63
	v_and_b32_e32 v74, 0xffff0000, v59
	v_lshlrev_b32_e32 v71, 16, v62
	v_and_b32_e32 v3, 0xffff0000, v62
	v_lshlrev_b32_e32 v70, 16, v58
	v_and_b32_e32 v2, 0xffff0000, v58
	scratch_store_dwordx2 off, v[74:75], off offset:16 ; 8-byte Folded Spill
	v_lshlrev_b32_e32 v77, 16, v63
	scratch_store_dwordx2 off, v[2:3], off offset:8 ; 8-byte Folded Spill
	v_lshlrev_b32_e32 v76, 16, v59
	s_waitcnt vmcnt(12)
	v_lshlrev_b32_e32 v84, 16, v36
	v_and_b32_e32 v82, 0xffff0000, v36
	s_waitcnt vmcnt(10)
	v_lshlrev_b32_e32 v36, 16, v26
	v_and_b32_e32 v126, 0xffff0000, v26
	v_lshlrev_b32_e32 v59, 16, v54
	v_and_b32_e32 v115, 0xffff0000, v54
	;; [unrolled: 2-line block ×5, first 2 shown]
	s_waitcnt vmcnt(9)
	v_lshlrev_b32_e32 v55, 16, v32
	v_and_b32_e32 v53, 0xffff0000, v32
	v_lshlrev_b32_e32 v54, 16, v28
	v_and_b32_e32 v52, 0xffff0000, v28
	v_and_b32_e32 v5, 0xffff0000, v64
	v_and_b32_e32 v4, 0xffff0000, v60
	scratch_store_dwordx2 off, v[4:5], off  ; 8-byte Folded Spill
	s_waitcnt vmcnt(8)
	v_lshlrev_b32_e32 v3, 16, v22
	v_lshlrev_b32_e32 v2, 16, v18
	;; [unrolled: 1-line block ×3, first 2 shown]
	v_and_b32_e32 v114, 0xffff0000, v50
	v_lshlrev_b32_e32 v96, 16, v44
	v_and_b32_e32 v94, 0xffff0000, v44
	v_lshlrev_b32_e32 v50, 16, v42
	;; [unrolled: 2-line block ×4, first 2 shown]
	v_and_b32_e32 v90, 0xffff0000, v45
	v_and_b32_e32 v5, 0xffff0000, v22
	v_lshlrev_b32_e32 v45, 16, v24
	v_and_b32_e32 v43, 0xffff0000, v24
	v_lshlrev_b32_e32 v44, 16, v20
	v_and_b32_e32 v42, 0xffff0000, v20
	v_and_b32_e32 v4, 0xffff0000, v18
	v_lshlrev_b32_e32 v73, 16, v64
	v_lshlrev_b32_e32 v63, 16, v65
	v_and_b32_e32 v65, 0xffff0000, v65
	v_and_b32_e32 v64, 0xffff0000, v61
	v_mbcnt_lo_u32_b32 v1, -1, 0
	v_lshlrev_b32_e32 v72, 16, v60
	v_lshlrev_b32_e32 v112, 16, v51
	v_and_b32_e32 v110, 0xffff0000, v51
	v_lshlrev_b32_e32 v51, 16, v46
	v_and_b32_e32 v117, 0xffff0000, v46
	;; [unrolled: 2-line block ×4, first 2 shown]
	v_lshlrev_b32_e32 v62, 16, v61
	v_lshlrev_b32_e32 v123, 16, v38
	v_and_b32_e32 v125, 0xffff0000, v38
	v_lshlrev_b32_e32 v85, 16, v40
	v_and_b32_e32 v83, 0xffff0000, v40
	;; [unrolled: 2-line block ×8, first 2 shown]
	v_lshlrev_b32_e32 v89, 16, v39
	s_waitcnt vmcnt(3)
	v_lshlrev_b32_e32 v74, 16, v118
	v_lshlrev_b32_e32 v26, 16, v119
	v_pk_mul_f32 v[70:71], v[74:75], v[70:71] op_sel_hi:[0,1]
	v_pk_fma_f32 v[70:71], v[76:77], v[26:27], v[70:71] op_sel_hi:[1,0,1]
	scratch_load_dwordx2 v[76:77], off, off offset:8 ; 8-byte Folded Reload
	v_and_b32_e32 v32, 0xffff0000, v118
	v_and_b32_e32 v28, 0xffff0000, v119
	scratch_load_dwordx2 v[118:119], off, off offset:16 ; 8-byte Folded Reload
	v_lshlrev_b32_e32 v24, 16, v120
	v_and_b32_e32 v22, 0xffff0000, v120
	v_lshlrev_b32_e32 v20, 16, v121
	v_and_b32_e32 v18, 0xffff0000, v121
	v_pk_fma_f32 v[72:73], v[72:73], v[24:25], v[70:71] op_sel_hi:[1,0,1]
	v_and_b32_e32 v87, 0xffff0000, v39
	v_pk_fma_f32 v[62:63], v[62:63], v[20:21], v[72:73] op_sel_hi:[1,0,1]
	v_lshlrev_b32_e32 v81, 16, v41
	v_and_b32_e32 v79, 0xffff0000, v41
	v_lshlrev_b32_e32 v41, 16, v25
	v_and_b32_e32 v39, 0xffff0000, v25
	;; [unrolled: 2-line block ×3, first 2 shown]
	v_lshlrev_b32_e32 v37, 16, v30
	v_lshlrev_b32_e32 v122, 16, v34
	v_pk_mul_f32 v[58:59], v[74:75], v[58:59] op_sel_hi:[0,1]
	v_pk_mul_f32 v[50:51], v[74:75], v[50:51] op_sel_hi:[0,1]
	;; [unrolled: 1-line block ×3, first 2 shown]
	v_lshlrev_b32_e32 v105, 16, v57
	v_and_b32_e32 v103, 0xffff0000, v57
	v_and_b32_e32 v124, 0xffff0000, v34
	v_lshlrev_b32_e32 v88, 16, v35
	v_and_b32_e32 v86, 0xffff0000, v35
	v_and_b32_e32 v127, 0xffff0000, v30
	v_lshlrev_b32_e32 v61, 16, v31
	v_and_b32_e32 v57, 0xffff0000, v31
	v_pk_mul_f32 v[72:73], v[32:33], v[126:127] op_sel_hi:[0,1]
	v_pk_fma_f32 v[56:57], v[56:57], v[28:29], v[72:73] op_sel_hi:[1,0,1]
	v_lshlrev_b32_e32 v35, 16, v33
	v_and_b32_e32 v31, 0xffff0000, v33
	v_lshlrev_b32_e32 v34, 16, v29
	v_and_b32_e32 v30, 0xffff0000, v29
	s_load_dword s3, s[0:1], 0x2c
	s_waitcnt vmcnt(1)
	v_pk_mul_f32 v[76:77], v[32:33], v[76:77] op_sel_hi:[0,1]
	s_waitcnt vmcnt(0)
	v_pk_fma_f32 v[120:121], v[118:119], v[28:29], v[76:77] op_sel_hi:[1,0,1]
	v_pk_mul_f32 v[76:77], v[74:75], v[2:3] op_sel_hi:[0,1]
	scratch_load_dwordx2 v[2:3], off, off   ; 8-byte Folded Reload
	v_pk_mul_f32 v[118:119], v[74:75], v[36:37] op_sel_hi:[0,1]
	v_lshlrev_b32_e32 v37, 16, v14
	v_lshlrev_b32_e32 v36, 16, v10
	s_waitcnt vmcnt(0)
	v_pk_fma_f32 v[2:3], v[2:3], v[22:23], v[120:121] op_sel_hi:[1,0,1]
	s_nop 0
	v_pk_fma_f32 v[2:3], v[64:65], v[18:19], v[2:3] op_sel_hi:[1,0,1]
	v_mbcnt_hi_u32_b32 v19, -1, v1
	v_and_b32_e32 v1, 64, v19
	v_add_u32_e32 v21, 64, v1
	v_xor_b32_e32 v1, 32, v19
	v_cmp_lt_i32_e64 s[4:5], v1, v21
	v_pk_add_f32 v[2:3], v[62:63], v[2:3]
	v_xor_b32_e32 v23, 16, v19
	v_cndmask_b32_e64 v1, v19, v1, s[4:5]
	v_cndmask_b32_e32 v3, 0, v3, vcc
	v_cndmask_b32_e32 v2, 0, v2, vcc
	v_lshlrev_b32_e32 v1, 2, v1
	ds_bpermute_b32 v62, v1, v2
	ds_bpermute_b32 v63, v1, v3
	v_cmp_lt_i32_e64 s[4:5], v23, v21
	v_pk_mul_f32 v[120:121], v[74:75], v[36:37] op_sel_hi:[0,1]
	v_lshlrev_b32_e32 v37, 16, v66
	v_cndmask_b32_e64 v23, v19, v23, s[4:5]
	s_waitcnt lgkmcnt(0)
	v_pk_add_f32 v[2:3], v[2:3], v[62:63]
	v_lshlrev_b32_e32 v27, 2, v23
	ds_bpermute_b32 v62, v27, v2
	ds_bpermute_b32 v63, v27, v3
	v_xor_b32_e32 v23, 8, v19
	v_cmp_lt_i32_e64 s[4:5], v23, v21
	v_lshlrev_b32_e32 v36, 16, v6
	v_pk_mul_f32 v[36:37], v[74:75], v[36:37] op_sel_hi:[0,1]
	v_cndmask_b32_e64 v23, v19, v23, s[4:5]
	s_waitcnt lgkmcnt(0)
	v_pk_add_f32 v[2:3], v[2:3], v[62:63]
	v_lshlrev_b32_e32 v25, 2, v23
	ds_bpermute_b32 v62, v25, v2
	ds_bpermute_b32 v63, v25, v3
	v_pk_mul_f32 v[74:75], v[32:33], v[114:115] op_sel_hi:[0,1]
	v_pk_fma_f32 v[58:59], v[112:113], v[26:27], v[58:59] op_sel_hi:[1,0,1]
	v_pk_mul_f32 v[64:65], v[32:33], v[4:5] op_sel_hi:[0,1]
	v_and_b32_e32 v4, 0xffff0000, v10
	s_waitcnt lgkmcnt(0)
	v_pk_add_f32 v[2:3], v[2:3], v[62:63]
	v_pk_fma_f32 v[62:63], v[110:111], v[28:29], v[74:75] op_sel_hi:[1,0,1]
	v_xor_b32_e32 v10, 4, v19
	v_pk_fma_f32 v[58:59], v[108:109], v[24:25], v[58:59] op_sel_hi:[1,0,1]
	v_pk_fma_f32 v[62:63], v[106:107], v[22:23], v[62:63] op_sel_hi:[1,0,1]
	v_cmp_lt_i32_e64 s[4:5], v10, v21
	v_pk_fma_f32 v[58:59], v[104:105], v[20:21], v[58:59] op_sel_hi:[1,0,1]
	v_pk_fma_f32 v[62:63], v[102:103], v[18:19], v[62:63] op_sel_hi:[1,0,1]
	v_cndmask_b32_e64 v10, v19, v10, s[4:5]
	v_pk_add_f32 v[58:59], v[58:59], v[62:63]
	v_lshlrev_b32_e32 v10, 2, v10
	v_cndmask_b32_e32 v59, 0, v59, vcc
	v_cndmask_b32_e32 v58, 0, v58, vcc
	ds_bpermute_b32 v74, v10, v2
	ds_bpermute_b32 v75, v10, v3
	;; [unrolled: 1-line block ×4, first 2 shown]
	v_pk_mul_f32 v[114:115], v[32:33], v[116:117] op_sel_hi:[0,1]
	v_pk_fma_f32 v[50:51], v[100:101], v[26:27], v[50:51] op_sel_hi:[1,0,1]
	s_waitcnt lgkmcnt(2)
	v_pk_add_f32 v[74:75], v[2:3], v[74:75]
	v_pk_fma_f32 v[50:51], v[96:97], v[24:25], v[50:51] op_sel_hi:[1,0,1]
	s_waitcnt lgkmcnt(0)
	v_pk_add_f32 v[2:3], v[58:59], v[62:63]
	v_pk_fma_f32 v[62:63], v[98:99], v[28:29], v[114:115] op_sel_hi:[1,0,1]
	v_pk_fma_f32 v[50:51], v[92:93], v[20:21], v[50:51] op_sel_hi:[1,0,1]
	;; [unrolled: 1-line block ×3, first 2 shown]
	v_pk_mul_f32 v[116:117], v[32:33], v[124:125] op_sel_hi:[0,1]
	v_pk_fma_f32 v[62:63], v[90:91], v[18:19], v[62:63] op_sel_hi:[1,0,1]
	v_pk_fma_f32 v[70:71], v[88:89], v[26:27], v[70:71] op_sel_hi:[1,0,1]
	v_pk_add_f32 v[50:51], v[50:51], v[62:63]
	v_pk_fma_f32 v[86:87], v[86:87], v[28:29], v[116:117] op_sel_hi:[1,0,1]
	v_cndmask_b32_e32 v51, 0, v51, vcc
	v_cndmask_b32_e32 v50, 0, v50, vcc
	ds_bpermute_b32 v62, v1, v50
	ds_bpermute_b32 v63, v1, v51
	v_pk_fma_f32 v[70:71], v[84:85], v[24:25], v[70:71] op_sel_hi:[1,0,1]
	v_pk_fma_f32 v[82:83], v[82:83], v[22:23], v[86:87] op_sel_hi:[1,0,1]
	v_pk_fma_f32 v[70:71], v[80:81], v[20:21], v[70:71] op_sel_hi:[1,0,1]
	v_pk_fma_f32 v[78:79], v[78:79], v[18:19], v[82:83] op_sel_hi:[1,0,1]
	s_waitcnt lgkmcnt(0)
	v_pk_add_f32 v[50:51], v[50:51], v[62:63]
	ds_bpermute_b32 v62, v27, v50
	ds_bpermute_b32 v63, v27, v51
	v_pk_add_f32 v[70:71], v[70:71], v[78:79]
	ds_bpermute_b32 v58, v27, v2
	v_cndmask_b32_e32 v71, 0, v71, vcc
	v_cndmask_b32_e32 v70, 0, v70, vcc
	s_waitcnt lgkmcnt(1)
	v_pk_add_f32 v[50:51], v[50:51], v[62:63]
	ds_bpermute_b32 v62, v25, v50
	ds_bpermute_b32 v63, v25, v51
	;; [unrolled: 1-line block ×5, first 2 shown]
	v_pk_fma_f32 v[60:61], v[60:61], v[26:27], v[118:119] op_sel_hi:[1,0,1]
	s_waitcnt lgkmcnt(3)
	v_pk_add_f32 v[50:51], v[50:51], v[62:63]
	ds_bpermute_b32 v62, v10, v50
	s_waitcnt lgkmcnt(2)
	v_pk_add_f32 v[70:71], v[70:71], v[78:79]
	ds_bpermute_b32 v63, v10, v51
	ds_bpermute_b32 v78, v27, v70
	ds_bpermute_b32 v79, v27, v71
	v_and_b32_e32 v102, 0xffff0000, v6
	v_xor_b32_e32 v6, 2, v19
	v_pk_fma_f32 v[54:55], v[54:55], v[24:25], v[60:61] op_sel_hi:[1,0,1]
	v_pk_fma_f32 v[52:53], v[52:53], v[22:23], v[56:57] op_sel_hi:[1,0,1]
	v_cmp_lt_i32_e64 s[4:5], v6, v21
	v_pk_fma_f32 v[34:35], v[34:35], v[20:21], v[54:55] op_sel_hi:[1,0,1]
	v_pk_fma_f32 v[30:31], v[30:31], v[18:19], v[52:53] op_sel_hi:[1,0,1]
	v_cndmask_b32_e64 v6, v19, v6, s[4:5]
	v_pk_add_f32 v[30:31], v[34:35], v[30:31]
	s_waitcnt lgkmcnt(4)
	v_pk_add_f32 v[58:59], v[2:3], v[58:59]
	v_lshlrev_b32_e32 v2, 2, v6
	s_waitcnt lgkmcnt(2)
	v_pk_add_f32 v[50:51], v[50:51], v[62:63]
	s_waitcnt lgkmcnt(0)
	v_pk_add_f32 v[70:71], v[70:71], v[78:79]
	v_cndmask_b32_e32 v31, 0, v31, vcc
	v_cndmask_b32_e32 v30, 0, v30, vcc
	ds_bpermute_b32 v80, v2, v50
	ds_bpermute_b32 v81, v2, v51
	;; [unrolled: 1-line block ×6, first 2 shown]
	v_xor_b32_e32 v3, 1, v19
	v_cmp_lt_i32_e64 s[4:5], v3, v21
	s_waitcnt lgkmcnt(4)
	v_pk_add_f32 v[50:51], v[50:51], v[80:81]
	s_waitcnt lgkmcnt(2)
	v_pk_add_f32 v[52:53], v[70:71], v[56:57]
	v_cndmask_b32_e64 v3, v19, v3, s[4:5]
	v_lshlrev_b32_e32 v3, 2, v3
	s_waitcnt lgkmcnt(0)
	v_pk_add_f32 v[56:57], v[30:31], v[34:35]
	ds_bpermute_b32 v60, v3, v50
	ds_bpermute_b32 v61, v3, v51
	;; [unrolled: 1-line block ×6, first 2 shown]
	v_pk_fma_f32 v[48:49], v[48:49], v[26:27], v[76:77] op_sel_hi:[1,0,1]
	v_pk_fma_f32 v[46:47], v[46:47], v[28:29], v[64:65] op_sel_hi:[1,0,1]
	v_and_b32_e32 v23, 63, v0
	v_pk_fma_f32 v[44:45], v[44:45], v[24:25], v[48:49] op_sel_hi:[1,0,1]
	v_pk_fma_f32 v[42:43], v[42:43], v[22:23], v[46:47] op_sel_hi:[1,0,1]
	;; [unrolled: 1-line block ×4, first 2 shown]
	s_waitcnt lgkmcnt(4)
	v_pk_add_f32 v[34:35], v[50:51], v[60:61]
	v_pk_add_f32 v[38:39], v[40:41], v[38:39]
	s_waitcnt lgkmcnt(2)
	v_pk_add_f32 v[50:51], v[52:53], v[54:55]
	s_waitcnt lgkmcnt(0)
	v_pk_add_f32 v[52:53], v[56:57], v[70:71]
	v_cndmask_b32_e32 v39, 0, v39, vcc
	v_cndmask_b32_e32 v38, 0, v38, vcc
	ds_bpermute_b32 v44, v25, v52
	ds_bpermute_b32 v45, v25, v53
	;; [unrolled: 1-line block ×6, first 2 shown]
	s_waitcnt lgkmcnt(4)
	v_pk_add_f32 v[44:45], v[52:53], v[44:45]
	ds_bpermute_b32 v48, v10, v44
	s_waitcnt lgkmcnt(3)
	v_pk_add_f32 v[38:39], v[38:39], v[40:41]
	ds_bpermute_b32 v49, v10, v45
	ds_bpermute_b32 v40, v27, v38
	;; [unrolled: 1-line block ×3, first 2 shown]
	v_and_b32_e32 v5, 0xffff0000, v14
	v_pk_mul_f32 v[4:5], v[32:33], v[4:5] op_sel_hi:[0,1]
	s_waitcnt lgkmcnt(2)
	v_pk_add_f32 v[44:45], v[44:45], v[48:49]
	ds_bpermute_b32 v48, v2, v44
	s_waitcnt lgkmcnt(1)
	v_pk_add_f32 v[52:53], v[38:39], v[40:41]
	ds_bpermute_b32 v49, v2, v45
	ds_bpermute_b32 v54, v25, v52
	;; [unrolled: 1-line block ×3, first 2 shown]
	v_pk_add_f32 v[38:39], v[50:51], v[42:43]
	v_lshlrev_b32_e32 v43, 16, v15
	s_waitcnt lgkmcnt(2)
	v_pk_add_f32 v[40:41], v[44:45], v[48:49]
	v_lshlrev_b32_e32 v42, 16, v11
	s_waitcnt lgkmcnt(0)
	v_pk_add_f32 v[44:45], v[52:53], v[54:55]
	ds_bpermute_b32 v48, v10, v44
	ds_bpermute_b32 v49, v10, v45
	v_and_b32_e32 v51, 0xffff0000, v15
	v_and_b32_e32 v50, 0xffff0000, v11
	v_lshlrev_b32_e32 v14, 16, v12
	v_and_b32_e32 v46, 0xffff0000, v12
	v_lshlrev_b32_e32 v15, 16, v16
	v_and_b32_e32 v47, 0xffff0000, v16
	v_pk_fma_f32 v[42:43], v[42:43], v[26:27], v[120:121] op_sel_hi:[1,0,1]
	v_pk_fma_f32 v[4:5], v[50:51], v[28:29], v[4:5] op_sel_hi:[1,0,1]
	v_and_b32_e32 v103, 0xffff0000, v66
	v_pk_fma_f32 v[14:15], v[14:15], v[24:25], v[42:43] op_sel_hi:[1,0,1]
	v_pk_fma_f32 v[4:5], v[46:47], v[22:23], v[4:5] op_sel_hi:[1,0,1]
	v_lshlrev_b32_e32 v47, 16, v17
	v_lshlrev_b32_e32 v46, 16, v13
	v_and_b32_e32 v17, 0xffff0000, v17
	v_and_b32_e32 v16, 0xffff0000, v13
	v_pk_mul_f32 v[62:63], v[32:33], v[102:103] op_sel_hi:[0,1]
	v_lshlrev_b32_e32 v51, 16, v67
	v_lshlrev_b32_e32 v50, 16, v7
	v_and_b32_e32 v43, 0xffff0000, v67
	v_and_b32_e32 v42, 0xffff0000, v7
	v_pk_fma_f32 v[14:15], v[46:47], v[20:21], v[14:15] op_sel_hi:[1,0,1]
	v_pk_fma_f32 v[4:5], v[16:17], v[18:19], v[4:5] op_sel_hi:[1,0,1]
	s_waitcnt lgkmcnt(0)
	v_pk_add_f32 v[44:45], v[44:45], v[48:49]
	v_lshlrev_b32_e32 v6, 16, v8
	v_and_b32_e32 v48, 0xffff0000, v8
	v_lshlrev_b32_e32 v7, 16, v68
	v_and_b32_e32 v49, 0xffff0000, v68
	v_pk_add_f32 v[4:5], v[14:15], v[4:5]
	v_pk_fma_f32 v[14:15], v[50:51], v[26:27], v[36:37] op_sel_hi:[1,0,1]
	v_pk_fma_f32 v[16:17], v[42:43], v[28:29], v[62:63] op_sel_hi:[1,0,1]
	;; [unrolled: 1-line block ×4, first 2 shown]
	v_lshlrev_b32_e32 v17, 16, v69
	v_lshlrev_b32_e32 v16, 16, v9
	v_pk_fma_f32 v[6:7], v[16:17], v[20:21], v[6:7] op_sel_hi:[1,0,1]
	v_and_b32_e32 v17, 0xffff0000, v69
	v_and_b32_e32 v16, 0xffff0000, v9
	v_pk_fma_f32 v[8:9], v[16:17], v[18:19], v[14:15] op_sel_hi:[1,0,1]
	v_cndmask_b32_e32 v5, 0, v5, vcc
	v_pk_add_f32 v[6:7], v[6:7], v[8:9]
	v_cndmask_b32_e32 v4, 0, v4, vcc
	v_cndmask_b32_e32 v7, 0, v7, vcc
	;; [unrolled: 1-line block ×3, first 2 shown]
	ds_bpermute_b32 v12, v1, v4
	ds_bpermute_b32 v13, v1, v5
	;; [unrolled: 1-line block ×6, first 2 shown]
	s_waitcnt lgkmcnt(4)
	v_pk_add_f32 v[4:5], v[4:5], v[12:13]
	ds_bpermute_b32 v12, v27, v4
	s_waitcnt lgkmcnt(3)
	v_pk_add_f32 v[6:7], v[6:7], v[8:9]
	ds_bpermute_b32 v13, v27, v5
	ds_bpermute_b32 v8, v27, v6
	;; [unrolled: 1-line block ×3, first 2 shown]
	s_waitcnt lgkmcnt(4)
	v_pk_add_f32 v[58:59], v[58:59], v[90:91]
	ds_bpermute_b32 v90, v10, v58
	s_waitcnt lgkmcnt(3)
	v_pk_add_f32 v[4:5], v[4:5], v[12:13]
	ds_bpermute_b32 v12, v25, v4
	;; [unrolled: 3-line block ×3, first 2 shown]
	ds_bpermute_b32 v8, v25, v6
	ds_bpermute_b32 v9, v25, v7
	;; [unrolled: 1-line block ×4, first 2 shown]
	s_waitcnt lgkmcnt(4)
	v_pk_add_f32 v[4:5], v[4:5], v[12:13]
	ds_bpermute_b32 v12, v10, v4
	s_waitcnt lgkmcnt(3)
	v_pk_add_f32 v[6:7], v[6:7], v[8:9]
	ds_bpermute_b32 v13, v10, v5
	ds_bpermute_b32 v8, v10, v6
	;; [unrolled: 1-line block ×3, first 2 shown]
	s_waitcnt lgkmcnt(5)
	v_pk_add_f32 v[58:59], v[58:59], v[90:91]
	ds_bpermute_b32 v93, v2, v75
	s_waitcnt lgkmcnt(3)
	v_pk_add_f32 v[4:5], v[4:5], v[12:13]
	ds_bpermute_b32 v90, v2, v58
	;; [unrolled: 3-line block ×3, first 2 shown]
	ds_bpermute_b32 v14, v2, v44
	ds_bpermute_b32 v15, v2, v45
	;; [unrolled: 1-line block ×6, first 2 shown]
	s_waitcnt lgkmcnt(8)
	v_pk_add_f32 v[32:33], v[74:75], v[92:93]
	s_waitcnt lgkmcnt(6)
	v_pk_add_f32 v[58:59], v[58:59], v[90:91]
	;; [unrolled: 2-line block ×5, first 2 shown]
	ds_bpermute_b32 v74, v3, v32
	ds_bpermute_b32 v75, v3, v33
	;; [unrolled: 1-line block ×14, first 2 shown]
	s_waitcnt lgkmcnt(12)
	v_pk_add_f32 v[30:31], v[32:33], v[74:75]
	s_waitcnt lgkmcnt(10)
	v_pk_add_f32 v[32:33], v[58:59], v[72:73]
	;; [unrolled: 2-line block ×7, first 2 shown]
	v_cmp_gt_u32_e32 vcc, 16, v23
	s_and_saveexec_b64 s[0:1], vcc
	s_cbranch_execz .LBB9_4
; %bb.3:
	v_cmp_eq_u32_e32 vcc, 1, v23
	v_lshrrev_b32_e32 v1, 4, v0
	v_and_b32_e32 v1, 60, v1
	v_cndmask_b32_e32 v12, v30, v31, vcc
	v_cmp_eq_u32_e32 vcc, 2, v23
	v_lshl_or_b32 v1, v23, 8, v1
	s_nop 0
	v_cndmask_b32_e32 v12, v12, v32, vcc
	v_cmp_eq_u32_e32 vcc, 3, v23
	s_nop 1
	v_cndmask_b32_e32 v12, v12, v33, vcc
	v_cmp_eq_u32_e32 vcc, 4, v23
	;; [unrolled: 3-line block ×13, first 2 shown]
	s_nop 1
	v_cndmask_b32_e32 v12, v12, v11, vcc
	ds_write_b32 v1, v12
.LBB9_4:
	s_or_b64 exec, exec, s[0:1]
	s_and_b32 s20, 0xffff, s3
	s_lshr_b32 s3, s20, 6
	v_cvt_f32_u32_e32 v1, s3
	v_cvt_f32_u32_e32 v12, v0
	s_waitcnt lgkmcnt(0)
	s_barrier
	v_rcp_iflag_f32_e32 v13, v1
	s_nop 0
	v_mul_f32_e32 v13, v12, v13
	v_trunc_f32_e32 v13, v13
	v_cvt_u32_f32_e32 v14, v13
	v_fma_f32 v12, -v13, v1, v12
	v_cmp_ge_f32_e64 vcc, |v12|, v1
	s_nop 1
	v_addc_co_u32_e32 v17, vcc, 0, v14, vcc
	v_cmp_gt_u16_e32 vcc, 16, v17
	s_and_saveexec_b64 s[0:1], vcc
	s_cbranch_execz .LBB9_18
; %bb.5:
	v_mul_lo_u16_e32 v1, s3, v17
	v_sub_u16_e32 v0, v0, v1
	v_and_b32_e32 v16, 0xffff, v17
	v_lshlrev_b32_e32 v0, 2, v0
	v_lshl_add_u32 v0, v16, 8, v0
	ds_read_b32 v0, v0
	v_cmp_eq_u16_e32 vcc, 15, v17
	v_cmp_eq_u16_e64 s[0:1], 7, v17
	v_cmp_eq_u16_e64 s[4:5], 6, v17
	;; [unrolled: 1-line block ×3, first 2 shown]
	s_waitcnt lgkmcnt(0)
	v_cndmask_b32_e32 v15, v11, v0, vcc
	v_cmp_eq_u16_e32 vcc, 14, v17
	v_cmp_eq_u16_e64 s[8:9], 4, v17
	v_cmp_eq_u16_e64 s[10:11], 3, v17
	v_cndmask_b32_e32 v14, v10, v0, vcc
	v_cmp_eq_u16_e32 vcc, 13, v17
	v_cmp_eq_u16_e64 s[12:13], 2, v17
	v_cmp_eq_u16_e64 s[14:15], 1, v17
	;; [unrolled: 4-line block ×3, first 2 shown]
	v_cndmask_b32_e32 v12, v8, v0, vcc
	v_cmp_eq_u16_e32 vcc, 11, v17
	s_cmpk_lt_u32 s20, 0x80
	v_cndmask_b32_e64 v9, v5, v0, s[18:19]
	v_cndmask_b32_e32 v11, v7, v0, vcc
	v_cmp_eq_u16_e32 vcc, 10, v17
	v_cndmask_b32_e64 v7, v3, v0, s[0:1]
	v_cndmask_b32_e64 v5, v35, v0, s[6:7]
	v_cndmask_b32_e32 v10, v6, v0, vcc
	v_cmp_eq_u16_e32 vcc, 8, v17
	v_cndmask_b32_e64 v6, v2, v0, s[4:5]
	v_cndmask_b32_e64 v3, v33, v0, s[10:11]
	v_cndmask_b32_e32 v8, v4, v0, vcc
	v_cndmask_b32_e64 v4, v34, v0, s[8:9]
	v_cndmask_b32_e64 v2, v32, v0, s[12:13]
	;; [unrolled: 1-line block ×4, first 2 shown]
	s_cbranch_scc1 .LBB9_8
; %bb.6:
	s_lshr_b32 s33, s20, 7
.LBB9_7:                                ; =>This Inner Loop Header: Depth=1
	v_cmp_eq_u32_e32 vcc, 1, v16
	v_cmp_eq_u32_e64 s[0:1], 2, v16
	v_cmp_eq_u32_e64 s[4:5], 3, v16
	v_cndmask_b32_e32 v18, v0, v1, vcc
	v_cndmask_b32_e64 v18, v18, v2, s[0:1]
	v_cndmask_b32_e64 v18, v18, v3, s[4:5]
	v_cmp_eq_u32_e64 s[6:7], 4, v16
	v_cmp_eq_u32_e64 s[8:9], 5, v16
	v_cmp_eq_u32_e64 s[10:11], 6, v16
	v_cndmask_b32_e64 v18, v18, v4, s[6:7]
	v_cndmask_b32_e64 v18, v18, v5, s[8:9]
	v_cndmask_b32_e64 v18, v18, v6, s[10:11]
	v_cmp_eq_u32_e64 s[12:13], 7, v16
	v_cmp_eq_u32_e64 s[14:15], 8, v16
	v_cmp_eq_u32_e64 s[16:17], 9, v16
	v_cndmask_b32_e64 v18, v18, v7, s[12:13]
	;; [unrolled: 6-line block ×3, first 2 shown]
	v_cndmask_b32_e64 v18, v18, v11, s[20:21]
	v_cndmask_b32_e64 v18, v18, v12, s[22:23]
	v_cmp_eq_u32_e64 s[24:25], 13, v16
	v_xor_b32_e32 v20, s33, v19
	v_cmp_eq_u32_e64 s[26:27], 14, v16
	v_cndmask_b32_e64 v18, v18, v13, s[24:25]
	v_cmp_lt_i32_e64 s[30:31], v20, v21
	v_cndmask_b32_e64 v18, v18, v14, s[26:27]
	v_cmp_eq_u32_e64 s[28:29], 15, v16
	v_cndmask_b32_e64 v20, v19, v20, s[30:31]
	v_lshlrev_b32_e32 v20, 2, v20
	v_cndmask_b32_e64 v18, v18, v15, s[28:29]
	ds_bpermute_b32 v20, v20, v18
	s_waitcnt lgkmcnt(0)
	v_add_f32_e32 v18, v18, v20
	v_cndmask_b32_e64 v2, v2, v18, s[0:1]
	v_cndmask_b32_e32 v1, v1, v18, vcc
	v_cmp_eq_u32_e32 vcc, 0, v16
	s_lshr_b32 s0, s33, 1
	v_cndmask_b32_e64 v15, v15, v18, s[28:29]
	v_cndmask_b32_e64 v14, v14, v18, s[26:27]
	;; [unrolled: 1-line block ×13, first 2 shown]
	v_cndmask_b32_e32 v0, v0, v18, vcc
	s_cmp_lt_u32 s33, 2
	s_mov_b32 s33, s0
	s_cbranch_scc0 .LBB9_7
.LBB9_8:
	v_cmp_eq_u32_e32 vcc, 1, v16
	s_lshl_b32 s0, s3, 1
	s_nop 0
	v_cndmask_b32_e32 v0, v0, v1, vcc
	v_cmp_eq_u32_e32 vcc, 2, v16
	v_cvt_f32_u32_e32 v1, s0
	s_nop 0
	v_cndmask_b32_e32 v0, v0, v2, vcc
	v_cmp_eq_u32_e32 vcc, 3, v16
	s_nop 1
	v_cndmask_b32_e32 v0, v0, v3, vcc
	v_cmp_eq_u32_e32 vcc, 4, v16
	v_rcp_iflag_f32_e32 v3, v1
	s_nop 0
	v_cndmask_b32_e32 v0, v0, v4, vcc
	v_cmp_eq_u32_e32 vcc, 5, v16
	v_cvt_f32_ubyte0_e32 v4, v23
	v_mul_f32_e32 v3, v4, v3
	v_cndmask_b32_e32 v0, v0, v5, vcc
	v_cmp_eq_u32_e32 vcc, 6, v16
	v_trunc_f32_e32 v3, v3
	v_cvt_u32_f32_e32 v5, v3
	v_cndmask_b32_e32 v0, v0, v6, vcc
	v_cmp_eq_u32_e32 vcc, 7, v16
	v_fma_f32 v3, -v3, v1, v4
	s_nop 0
	v_cndmask_b32_e32 v0, v0, v7, vcc
	v_cmp_eq_u32_e32 vcc, 8, v16
	s_nop 1
	v_cndmask_b32_e32 v0, v0, v8, vcc
	v_cmp_eq_u32_e32 vcc, 9, v16
	;; [unrolled: 3-line block ×8, first 2 shown]
	s_nop 1
	v_cndmask_b32_e32 v2, v0, v15, vcc
	v_xor_b32_e32 v0, s3, v19
	v_cmp_lt_i32_e32 vcc, v0, v21
	s_nop 1
	v_cndmask_b32_e32 v0, v19, v0, vcc
	v_lshlrev_b32_e32 v0, 2, v0
	v_cmp_ge_f32_e64 vcc, |v3|, v1
	ds_bpermute_b32 v0, v0, v2
	s_nop 0
	v_addc_co_u32_e32 v1, vcc, 0, v5, vcc
	v_mul_lo_u32 v1, v1, s0
	v_sub_u32_e32 v1, v23, v1
	v_and_b32_e32 v1, 0x7ff, v1
	v_cmp_eq_u32_e32 vcc, 0, v1
	s_and_b64 exec, exec, vcc
	s_cbranch_execz .LBB9_18
; %bb.9:
	s_mov_b32 s0, 0x7f800000
	v_and_b32_e32 v1, 0x7f800000, v2
	v_cmp_ne_u32_e32 vcc, s0, v1
                                        ; implicit-def: $vgpr1
	s_and_saveexec_b64 s[0:1], vcc
	s_xor_b64 s[0:1], exec, s[0:1]
; %bb.10:
	v_bfe_u32 v1, v2, 16, 1
	s_movk_i32 s3, 0x7fff
	v_add3_u32 v1, v2, v1, s3
                                        ; implicit-def: $vgpr2
; %bb.11:
	s_andn2_saveexec_b64 s[0:1], s[0:1]
; %bb.12:
	v_mov_b32_e32 v1, 0
	v_or_b32_e32 v3, 0x10000, v2
	v_cmp_eq_u32_sdwa vcc, v2, v1 src0_sel:WORD_0 src1_sel:DWORD
	s_nop 1
	v_cndmask_b32_e32 v1, v3, v2, vcc
; %bb.13:
	s_or_b64 exec, exec, s[0:1]
	s_mov_b32 s0, 0x7f800000
	s_waitcnt lgkmcnt(0)
	v_and_b32_e32 v2, 0x7f800000, v0
	v_cmp_ne_u32_e32 vcc, s0, v2
                                        ; implicit-def: $vgpr2
	s_and_saveexec_b64 s[0:1], vcc
	s_xor_b64 s[0:1], exec, s[0:1]
; %bb.14:
	v_bfe_u32 v2, v0, 16, 1
	s_movk_i32 s3, 0x7fff
	v_add3_u32 v2, v0, v2, s3
                                        ; implicit-def: $vgpr0
; %bb.15:
	s_andn2_saveexec_b64 s[0:1], s[0:1]
; %bb.16:
	v_mov_b32_e32 v2, 0
	v_or_b32_e32 v3, 0x10000, v0
	v_cmp_eq_u32_sdwa vcc, v0, v2 src0_sel:WORD_0 src1_sel:DWORD
	s_nop 1
	v_cndmask_b32_e32 v2, v3, v0, vcc
; %bb.17:
	s_or_b64 exec, exec, s[0:1]
	s_lshl_b32 s0, s2, 3
	s_and_b32 s0, s0, 0x7ffffff8
	v_lshrrev_b16_e32 v0, 1, v17
	v_mov_b32_e32 v4, s34
	v_mov_b32_e32 v5, s35
	v_or_b32_e32 v6, s0, v0
	v_mov_b32_e32 v7, 0
	s_mov_b32 s0, 0x7060302
	v_lshl_add_u64 v[4:5], v[6:7], 2, v[4:5]
	v_perm_b32 v0, v2, v1, s0
	global_store_dword v[4:5], v0, off
.LBB9_18:
	s_endpgm
	.section	.rodata,"a",@progbits
	.p2align	6, 0x0
	.amdhsa_kernel _ZN5aiter14LLGemm1_kernelI12hip_bfloat16Li16EEEvPKT_S4_PS2_i
		.amdhsa_group_segment_fixed_size 4096
		.amdhsa_private_segment_fixed_size 28
		.amdhsa_kernarg_size 288
		.amdhsa_user_sgpr_count 2
		.amdhsa_user_sgpr_dispatch_ptr 0
		.amdhsa_user_sgpr_queue_ptr 0
		.amdhsa_user_sgpr_kernarg_segment_ptr 1
		.amdhsa_user_sgpr_dispatch_id 0
		.amdhsa_user_sgpr_kernarg_preload_length 0
		.amdhsa_user_sgpr_kernarg_preload_offset 0
		.amdhsa_user_sgpr_private_segment_size 0
		.amdhsa_uses_dynamic_stack 0
		.amdhsa_enable_private_segment 1
		.amdhsa_system_sgpr_workgroup_id_x 1
		.amdhsa_system_sgpr_workgroup_id_y 0
		.amdhsa_system_sgpr_workgroup_id_z 0
		.amdhsa_system_sgpr_workgroup_info 0
		.amdhsa_system_vgpr_workitem_id 0
		.amdhsa_next_free_vgpr 128
		.amdhsa_next_free_sgpr 36
		.amdhsa_accum_offset 128
		.amdhsa_reserve_vcc 1
		.amdhsa_float_round_mode_32 0
		.amdhsa_float_round_mode_16_64 0
		.amdhsa_float_denorm_mode_32 3
		.amdhsa_float_denorm_mode_16_64 3
		.amdhsa_dx10_clamp 1
		.amdhsa_ieee_mode 1
		.amdhsa_fp16_overflow 0
		.amdhsa_tg_split 0
		.amdhsa_exception_fp_ieee_invalid_op 0
		.amdhsa_exception_fp_denorm_src 0
		.amdhsa_exception_fp_ieee_div_zero 0
		.amdhsa_exception_fp_ieee_overflow 0
		.amdhsa_exception_fp_ieee_underflow 0
		.amdhsa_exception_fp_ieee_inexact 0
		.amdhsa_exception_int_div_zero 0
	.end_amdhsa_kernel
	.section	.text._ZN5aiter14LLGemm1_kernelI12hip_bfloat16Li16EEEvPKT_S4_PS2_i,"axG",@progbits,_ZN5aiter14LLGemm1_kernelI12hip_bfloat16Li16EEEvPKT_S4_PS2_i,comdat
.Lfunc_end9:
	.size	_ZN5aiter14LLGemm1_kernelI12hip_bfloat16Li16EEEvPKT_S4_PS2_i, .Lfunc_end9-_ZN5aiter14LLGemm1_kernelI12hip_bfloat16Li16EEEvPKT_S4_PS2_i
                                        ; -- End function
	.section	.AMDGPU.csdata,"",@progbits
; Kernel info:
; codeLenInByte = 4980
; NumSgprs: 42
; NumVgprs: 128
; NumAgprs: 0
; TotalNumVgprs: 128
; ScratchSize: 28
; MemoryBound: 0
; FloatMode: 240
; IeeeMode: 1
; LDSByteSize: 4096 bytes/workgroup (compile time only)
; SGPRBlocks: 5
; VGPRBlocks: 15
; NumSGPRsForWavesPerEU: 42
; NumVGPRsForWavesPerEU: 128
; AccumOffset: 128
; Occupancy: 4
; WaveLimiterHint : 0
; COMPUTE_PGM_RSRC2:SCRATCH_EN: 1
; COMPUTE_PGM_RSRC2:USER_SGPR: 2
; COMPUTE_PGM_RSRC2:TRAP_HANDLER: 0
; COMPUTE_PGM_RSRC2:TGID_X_EN: 1
; COMPUTE_PGM_RSRC2:TGID_Y_EN: 0
; COMPUTE_PGM_RSRC2:TGID_Z_EN: 0
; COMPUTE_PGM_RSRC2:TIDIG_COMP_CNT: 0
; COMPUTE_PGM_RSRC3_GFX90A:ACCUM_OFFSET: 31
; COMPUTE_PGM_RSRC3_GFX90A:TG_SPLIT: 0
	.section	.text._ZN5aiter32wv_splitk_small_fp16_bf16_kernelI6__halfLi64ELi1ELi1ELi8ELi4ELi1EEEviiPKT_S4_PS2_ii,"axG",@progbits,_ZN5aiter32wv_splitk_small_fp16_bf16_kernelI6__halfLi64ELi1ELi1ELi8ELi4ELi1EEEviiPKT_S4_PS2_ii,comdat
	.protected	_ZN5aiter32wv_splitk_small_fp16_bf16_kernelI6__halfLi64ELi1ELi1ELi8ELi4ELi1EEEviiPKT_S4_PS2_ii ; -- Begin function _ZN5aiter32wv_splitk_small_fp16_bf16_kernelI6__halfLi64ELi1ELi1ELi8ELi4ELi1EEEviiPKT_S4_PS2_ii
	.globl	_ZN5aiter32wv_splitk_small_fp16_bf16_kernelI6__halfLi64ELi1ELi1ELi8ELi4ELi1EEEviiPKT_S4_PS2_ii
	.p2align	8
	.type	_ZN5aiter32wv_splitk_small_fp16_bf16_kernelI6__halfLi64ELi1ELi1ELi8ELi4ELi1EEEviiPKT_S4_PS2_ii,@function
_ZN5aiter32wv_splitk_small_fp16_bf16_kernelI6__halfLi64ELi1ELi1ELi8ELi4ELi1EEEviiPKT_S4_PS2_ii: ; @_ZN5aiter32wv_splitk_small_fp16_bf16_kernelI6__halfLi64ELi1ELi1ELi8ELi4ELi1EEEviiPKT_S4_PS2_ii
; %bb.0:
	s_load_dwordx2 s[4:5], s[0:1], 0x20
	s_load_dwordx2 s[6:7], s[0:1], 0x0
	v_bfe_u32 v1, v0, 10, 10
	s_waitcnt lgkmcnt(0)
	s_mul_i32 s2, s2, s4
	v_add_u32_e32 v32, s2, v1
	v_cmp_gt_u32_e32 vcc, s7, v32
	s_and_saveexec_b64 s[2:3], vcc
	s_cbranch_execz .LBB10_25
; %bb.1:
	v_and_b32_e32 v0, 0x3ff, v0
	s_load_dwordx4 s[8:11], s[0:1], 0x8
	s_load_dwordx2 s[12:13], s[0:1], 0x18
	v_lshlrev_b32_e32 v34, 3, v0
	s_cmp_lg_u32 s6, 0
	v_mad_u64_u32 v[36:37], s[2:3], s6, v32, v[34:35]
	s_cselect_b64 s[2:3], -1, 0
	v_cmp_eq_u32_e64 s[0:1], 63, v0
	s_mul_i32 s24, s5, s4
	v_cndmask_b32_e64 v0, 0, 1, s[2:3]
	s_mul_i32 s25, s24, s6
	s_mov_b64 s[14:15], 0
	v_cmp_ne_u32_e64 s[2:3], 1, v0
	v_mov_b32_e32 v39, 0
                                        ; implicit-def: $vgpr0_vgpr1_vgpr2_vgpr3
                                        ; implicit-def: $vgpr4_vgpr5_vgpr6_vgpr7
                                        ; implicit-def: $vgpr8_vgpr9_vgpr10_vgpr11
                                        ; implicit-def: $vgpr12_vgpr13_vgpr14_vgpr15
                                        ; implicit-def: $vgpr18_vgpr19
                                        ; implicit-def: $vgpr22_vgpr23
                                        ; implicit-def: $vgpr26_vgpr27
                                        ; implicit-def: $vgpr30_vgpr31
	s_branch .LBB10_3
.LBB10_2:                               ;   in Loop: Header=BB10_3 Depth=1
	s_or_b64 exec, exec, s[4:5]
	v_add_u32_e32 v32, s24, v32
	v_cmp_le_u32_e32 vcc, s7, v32
	s_or_b64 s[14:15], vcc, s[14:15]
	v_add_u32_e32 v36, s25, v36
	s_andn2_b64 exec, exec, s[14:15]
	s_cbranch_execz .LBB10_25
.LBB10_3:                               ; =>This Loop Header: Depth=1
                                        ;     Child Loop BB10_9 Depth 2
	s_and_b64 vcc, exec, s[2:3]
	s_cbranch_vccnz .LBB10_22
; %bb.4:                                ;   in Loop: Header=BB10_3 Depth=1
	s_mov_b32 s26, 0
	v_mov_b32_e32 v33, 0
	s_branch .LBB10_9
.LBB10_5:                               ;   in Loop: Header=BB10_9 Depth=2
	s_or_b64 exec, exec, s[20:21]
.LBB10_6:                               ;   in Loop: Header=BB10_9 Depth=2
	s_or_b64 exec, exec, s[18:19]
.LBB10_7:                               ;   in Loop: Header=BB10_9 Depth=2
	s_or_b64 exec, exec, s[16:17]
.LBB10_8:                               ;   in Loop: Header=BB10_9 Depth=2
	s_or_b64 exec, exec, s[4:5]
	s_addk_i32 s26, 0x800
	s_cmp_lt_u32 s26, s6
	s_cbranch_scc0 .LBB10_23
.LBB10_9:                               ;   Parent Loop BB10_3 Depth=1
                                        ; =>  This Inner Loop Header: Depth=2
	v_add_u32_e32 v40, s26, v34
	v_cmp_gt_u32_e32 vcc, s6, v40
	v_add_u32_e32 v42, 0x200, v40
	s_and_saveexec_b64 s[16:17], vcc
	s_cbranch_execnz .LBB10_11
; %bb.10:                               ;   in Loop: Header=BB10_9 Depth=2
	s_or_b64 exec, exec, s[16:17]
	s_and_saveexec_b64 s[4:5], vcc
	s_cbranch_execz .LBB10_8
	s_branch .LBB10_18
.LBB10_11:                              ;   in Loop: Header=BB10_9 Depth=2
	v_add_u32_e32 v38, s26, v36
	v_mov_b32_e32 v41, v39
	s_waitcnt vmcnt(1) lgkmcnt(0)
	v_lshl_add_u64 v[12:13], v[38:39], 1, s[8:9]
	s_waitcnt vmcnt(0)
	v_lshl_add_u64 v[28:29], v[40:41], 1, s[10:11]
	global_load_dwordx4 v[12:15], v[12:13], off nt
	v_cmp_gt_u32_e64 s[4:5], s6, v42
	global_load_dwordx4 v[28:31], v[28:29], off
	s_and_saveexec_b64 s[18:19], s[4:5]
	s_cbranch_execz .LBB10_17
; %bb.12:                               ;   in Loop: Header=BB10_9 Depth=2
	v_add_u32_e32 v8, 0x200, v38
	v_mov_b32_e32 v9, v39
	v_mov_b32_e32 v43, v39
	v_lshl_add_u64 v[8:9], v[8:9], 1, s[8:9]
	v_lshl_add_u64 v[24:25], v[42:43], 1, s[10:11]
	global_load_dwordx4 v[8:11], v[8:9], off nt
	v_add_u32_e32 v44, 0x400, v40
	global_load_dwordx4 v[24:27], v[24:25], off
	v_cmp_gt_u32_e64 s[4:5], s6, v44
	s_and_saveexec_b64 s[20:21], s[4:5]
	s_cbranch_execz .LBB10_16
; %bb.13:                               ;   in Loop: Header=BB10_9 Depth=2
	v_add_u32_e32 v4, 0x400, v38
	v_mov_b32_e32 v5, v39
	v_mov_b32_e32 v45, v39
	v_lshl_add_u64 v[4:5], v[4:5], 1, s[8:9]
	v_lshl_add_u64 v[20:21], v[44:45], 1, s[10:11]
	global_load_dwordx4 v[4:7], v[4:5], off nt
	v_add_u32_e32 v44, 0x600, v40
	global_load_dwordx4 v[20:23], v[20:21], off
	v_cmp_gt_u32_e64 s[4:5], s6, v44
	s_and_saveexec_b64 s[22:23], s[4:5]
	s_cbranch_execz .LBB10_15
; %bb.14:                               ;   in Loop: Header=BB10_9 Depth=2
	v_add_u32_e32 v38, 0x600, v38
	v_mov_b32_e32 v45, v39
	v_lshl_add_u64 v[0:1], v[38:39], 1, s[8:9]
	v_lshl_add_u64 v[16:17], v[44:45], 1, s[10:11]
	global_load_dwordx4 v[0:3], v[0:1], off nt
	s_nop 0
	global_load_dwordx4 v[16:19], v[16:17], off
.LBB10_15:                              ;   in Loop: Header=BB10_9 Depth=2
	s_or_b64 exec, exec, s[22:23]
.LBB10_16:                              ;   in Loop: Header=BB10_9 Depth=2
	s_or_b64 exec, exec, s[20:21]
.LBB10_17:                              ;   in Loop: Header=BB10_9 Depth=2
	s_or_b64 exec, exec, s[18:19]
	s_or_b64 exec, exec, s[16:17]
	s_and_saveexec_b64 s[4:5], vcc
	s_cbranch_execz .LBB10_8
.LBB10_18:                              ;   in Loop: Header=BB10_9 Depth=2
	s_waitcnt vmcnt(0)
	;;#ASMSTART
	v_dot2c_f32_f16 v33, v28, v12
	;;#ASMEND
	v_cmp_gt_u32_e32 vcc, s6, v42
	;;#ASMSTART
	v_dot2c_f32_f16 v33, v29, v13
	;;#ASMEND
	s_nop 0
	;;#ASMSTART
	v_dot2c_f32_f16 v33, v30, v14
	;;#ASMEND
	s_nop 0
	;;#ASMSTART
	v_dot2c_f32_f16 v33, v31, v15
	;;#ASMEND
	s_and_saveexec_b64 s[16:17], vcc
	s_cbranch_execz .LBB10_7
; %bb.19:                               ;   in Loop: Header=BB10_9 Depth=2
	;;#ASMSTART
	v_dot2c_f32_f16 v33, v24, v8
	;;#ASMEND
	v_add_u32_e32 v35, 0x400, v40
	;;#ASMSTART
	v_dot2c_f32_f16 v33, v25, v9
	;;#ASMEND
	v_cmp_gt_u32_e32 vcc, s6, v35
	;;#ASMSTART
	v_dot2c_f32_f16 v33, v26, v10
	;;#ASMEND
	s_nop 0
	;;#ASMSTART
	v_dot2c_f32_f16 v33, v27, v11
	;;#ASMEND
	s_and_saveexec_b64 s[18:19], vcc
	s_cbranch_execz .LBB10_6
; %bb.20:                               ;   in Loop: Header=BB10_9 Depth=2
	;;#ASMSTART
	v_dot2c_f32_f16 v33, v20, v4
	;;#ASMEND
	v_add_u32_e32 v35, 0x600, v40
	;;#ASMSTART
	v_dot2c_f32_f16 v33, v21, v5
	;;#ASMEND
	v_cmp_gt_u32_e32 vcc, s6, v35
	;;#ASMSTART
	v_dot2c_f32_f16 v33, v22, v6
	;;#ASMEND
	s_nop 0
	;;#ASMSTART
	v_dot2c_f32_f16 v33, v23, v7
	;;#ASMEND
	s_and_saveexec_b64 s[20:21], vcc
	s_cbranch_execz .LBB10_5
; %bb.21:                               ;   in Loop: Header=BB10_9 Depth=2
	;;#ASMSTART
	v_dot2c_f32_f16 v33, v16, v0
	;;#ASMEND
	s_nop 0
	;;#ASMSTART
	v_dot2c_f32_f16 v33, v17, v1
	;;#ASMEND
	s_nop 0
	;; [unrolled: 4-line block ×3, first 2 shown]
	;;#ASMSTART
	v_dot2c_f32_f16 v33, v19, v3
	;;#ASMEND
	s_branch .LBB10_5
.LBB10_22:                              ;   in Loop: Header=BB10_3 Depth=1
	v_mov_b32_e32 v33, v39
.LBB10_23:                              ;   in Loop: Header=BB10_3 Depth=1
	;;#ASMSTART
	s_nop 0
	v_add_f32 v33, v33, v33 row_shr:8 bound_ctrl:0 
	;;#ASMEND
	s_nop 0
	;;#ASMSTART
	s_nop 0
	v_add_f32 v33, v33, v33 row_shr:4 bound_ctrl:0 
	;;#ASMEND
	s_nop 0
	;; [unrolled: 5-line block ×3, first 2 shown]
	;;#ASMSTART
	s_nop 0
	v_add_f32 v33, v33, v33 wave_shr:1 bound_ctrl:0
	;;#ASMEND
	s_nop 0
	;;#ASMSTART
	s_nop 0
	v_add_f32 v33, v33, v33 row_bcast:15 bound_ctrl:0
	;;#ASMEND
	s_nop 0
	;;#ASMSTART
	s_nop 0
	v_add_f32 v33, v33, v33 row_bcast:31 bound_ctrl:0
	;;#ASMEND
	s_and_saveexec_b64 s[4:5], s[0:1]
	s_cbranch_execz .LBB10_2
; %bb.24:                               ;   in Loop: Header=BB10_3 Depth=1
	v_cvt_f16_f32_e32 v35, v33
	v_mov_b32_e32 v33, v39
	s_waitcnt lgkmcnt(0)
	v_lshl_add_u64 v[40:41], v[32:33], 1, s[12:13]
	global_store_short v[40:41], v35, off
	s_branch .LBB10_2
.LBB10_25:
	s_endpgm
	.section	.rodata,"a",@progbits
	.p2align	6, 0x0
	.amdhsa_kernel _ZN5aiter32wv_splitk_small_fp16_bf16_kernelI6__halfLi64ELi1ELi1ELi8ELi4ELi1EEEviiPKT_S4_PS2_ii
		.amdhsa_group_segment_fixed_size 0
		.amdhsa_private_segment_fixed_size 0
		.amdhsa_kernarg_size 40
		.amdhsa_user_sgpr_count 2
		.amdhsa_user_sgpr_dispatch_ptr 0
		.amdhsa_user_sgpr_queue_ptr 0
		.amdhsa_user_sgpr_kernarg_segment_ptr 1
		.amdhsa_user_sgpr_dispatch_id 0
		.amdhsa_user_sgpr_kernarg_preload_length 0
		.amdhsa_user_sgpr_kernarg_preload_offset 0
		.amdhsa_user_sgpr_private_segment_size 0
		.amdhsa_uses_dynamic_stack 0
		.amdhsa_enable_private_segment 0
		.amdhsa_system_sgpr_workgroup_id_x 1
		.amdhsa_system_sgpr_workgroup_id_y 0
		.amdhsa_system_sgpr_workgroup_id_z 0
		.amdhsa_system_sgpr_workgroup_info 0
		.amdhsa_system_vgpr_workitem_id 1
		.amdhsa_next_free_vgpr 46
		.amdhsa_next_free_sgpr 27
		.amdhsa_accum_offset 48
		.amdhsa_reserve_vcc 1
		.amdhsa_float_round_mode_32 0
		.amdhsa_float_round_mode_16_64 0
		.amdhsa_float_denorm_mode_32 3
		.amdhsa_float_denorm_mode_16_64 3
		.amdhsa_dx10_clamp 1
		.amdhsa_ieee_mode 1
		.amdhsa_fp16_overflow 0
		.amdhsa_tg_split 0
		.amdhsa_exception_fp_ieee_invalid_op 0
		.amdhsa_exception_fp_denorm_src 0
		.amdhsa_exception_fp_ieee_div_zero 0
		.amdhsa_exception_fp_ieee_overflow 0
		.amdhsa_exception_fp_ieee_underflow 0
		.amdhsa_exception_fp_ieee_inexact 0
		.amdhsa_exception_int_div_zero 0
	.end_amdhsa_kernel
	.section	.text._ZN5aiter32wv_splitk_small_fp16_bf16_kernelI6__halfLi64ELi1ELi1ELi8ELi4ELi1EEEviiPKT_S4_PS2_ii,"axG",@progbits,_ZN5aiter32wv_splitk_small_fp16_bf16_kernelI6__halfLi64ELi1ELi1ELi8ELi4ELi1EEEviiPKT_S4_PS2_ii,comdat
.Lfunc_end10:
	.size	_ZN5aiter32wv_splitk_small_fp16_bf16_kernelI6__halfLi64ELi1ELi1ELi8ELi4ELi1EEEviiPKT_S4_PS2_ii, .Lfunc_end10-_ZN5aiter32wv_splitk_small_fp16_bf16_kernelI6__halfLi64ELi1ELi1ELi8ELi4ELi1EEEviiPKT_S4_PS2_ii
                                        ; -- End function
	.section	.AMDGPU.csdata,"",@progbits
; Kernel info:
; codeLenInByte = 912
; NumSgprs: 33
; NumVgprs: 46
; NumAgprs: 0
; TotalNumVgprs: 46
; ScratchSize: 0
; MemoryBound: 0
; FloatMode: 240
; IeeeMode: 1
; LDSByteSize: 0 bytes/workgroup (compile time only)
; SGPRBlocks: 4
; VGPRBlocks: 5
; NumSGPRsForWavesPerEU: 33
; NumVGPRsForWavesPerEU: 46
; AccumOffset: 48
; Occupancy: 8
; WaveLimiterHint : 0
; COMPUTE_PGM_RSRC2:SCRATCH_EN: 0
; COMPUTE_PGM_RSRC2:USER_SGPR: 2
; COMPUTE_PGM_RSRC2:TRAP_HANDLER: 0
; COMPUTE_PGM_RSRC2:TGID_X_EN: 1
; COMPUTE_PGM_RSRC2:TGID_Y_EN: 0
; COMPUTE_PGM_RSRC2:TGID_Z_EN: 0
; COMPUTE_PGM_RSRC2:TIDIG_COMP_CNT: 1
; COMPUTE_PGM_RSRC3_GFX90A:ACCUM_OFFSET: 11
; COMPUTE_PGM_RSRC3_GFX90A:TG_SPLIT: 0
	.section	.text._ZN5aiter32wv_splitk_small_fp16_bf16_kernelI6__halfLi64ELi1ELi1ELi8ELi4ELi2EEEviiPKT_S4_PS2_ii,"axG",@progbits,_ZN5aiter32wv_splitk_small_fp16_bf16_kernelI6__halfLi64ELi1ELi1ELi8ELi4ELi2EEEviiPKT_S4_PS2_ii,comdat
	.protected	_ZN5aiter32wv_splitk_small_fp16_bf16_kernelI6__halfLi64ELi1ELi1ELi8ELi4ELi2EEEviiPKT_S4_PS2_ii ; -- Begin function _ZN5aiter32wv_splitk_small_fp16_bf16_kernelI6__halfLi64ELi1ELi1ELi8ELi4ELi2EEEviiPKT_S4_PS2_ii
	.globl	_ZN5aiter32wv_splitk_small_fp16_bf16_kernelI6__halfLi64ELi1ELi1ELi8ELi4ELi2EEEviiPKT_S4_PS2_ii
	.p2align	8
	.type	_ZN5aiter32wv_splitk_small_fp16_bf16_kernelI6__halfLi64ELi1ELi1ELi8ELi4ELi2EEEviiPKT_S4_PS2_ii,@function
_ZN5aiter32wv_splitk_small_fp16_bf16_kernelI6__halfLi64ELi1ELi1ELi8ELi4ELi2EEEviiPKT_S4_PS2_ii: ; @_ZN5aiter32wv_splitk_small_fp16_bf16_kernelI6__halfLi64ELi1ELi1ELi8ELi4ELi2EEEviiPKT_S4_PS2_ii
; %bb.0:
	s_load_dwordx2 s[4:5], s[0:1], 0x20
	s_load_dwordx2 s[6:7], s[0:1], 0x0
	v_bfe_u32 v1, v0, 10, 10
	s_waitcnt lgkmcnt(0)
	s_mul_i32 s2, s2, s4
	v_add_u32_e32 v48, s2, v1
	v_cmp_gt_u32_e32 vcc, s7, v48
	s_and_saveexec_b64 s[2:3], vcc
	s_cbranch_execz .LBB11_25
; %bb.1:
	v_and_b32_e32 v0, 0x3ff, v0
	s_load_dwordx4 s[8:11], s[0:1], 0x8
	s_load_dwordx2 s[12:13], s[0:1], 0x18
	v_lshlrev_b32_e32 v50, 3, v0
	s_cmp_lg_u32 s6, 0
	v_mad_u64_u32 v[52:53], s[2:3], s6, v48, v[50:51]
	s_cselect_b64 s[2:3], -1, 0
	v_cmp_eq_u32_e64 s[0:1], 63, v0
	s_mul_i32 s24, s5, s4
	v_cndmask_b32_e64 v0, 0, 1, s[2:3]
	s_mul_i32 s25, s24, s6
	v_add_u32_e32 v51, s6, v50
	s_mov_b64 s[14:15], 0
	v_cmp_ne_u32_e64 s[2:3], 1, v0
	v_mov_b32_e32 v55, 0
                                        ; implicit-def: $vgpr0_vgpr1_vgpr2_vgpr3
                                        ; implicit-def: $vgpr4_vgpr5_vgpr6_vgpr7
                                        ; implicit-def: $vgpr8_vgpr9_vgpr10_vgpr11
                                        ; implicit-def: $vgpr12_vgpr13_vgpr14_vgpr15
                                        ; implicit-def: $vgpr34_vgpr35
                                        ; implicit-def: $vgpr38_vgpr39
                                        ; implicit-def: $vgpr18_vgpr19
                                        ; implicit-def: $vgpr22_vgpr23
                                        ; implicit-def: $vgpr26_vgpr27
                                        ; implicit-def: $vgpr30_vgpr31
                                        ; implicit-def: $vgpr42_vgpr43
                                        ; implicit-def: $vgpr46_vgpr47
	s_branch .LBB11_3
.LBB11_2:                               ;   in Loop: Header=BB11_3 Depth=1
	s_or_b64 exec, exec, s[4:5]
	v_add_u32_e32 v48, s24, v48
	v_cmp_le_u32_e32 vcc, s7, v48
	s_or_b64 s[14:15], vcc, s[14:15]
	v_add_u32_e32 v52, s25, v52
	s_andn2_b64 exec, exec, s[14:15]
	s_cbranch_execz .LBB11_25
.LBB11_3:                               ; =>This Loop Header: Depth=1
                                        ;     Child Loop BB11_9 Depth 2
	s_and_b64 vcc, exec, s[2:3]
	s_mov_b32 s26, 0
	s_cbranch_vccnz .LBB11_22
; %bb.4:                                ;   in Loop: Header=BB11_3 Depth=1
	v_mov_b32_e32 v53, 0
	v_mov_b32_e32 v49, 0
	s_branch .LBB11_9
.LBB11_5:                               ;   in Loop: Header=BB11_9 Depth=2
	s_or_b64 exec, exec, s[20:21]
.LBB11_6:                               ;   in Loop: Header=BB11_9 Depth=2
	s_or_b64 exec, exec, s[18:19]
.LBB11_7:                               ;   in Loop: Header=BB11_9 Depth=2
	s_or_b64 exec, exec, s[16:17]
.LBB11_8:                               ;   in Loop: Header=BB11_9 Depth=2
	s_or_b64 exec, exec, s[4:5]
	s_addk_i32 s26, 0x800
	s_cmp_ge_u32 s26, s6
	s_cbranch_scc1 .LBB11_23
.LBB11_9:                               ;   Parent Loop BB11_3 Depth=1
                                        ; =>  This Inner Loop Header: Depth=2
	v_add_u32_e32 v56, s26, v50
	v_cmp_gt_u32_e32 vcc, s6, v56
	v_add_u32_e32 v58, 0x200, v56
	s_and_saveexec_b64 s[16:17], vcc
	s_cbranch_execz .LBB11_17
; %bb.10:                               ;   in Loop: Header=BB11_9 Depth=2
	v_add_u32_e32 v54, s26, v52
	v_mov_b32_e32 v57, v55
	s_waitcnt vmcnt(2) lgkmcnt(0)
	v_lshl_add_u64 v[12:13], v[54:55], 1, s[8:9]
	v_lshl_add_u64 v[62:63], v[56:57], 1, s[10:11]
	v_add_u32_e32 v60, s26, v51
	v_mov_b32_e32 v61, v55
	global_load_dwordx4 v[12:15], v[12:13], off nt
	v_lshl_add_u64 v[64:65], v[60:61], 1, s[10:11]
	global_load_dwordx4 v[44:47], v[62:63], off
	global_load_dwordx4 v[40:43], v[64:65], off
	v_cmp_gt_u32_e64 s[4:5], s6, v58
	s_and_saveexec_b64 s[18:19], s[4:5]
	s_cbranch_execz .LBB11_16
; %bb.11:                               ;   in Loop: Header=BB11_9 Depth=2
	v_add_u32_e32 v8, 0x200, v54
	v_mov_b32_e32 v9, v55
	v_mov_b32_e32 v59, v55
	v_lshl_add_u64 v[8:9], v[8:9], 1, s[8:9]
	v_lshl_add_u64 v[62:63], v[58:59], 1, s[10:11]
	s_waitcnt vmcnt(3)
	v_add_u32_e32 v24, 0x200, v60
	v_mov_b32_e32 v25, v55
	global_load_dwordx4 v[8:11], v[8:9], off nt
	v_lshl_add_u64 v[64:65], v[24:25], 1, s[10:11]
	global_load_dwordx4 v[28:31], v[62:63], off
	global_load_dwordx4 v[24:27], v[64:65], off
	v_add_u32_e32 v62, 0x400, v56
	v_cmp_gt_u32_e64 s[4:5], s6, v62
	s_and_saveexec_b64 s[20:21], s[4:5]
	s_cbranch_execz .LBB11_15
; %bb.12:                               ;   in Loop: Header=BB11_9 Depth=2
	v_add_u32_e32 v4, 0x400, v54
	v_mov_b32_e32 v5, v55
	v_mov_b32_e32 v63, v55
	v_lshl_add_u64 v[4:5], v[4:5], 1, s[8:9]
	v_lshl_add_u64 v[62:63], v[62:63], 1, s[10:11]
	v_add_u32_e32 v16, 0x400, v60
	v_mov_b32_e32 v17, v55
	global_load_dwordx4 v[4:7], v[4:5], off nt
	v_lshl_add_u64 v[64:65], v[16:17], 1, s[10:11]
	global_load_dwordx4 v[20:23], v[62:63], off
	global_load_dwordx4 v[16:19], v[64:65], off
	v_add_u32_e32 v62, 0x600, v56
	v_cmp_gt_u32_e64 s[4:5], s6, v62
	s_and_saveexec_b64 s[22:23], s[4:5]
	s_cbranch_execz .LBB11_14
; %bb.13:                               ;   in Loop: Header=BB11_9 Depth=2
	v_add_u32_e32 v54, 0x600, v54
	v_mov_b32_e32 v63, v55
	v_lshl_add_u64 v[0:1], v[54:55], 1, s[8:9]
	v_lshl_add_u64 v[62:63], v[62:63], 1, s[10:11]
	v_add_u32_e32 v54, 0x600, v60
	global_load_dwordx4 v[0:3], v[0:1], off nt
	v_lshl_add_u64 v[60:61], v[54:55], 1, s[10:11]
	global_load_dwordx4 v[36:39], v[62:63], off
	global_load_dwordx4 v[32:35], v[60:61], off
.LBB11_14:                              ;   in Loop: Header=BB11_9 Depth=2
	s_or_b64 exec, exec, s[22:23]
.LBB11_15:                              ;   in Loop: Header=BB11_9 Depth=2
	s_or_b64 exec, exec, s[20:21]
.LBB11_16:                              ;   in Loop: Header=BB11_9 Depth=2
	s_or_b64 exec, exec, s[18:19]
.LBB11_17:                              ;   in Loop: Header=BB11_9 Depth=2
	s_or_b64 exec, exec, s[16:17]
	s_and_saveexec_b64 s[4:5], vcc
	s_cbranch_execz .LBB11_8
; %bb.18:                               ;   in Loop: Header=BB11_9 Depth=2
	s_waitcnt vmcnt(1)
	;;#ASMSTART
	v_dot2c_f32_f16 v49, v44, v12
	;;#ASMEND
	s_waitcnt vmcnt(0)
	;;#ASMSTART
	v_dot2c_f32_f16 v53, v40, v12
	;;#ASMEND
	v_cmp_gt_u32_e32 vcc, s6, v58
	;;#ASMSTART
	v_dot2c_f32_f16 v49, v45, v13
	;;#ASMEND
	;;#ASMSTART
	v_dot2c_f32_f16 v53, v41, v13
	;;#ASMEND
	s_nop 0
	;;#ASMSTART
	v_dot2c_f32_f16 v49, v46, v14
	;;#ASMEND
	;;#ASMSTART
	v_dot2c_f32_f16 v53, v42, v14
	;;#ASMEND
	s_nop 0
	;;#ASMSTART
	v_dot2c_f32_f16 v49, v47, v15
	;;#ASMEND
	;;#ASMSTART
	v_dot2c_f32_f16 v53, v43, v15
	;;#ASMEND
	s_and_saveexec_b64 s[16:17], vcc
	s_cbranch_execz .LBB11_7
; %bb.19:                               ;   in Loop: Header=BB11_9 Depth=2
	;;#ASMSTART
	v_dot2c_f32_f16 v49, v28, v8
	;;#ASMEND
	;;#ASMSTART
	v_dot2c_f32_f16 v53, v24, v8
	;;#ASMEND
	v_add_u32_e32 v54, 0x400, v56
	;;#ASMSTART
	v_dot2c_f32_f16 v49, v29, v9
	;;#ASMEND
	;;#ASMSTART
	v_dot2c_f32_f16 v53, v25, v9
	;;#ASMEND
	v_cmp_gt_u32_e32 vcc, s6, v54
	;;#ASMSTART
	v_dot2c_f32_f16 v49, v30, v10
	;;#ASMEND
	;;#ASMSTART
	v_dot2c_f32_f16 v53, v26, v10
	;;#ASMEND
	s_nop 0
	;;#ASMSTART
	v_dot2c_f32_f16 v49, v31, v11
	;;#ASMEND
	;;#ASMSTART
	v_dot2c_f32_f16 v53, v27, v11
	;;#ASMEND
	s_and_saveexec_b64 s[18:19], vcc
	s_cbranch_execz .LBB11_6
; %bb.20:                               ;   in Loop: Header=BB11_9 Depth=2
	;;#ASMSTART
	v_dot2c_f32_f16 v49, v20, v4
	;;#ASMEND
	;;#ASMSTART
	v_dot2c_f32_f16 v53, v16, v4
	;;#ASMEND
	v_add_u32_e32 v54, 0x600, v56
	;;#ASMSTART
	v_dot2c_f32_f16 v49, v21, v5
	;;#ASMEND
	;;#ASMSTART
	v_dot2c_f32_f16 v53, v17, v5
	;;#ASMEND
	v_cmp_gt_u32_e32 vcc, s6, v54
	;;#ASMSTART
	v_dot2c_f32_f16 v49, v22, v6
	;;#ASMEND
	;;#ASMSTART
	v_dot2c_f32_f16 v53, v18, v6
	;;#ASMEND
	s_nop 0
	;;#ASMSTART
	v_dot2c_f32_f16 v49, v23, v7
	;;#ASMEND
	;;#ASMSTART
	v_dot2c_f32_f16 v53, v19, v7
	;;#ASMEND
	s_and_saveexec_b64 s[20:21], vcc
	s_cbranch_execz .LBB11_5
; %bb.21:                               ;   in Loop: Header=BB11_9 Depth=2
	;;#ASMSTART
	v_dot2c_f32_f16 v49, v36, v0
	;;#ASMEND
	;;#ASMSTART
	v_dot2c_f32_f16 v53, v32, v0
	;;#ASMEND
	s_nop 0
	;;#ASMSTART
	v_dot2c_f32_f16 v49, v37, v1
	;;#ASMEND
	;;#ASMSTART
	v_dot2c_f32_f16 v53, v33, v1
	;;#ASMEND
	s_nop 0
	;; [unrolled: 7-line block ×3, first 2 shown]
	;;#ASMSTART
	v_dot2c_f32_f16 v49, v39, v3
	;;#ASMEND
	;;#ASMSTART
	v_dot2c_f32_f16 v53, v35, v3
	;;#ASMEND
	s_branch .LBB11_5
.LBB11_22:                              ;   in Loop: Header=BB11_3 Depth=1
	v_mov_b32_e32 v49, v55
	v_mov_b32_e32 v53, v55
.LBB11_23:                              ;   in Loop: Header=BB11_3 Depth=1
	;;#ASMSTART
	s_nop 0
	v_add_f32 v49, v49, v49 row_shr:8 bound_ctrl:0 
	;;#ASMEND
	;;#ASMSTART
	s_nop 0
	v_add_f32 v53, v53, v53 row_shr:8 bound_ctrl:0 
	;;#ASMEND
	s_nop 0
	;;#ASMSTART
	s_nop 0
	v_add_f32 v49, v49, v49 row_shr:4 bound_ctrl:0 
	;;#ASMEND
	;;#ASMSTART
	s_nop 0
	v_add_f32 v53, v53, v53 row_shr:4 bound_ctrl:0 
	;;#ASMEND
	s_nop 0
	;; [unrolled: 9-line block ×3, first 2 shown]
	;;#ASMSTART
	s_nop 0
	v_add_f32 v49, v49, v49 wave_shr:1 bound_ctrl:0
	;;#ASMEND
	;;#ASMSTART
	s_nop 0
	v_add_f32 v53, v53, v53 wave_shr:1 bound_ctrl:0
	;;#ASMEND
	s_nop 0
	;;#ASMSTART
	s_nop 0
	v_add_f32 v49, v49, v49 row_bcast:15 bound_ctrl:0
	;;#ASMEND
	;;#ASMSTART
	s_nop 0
	v_add_f32 v53, v53, v53 row_bcast:15 bound_ctrl:0
	;;#ASMEND
	s_nop 0
	;;#ASMSTART
	s_nop 0
	v_add_f32 v49, v49, v49 row_bcast:31 bound_ctrl:0
	;;#ASMEND
	;;#ASMSTART
	s_nop 0
	v_add_f32 v53, v53, v53 row_bcast:31 bound_ctrl:0
	;;#ASMEND
	s_and_saveexec_b64 s[4:5], s[0:1]
	s_cbranch_execz .LBB11_2
; %bb.24:                               ;   in Loop: Header=BB11_3 Depth=1
	v_cvt_f16_f32_e32 v54, v49
	v_mov_b32_e32 v49, v55
	v_cvt_f16_f32_e32 v53, v53
	s_waitcnt lgkmcnt(0)
	v_lshl_add_u64 v[56:57], v[48:49], 1, s[12:13]
	global_store_short v[56:57], v54, off
	v_add_u32_e32 v54, s7, v48
	v_lshl_add_u64 v[56:57], v[54:55], 1, s[12:13]
	global_store_short v[56:57], v53, off
	s_branch .LBB11_2
.LBB11_25:
	s_endpgm
	.section	.rodata,"a",@progbits
	.p2align	6, 0x0
	.amdhsa_kernel _ZN5aiter32wv_splitk_small_fp16_bf16_kernelI6__halfLi64ELi1ELi1ELi8ELi4ELi2EEEviiPKT_S4_PS2_ii
		.amdhsa_group_segment_fixed_size 0
		.amdhsa_private_segment_fixed_size 0
		.amdhsa_kernarg_size 40
		.amdhsa_user_sgpr_count 2
		.amdhsa_user_sgpr_dispatch_ptr 0
		.amdhsa_user_sgpr_queue_ptr 0
		.amdhsa_user_sgpr_kernarg_segment_ptr 1
		.amdhsa_user_sgpr_dispatch_id 0
		.amdhsa_user_sgpr_kernarg_preload_length 0
		.amdhsa_user_sgpr_kernarg_preload_offset 0
		.amdhsa_user_sgpr_private_segment_size 0
		.amdhsa_uses_dynamic_stack 0
		.amdhsa_enable_private_segment 0
		.amdhsa_system_sgpr_workgroup_id_x 1
		.amdhsa_system_sgpr_workgroup_id_y 0
		.amdhsa_system_sgpr_workgroup_id_z 0
		.amdhsa_system_sgpr_workgroup_info 0
		.amdhsa_system_vgpr_workitem_id 1
		.amdhsa_next_free_vgpr 66
		.amdhsa_next_free_sgpr 27
		.amdhsa_accum_offset 68
		.amdhsa_reserve_vcc 1
		.amdhsa_float_round_mode_32 0
		.amdhsa_float_round_mode_16_64 0
		.amdhsa_float_denorm_mode_32 3
		.amdhsa_float_denorm_mode_16_64 3
		.amdhsa_dx10_clamp 1
		.amdhsa_ieee_mode 1
		.amdhsa_fp16_overflow 0
		.amdhsa_tg_split 0
		.amdhsa_exception_fp_ieee_invalid_op 0
		.amdhsa_exception_fp_denorm_src 0
		.amdhsa_exception_fp_ieee_div_zero 0
		.amdhsa_exception_fp_ieee_overflow 0
		.amdhsa_exception_fp_ieee_underflow 0
		.amdhsa_exception_fp_ieee_inexact 0
		.amdhsa_exception_int_div_zero 0
	.end_amdhsa_kernel
	.section	.text._ZN5aiter32wv_splitk_small_fp16_bf16_kernelI6__halfLi64ELi1ELi1ELi8ELi4ELi2EEEviiPKT_S4_PS2_ii,"axG",@progbits,_ZN5aiter32wv_splitk_small_fp16_bf16_kernelI6__halfLi64ELi1ELi1ELi8ELi4ELi2EEEviiPKT_S4_PS2_ii,comdat
.Lfunc_end11:
	.size	_ZN5aiter32wv_splitk_small_fp16_bf16_kernelI6__halfLi64ELi1ELi1ELi8ELi4ELi2EEEviiPKT_S4_PS2_ii, .Lfunc_end11-_ZN5aiter32wv_splitk_small_fp16_bf16_kernelI6__halfLi64ELi1ELi1ELi8ELi4ELi2EEEviiPKT_S4_PS2_ii
                                        ; -- End function
	.section	.AMDGPU.csdata,"",@progbits
; Kernel info:
; codeLenInByte = 1260
; NumSgprs: 33
; NumVgprs: 66
; NumAgprs: 0
; TotalNumVgprs: 66
; ScratchSize: 0
; MemoryBound: 0
; FloatMode: 240
; IeeeMode: 1
; LDSByteSize: 0 bytes/workgroup (compile time only)
; SGPRBlocks: 4
; VGPRBlocks: 8
; NumSGPRsForWavesPerEU: 33
; NumVGPRsForWavesPerEU: 66
; AccumOffset: 68
; Occupancy: 7
; WaveLimiterHint : 0
; COMPUTE_PGM_RSRC2:SCRATCH_EN: 0
; COMPUTE_PGM_RSRC2:USER_SGPR: 2
; COMPUTE_PGM_RSRC2:TRAP_HANDLER: 0
; COMPUTE_PGM_RSRC2:TGID_X_EN: 1
; COMPUTE_PGM_RSRC2:TGID_Y_EN: 0
; COMPUTE_PGM_RSRC2:TGID_Z_EN: 0
; COMPUTE_PGM_RSRC2:TIDIG_COMP_CNT: 1
; COMPUTE_PGM_RSRC3_GFX90A:ACCUM_OFFSET: 16
; COMPUTE_PGM_RSRC3_GFX90A:TG_SPLIT: 0
	.section	.text._ZN5aiter32wv_splitk_small_fp16_bf16_kernelI6__halfLi64ELi1ELi1ELi8ELi4ELi3EEEviiPKT_S4_PS2_ii,"axG",@progbits,_ZN5aiter32wv_splitk_small_fp16_bf16_kernelI6__halfLi64ELi1ELi1ELi8ELi4ELi3EEEviiPKT_S4_PS2_ii,comdat
	.protected	_ZN5aiter32wv_splitk_small_fp16_bf16_kernelI6__halfLi64ELi1ELi1ELi8ELi4ELi3EEEviiPKT_S4_PS2_ii ; -- Begin function _ZN5aiter32wv_splitk_small_fp16_bf16_kernelI6__halfLi64ELi1ELi1ELi8ELi4ELi3EEEviiPKT_S4_PS2_ii
	.globl	_ZN5aiter32wv_splitk_small_fp16_bf16_kernelI6__halfLi64ELi1ELi1ELi8ELi4ELi3EEEviiPKT_S4_PS2_ii
	.p2align	8
	.type	_ZN5aiter32wv_splitk_small_fp16_bf16_kernelI6__halfLi64ELi1ELi1ELi8ELi4ELi3EEEviiPKT_S4_PS2_ii,@function
_ZN5aiter32wv_splitk_small_fp16_bf16_kernelI6__halfLi64ELi1ELi1ELi8ELi4ELi3EEEviiPKT_S4_PS2_ii: ; @_ZN5aiter32wv_splitk_small_fp16_bf16_kernelI6__halfLi64ELi1ELi1ELi8ELi4ELi3EEEviiPKT_S4_PS2_ii
; %bb.0:
	s_load_dwordx2 s[4:5], s[0:1], 0x20
	s_load_dwordx2 s[6:7], s[0:1], 0x0
	v_bfe_u32 v1, v0, 10, 10
	s_waitcnt lgkmcnt(0)
	s_mul_i32 s2, s2, s4
	v_add_u32_e32 v64, s2, v1
	v_cmp_gt_u32_e32 vcc, s7, v64
	s_and_saveexec_b64 s[2:3], vcc
	s_cbranch_execz .LBB12_25
; %bb.1:
	v_and_b32_e32 v0, 0x3ff, v0
	s_load_dwordx4 s[8:11], s[0:1], 0x8
	s_load_dwordx2 s[12:13], s[0:1], 0x18
	v_lshlrev_b32_e32 v66, 3, v0
	s_cmp_lg_u32 s6, 0
	v_mad_u64_u32 v[68:69], s[2:3], s6, v64, v[66:67]
	s_cselect_b64 s[2:3], -1, 0
	v_cmp_eq_u32_e64 s[0:1], 63, v0
	s_mul_i32 s24, s5, s4
	v_cndmask_b32_e64 v0, 0, 1, s[2:3]
	s_mul_i32 s25, s24, s6
	v_lshl_add_u32 v67, s6, 1, v66
	v_add_u32_e32 v69, s6, v66
	s_mov_b64 s[14:15], 0
	v_cmp_ne_u32_e64 s[2:3], 1, v0
	v_mov_b32_e32 v71, 0
                                        ; implicit-def: $vgpr0_vgpr1_vgpr2_vgpr3
                                        ; implicit-def: $vgpr4_vgpr5_vgpr6_vgpr7
                                        ; implicit-def: $vgpr8_vgpr9_vgpr10_vgpr11
                                        ; implicit-def: $vgpr12_vgpr13_vgpr14_vgpr15
                                        ; implicit-def: $vgpr58_vgpr59
                                        ; implicit-def: $vgpr26_vgpr27
                                        ; implicit-def: $vgpr34_vgpr35
                                        ; implicit-def: $vgpr30_vgpr31
                                        ; implicit-def: $vgpr18_vgpr19
                                        ; implicit-def: $vgpr22_vgpr23
                                        ; implicit-def: $vgpr54_vgpr55
                                        ; implicit-def: $vgpr38_vgpr39
                                        ; implicit-def: $vgpr42_vgpr43
                                        ; implicit-def: $vgpr62_vgpr63
                                        ; implicit-def: $vgpr46_vgpr47
                                        ; implicit-def: $vgpr50_vgpr51
	s_branch .LBB12_3
.LBB12_2:                               ;   in Loop: Header=BB12_3 Depth=1
	s_or_b64 exec, exec, s[4:5]
	v_add_u32_e32 v64, s24, v64
	v_cmp_le_u32_e32 vcc, s7, v64
	s_or_b64 s[14:15], vcc, s[14:15]
	v_add_u32_e32 v68, s25, v68
	s_andn2_b64 exec, exec, s[14:15]
	s_cbranch_execz .LBB12_25
.LBB12_3:                               ; =>This Loop Header: Depth=1
                                        ;     Child Loop BB12_9 Depth 2
	s_and_b64 vcc, exec, s[2:3]
	s_mov_b32 s26, 0
	s_cbranch_vccnz .LBB12_22
; %bb.4:                                ;   in Loop: Header=BB12_3 Depth=1
	v_mov_b32_e32 v82, 0
	v_mov_b32_e32 v83, 0
	;; [unrolled: 1-line block ×3, first 2 shown]
	s_branch .LBB12_9
.LBB12_5:                               ;   in Loop: Header=BB12_9 Depth=2
	s_or_b64 exec, exec, s[20:21]
.LBB12_6:                               ;   in Loop: Header=BB12_9 Depth=2
	s_or_b64 exec, exec, s[18:19]
.LBB12_7:                               ;   in Loop: Header=BB12_9 Depth=2
	s_or_b64 exec, exec, s[16:17]
.LBB12_8:                               ;   in Loop: Header=BB12_9 Depth=2
	s_or_b64 exec, exec, s[4:5]
	s_addk_i32 s26, 0x800
	s_cmp_ge_u32 s26, s6
	s_cbranch_scc1 .LBB12_23
.LBB12_9:                               ;   Parent Loop BB12_3 Depth=1
                                        ; =>  This Inner Loop Header: Depth=2
	v_add_u32_e32 v72, s26, v66
	v_cmp_gt_u32_e32 vcc, s6, v72
	v_add_u32_e32 v74, 0x200, v72
	s_and_saveexec_b64 s[16:17], vcc
	s_cbranch_execz .LBB12_17
; %bb.10:                               ;   in Loop: Header=BB12_9 Depth=2
	v_add_u32_e32 v70, s26, v68
	v_mov_b32_e32 v73, v71
	s_waitcnt vmcnt(3) lgkmcnt(0)
	v_lshl_add_u64 v[12:13], v[70:71], 1, s[8:9]
	s_waitcnt vmcnt(0)
	v_lshl_add_u64 v[60:61], v[72:73], 1, s[10:11]
	v_add_u32_e32 v78, s26, v69
	v_mov_b32_e32 v79, v71
	v_add_u32_e32 v76, s26, v67
	v_mov_b32_e32 v77, v71
	global_load_dwordx4 v[12:15], v[12:13], off nt
	v_lshl_add_u64 v[62:63], v[78:79], 1, s[10:11]
	global_load_dwordx4 v[48:51], v[60:61], off
	global_load_dwordx4 v[44:47], v[62:63], off
	v_lshl_add_u64 v[60:61], v[76:77], 1, s[10:11]
	global_load_dwordx4 v[60:63], v[60:61], off
	v_cmp_gt_u32_e64 s[4:5], s6, v74
	s_and_saveexec_b64 s[18:19], s[4:5]
	s_cbranch_execz .LBB12_16
; %bb.11:                               ;   in Loop: Header=BB12_9 Depth=2
	v_add_u32_e32 v8, 0x200, v70
	v_mov_b32_e32 v9, v71
	v_mov_b32_e32 v75, v71
	v_lshl_add_u64 v[8:9], v[8:9], 1, s[8:9]
	v_lshl_add_u64 v[52:53], v[74:75], 1, s[10:11]
	v_add_u32_e32 v36, 0x200, v78
	v_mov_b32_e32 v37, v71
	global_load_dwordx4 v[8:11], v[8:9], off nt
	v_lshl_add_u64 v[54:55], v[36:37], 1, s[10:11]
	global_load_dwordx4 v[40:43], v[52:53], off
	global_load_dwordx4 v[36:39], v[54:55], off
	v_add_u32_e32 v52, 0x200, v76
	v_mov_b32_e32 v53, v71
	v_lshl_add_u64 v[52:53], v[52:53], 1, s[10:11]
	global_load_dwordx4 v[52:55], v[52:53], off
	v_add_u32_e32 v80, 0x400, v72
	v_cmp_gt_u32_e64 s[4:5], s6, v80
	s_and_saveexec_b64 s[20:21], s[4:5]
	s_cbranch_execz .LBB12_15
; %bb.12:                               ;   in Loop: Header=BB12_9 Depth=2
	v_add_u32_e32 v4, 0x400, v70
	v_mov_b32_e32 v5, v71
	v_mov_b32_e32 v81, v71
	v_lshl_add_u64 v[4:5], v[4:5], 1, s[8:9]
	v_lshl_add_u64 v[28:29], v[80:81], 1, s[10:11]
	v_add_u32_e32 v16, 0x400, v78
	v_mov_b32_e32 v17, v71
	global_load_dwordx4 v[4:7], v[4:5], off nt
	v_lshl_add_u64 v[30:31], v[16:17], 1, s[10:11]
	global_load_dwordx4 v[20:23], v[28:29], off
	global_load_dwordx4 v[16:19], v[30:31], off
	v_add_u32_e32 v28, 0x400, v76
	v_mov_b32_e32 v29, v71
	v_lshl_add_u64 v[28:29], v[28:29], 1, s[10:11]
	global_load_dwordx4 v[28:31], v[28:29], off
	v_add_u32_e32 v80, 0x600, v72
	v_cmp_gt_u32_e64 s[4:5], s6, v80
	s_and_saveexec_b64 s[22:23], s[4:5]
	s_cbranch_execz .LBB12_14
; %bb.13:                               ;   in Loop: Header=BB12_9 Depth=2
	v_add_u32_e32 v70, 0x600, v70
	v_lshl_add_u64 v[0:1], v[70:71], 1, s[8:9]
	v_mov_b32_e32 v81, v71
	v_add_u32_e32 v70, 0x600, v78
	v_lshl_add_u64 v[56:57], v[80:81], 1, s[10:11]
	v_lshl_add_u64 v[58:59], v[70:71], 1, s[10:11]
	v_add_u32_e32 v70, 0x600, v76
	global_load_dwordx4 v[0:3], v[0:1], off nt
	s_nop 0
	global_load_dwordx4 v[32:35], v[56:57], off
	global_load_dwordx4 v[24:27], v[58:59], off
	v_lshl_add_u64 v[56:57], v[70:71], 1, s[10:11]
	global_load_dwordx4 v[56:59], v[56:57], off
.LBB12_14:                              ;   in Loop: Header=BB12_9 Depth=2
	s_or_b64 exec, exec, s[22:23]
.LBB12_15:                              ;   in Loop: Header=BB12_9 Depth=2
	s_or_b64 exec, exec, s[20:21]
.LBB12_16:                              ;   in Loop: Header=BB12_9 Depth=2
	s_or_b64 exec, exec, s[18:19]
.LBB12_17:                              ;   in Loop: Header=BB12_9 Depth=2
	s_or_b64 exec, exec, s[16:17]
	s_and_saveexec_b64 s[4:5], vcc
	s_cbranch_execz .LBB12_8
; %bb.18:                               ;   in Loop: Header=BB12_9 Depth=2
	s_waitcnt vmcnt(2)
	;;#ASMSTART
	v_dot2c_f32_f16 v65, v48, v12
	;;#ASMEND
	s_waitcnt vmcnt(1)
	;;#ASMSTART
	v_dot2c_f32_f16 v83, v44, v12
	;;#ASMEND
	;; [unrolled: 4-line block ×3, first 2 shown]
	v_cmp_gt_u32_e32 vcc, s6, v74
	;;#ASMSTART
	v_dot2c_f32_f16 v65, v49, v13
	;;#ASMEND
	;;#ASMSTART
	v_dot2c_f32_f16 v83, v45, v13
	;;#ASMEND
	;; [unrolled: 3-line block ×3, first 2 shown]
	s_nop 0
	;;#ASMSTART
	v_dot2c_f32_f16 v65, v50, v14
	;;#ASMEND
	;;#ASMSTART
	v_dot2c_f32_f16 v83, v46, v14
	;;#ASMEND
	;;#ASMSTART
	v_dot2c_f32_f16 v82, v62, v14
	;;#ASMEND
	s_nop 0
	;;#ASMSTART
	v_dot2c_f32_f16 v65, v51, v15
	;;#ASMEND
	;;#ASMSTART
	v_dot2c_f32_f16 v83, v47, v15
	;;#ASMEND
	;; [unrolled: 3-line block ×3, first 2 shown]
	s_and_saveexec_b64 s[16:17], vcc
	s_cbranch_execz .LBB12_7
; %bb.19:                               ;   in Loop: Header=BB12_9 Depth=2
	;;#ASMSTART
	v_dot2c_f32_f16 v65, v40, v8
	;;#ASMEND
	;;#ASMSTART
	v_dot2c_f32_f16 v83, v36, v8
	;;#ASMEND
	;; [unrolled: 3-line block ×3, first 2 shown]
	v_add_u32_e32 v70, 0x400, v72
	;;#ASMSTART
	v_dot2c_f32_f16 v65, v41, v9
	;;#ASMEND
	;;#ASMSTART
	v_dot2c_f32_f16 v83, v37, v9
	;;#ASMEND
	;; [unrolled: 3-line block ×3, first 2 shown]
	v_cmp_gt_u32_e32 vcc, s6, v70
	;;#ASMSTART
	v_dot2c_f32_f16 v65, v42, v10
	;;#ASMEND
	;;#ASMSTART
	v_dot2c_f32_f16 v83, v38, v10
	;;#ASMEND
	;; [unrolled: 3-line block ×3, first 2 shown]
	s_nop 0
	;;#ASMSTART
	v_dot2c_f32_f16 v65, v43, v11
	;;#ASMEND
	;;#ASMSTART
	v_dot2c_f32_f16 v83, v39, v11
	;;#ASMEND
	;; [unrolled: 3-line block ×3, first 2 shown]
	s_and_saveexec_b64 s[18:19], vcc
	s_cbranch_execz .LBB12_6
; %bb.20:                               ;   in Loop: Header=BB12_9 Depth=2
	;;#ASMSTART
	v_dot2c_f32_f16 v65, v20, v4
	;;#ASMEND
	;;#ASMSTART
	v_dot2c_f32_f16 v83, v16, v4
	;;#ASMEND
	;; [unrolled: 3-line block ×3, first 2 shown]
	v_add_u32_e32 v70, 0x600, v72
	;;#ASMSTART
	v_dot2c_f32_f16 v65, v21, v5
	;;#ASMEND
	;;#ASMSTART
	v_dot2c_f32_f16 v83, v17, v5
	;;#ASMEND
	;; [unrolled: 3-line block ×3, first 2 shown]
	v_cmp_gt_u32_e32 vcc, s6, v70
	;;#ASMSTART
	v_dot2c_f32_f16 v65, v22, v6
	;;#ASMEND
	;;#ASMSTART
	v_dot2c_f32_f16 v83, v18, v6
	;;#ASMEND
	;;#ASMSTART
	v_dot2c_f32_f16 v82, v30, v6
	;;#ASMEND
	s_nop 0
	;;#ASMSTART
	v_dot2c_f32_f16 v65, v23, v7
	;;#ASMEND
	;;#ASMSTART
	v_dot2c_f32_f16 v83, v19, v7
	;;#ASMEND
	;; [unrolled: 3-line block ×3, first 2 shown]
	s_and_saveexec_b64 s[20:21], vcc
	s_cbranch_execz .LBB12_5
; %bb.21:                               ;   in Loop: Header=BB12_9 Depth=2
	;;#ASMSTART
	v_dot2c_f32_f16 v65, v32, v0
	;;#ASMEND
	;;#ASMSTART
	v_dot2c_f32_f16 v83, v24, v0
	;;#ASMEND
	;;#ASMSTART
	v_dot2c_f32_f16 v82, v56, v0
	;;#ASMEND
	s_nop 0
	;;#ASMSTART
	v_dot2c_f32_f16 v65, v33, v1
	;;#ASMEND
	;;#ASMSTART
	v_dot2c_f32_f16 v83, v25, v1
	;;#ASMEND
	;;#ASMSTART
	v_dot2c_f32_f16 v82, v57, v1
	;;#ASMEND
	s_nop 0
	;; [unrolled: 10-line block ×3, first 2 shown]
	;;#ASMSTART
	v_dot2c_f32_f16 v65, v35, v3
	;;#ASMEND
	;;#ASMSTART
	v_dot2c_f32_f16 v83, v27, v3
	;;#ASMEND
	;; [unrolled: 3-line block ×3, first 2 shown]
	s_branch .LBB12_5
.LBB12_22:                              ;   in Loop: Header=BB12_3 Depth=1
	v_mov_b32_e32 v65, v71
	v_mov_b32_e32 v83, v71
	;; [unrolled: 1-line block ×3, first 2 shown]
.LBB12_23:                              ;   in Loop: Header=BB12_3 Depth=1
	;;#ASMSTART
	s_nop 0
	v_add_f32 v65, v65, v65 row_shr:8 bound_ctrl:0 
	;;#ASMEND
	;;#ASMSTART
	s_nop 0
	v_add_f32 v83, v83, v83 row_shr:8 bound_ctrl:0 
	;;#ASMEND
	;;#ASMSTART
	s_nop 0
	v_add_f32 v82, v82, v82 row_shr:8 bound_ctrl:0 
	;;#ASMEND
	s_nop 0
	;;#ASMSTART
	s_nop 0
	v_add_f32 v65, v65, v65 row_shr:4 bound_ctrl:0 
	;;#ASMEND
	;;#ASMSTART
	s_nop 0
	v_add_f32 v83, v83, v83 row_shr:4 bound_ctrl:0 
	;;#ASMEND
	;;#ASMSTART
	s_nop 0
	v_add_f32 v82, v82, v82 row_shr:4 bound_ctrl:0 
	;;#ASMEND
	s_nop 0
	;;#ASMSTART
	s_nop 0
	v_add_f32 v65, v65, v65 row_shr:2 bound_ctrl:0 
	;;#ASMEND
	;;#ASMSTART
	s_nop 0
	v_add_f32 v83, v83, v83 row_shr:2 bound_ctrl:0 
	;;#ASMEND
	;;#ASMSTART
	s_nop 0
	v_add_f32 v82, v82, v82 row_shr:2 bound_ctrl:0 
	;;#ASMEND
	s_nop 0
	;;#ASMSTART
	s_nop 0
	v_add_f32 v65, v65, v65 wave_shr:1 bound_ctrl:0
	;;#ASMEND
	;;#ASMSTART
	s_nop 0
	v_add_f32 v83, v83, v83 wave_shr:1 bound_ctrl:0
	;;#ASMEND
	;; [unrolled: 4-line block ×3, first 2 shown]
	s_nop 0
	;;#ASMSTART
	s_nop 0
	v_add_f32 v65, v65, v65 row_bcast:15 bound_ctrl:0
	;;#ASMEND
	;;#ASMSTART
	s_nop 0
	v_add_f32 v83, v83, v83 row_bcast:15 bound_ctrl:0
	;;#ASMEND
	;; [unrolled: 4-line block ×3, first 2 shown]
	s_nop 0
	;;#ASMSTART
	s_nop 0
	v_add_f32 v65, v65, v65 row_bcast:31 bound_ctrl:0
	;;#ASMEND
	;;#ASMSTART
	s_nop 0
	v_add_f32 v83, v83, v83 row_bcast:31 bound_ctrl:0
	;;#ASMEND
	;;#ASMSTART
	s_nop 0
	v_add_f32 v82, v82, v82 row_bcast:31 bound_ctrl:0
	;;#ASMEND
	s_and_saveexec_b64 s[4:5], s[0:1]
	s_cbranch_execz .LBB12_2
; %bb.24:                               ;   in Loop: Header=BB12_3 Depth=1
	v_cvt_f16_f32_e32 v70, v65
	v_mov_b32_e32 v65, v71
	v_cvt_f16_f32_e32 v74, v83
	s_waitcnt lgkmcnt(0)
	v_lshl_add_u64 v[72:73], v[64:65], 1, s[12:13]
	v_cvt_f16_f32_e32 v65, v82
	global_store_short v[72:73], v70, off
	v_add_u32_e32 v70, s7, v64
	v_lshl_add_u64 v[72:73], v[70:71], 1, s[12:13]
	v_add_u32_e32 v70, s7, v70
	global_store_short v[72:73], v74, off
	v_lshl_add_u64 v[72:73], v[70:71], 1, s[12:13]
	global_store_short v[72:73], v65, off
	s_branch .LBB12_2
.LBB12_25:
	s_endpgm
	.section	.rodata,"a",@progbits
	.p2align	6, 0x0
	.amdhsa_kernel _ZN5aiter32wv_splitk_small_fp16_bf16_kernelI6__halfLi64ELi1ELi1ELi8ELi4ELi3EEEviiPKT_S4_PS2_ii
		.amdhsa_group_segment_fixed_size 0
		.amdhsa_private_segment_fixed_size 0
		.amdhsa_kernarg_size 40
		.amdhsa_user_sgpr_count 2
		.amdhsa_user_sgpr_dispatch_ptr 0
		.amdhsa_user_sgpr_queue_ptr 0
		.amdhsa_user_sgpr_kernarg_segment_ptr 1
		.amdhsa_user_sgpr_dispatch_id 0
		.amdhsa_user_sgpr_kernarg_preload_length 0
		.amdhsa_user_sgpr_kernarg_preload_offset 0
		.amdhsa_user_sgpr_private_segment_size 0
		.amdhsa_uses_dynamic_stack 0
		.amdhsa_enable_private_segment 0
		.amdhsa_system_sgpr_workgroup_id_x 1
		.amdhsa_system_sgpr_workgroup_id_y 0
		.amdhsa_system_sgpr_workgroup_id_z 0
		.amdhsa_system_sgpr_workgroup_info 0
		.amdhsa_system_vgpr_workitem_id 1
		.amdhsa_next_free_vgpr 84
		.amdhsa_next_free_sgpr 27
		.amdhsa_accum_offset 84
		.amdhsa_reserve_vcc 1
		.amdhsa_float_round_mode_32 0
		.amdhsa_float_round_mode_16_64 0
		.amdhsa_float_denorm_mode_32 3
		.amdhsa_float_denorm_mode_16_64 3
		.amdhsa_dx10_clamp 1
		.amdhsa_ieee_mode 1
		.amdhsa_fp16_overflow 0
		.amdhsa_tg_split 0
		.amdhsa_exception_fp_ieee_invalid_op 0
		.amdhsa_exception_fp_denorm_src 0
		.amdhsa_exception_fp_ieee_div_zero 0
		.amdhsa_exception_fp_ieee_overflow 0
		.amdhsa_exception_fp_ieee_underflow 0
		.amdhsa_exception_fp_ieee_inexact 0
		.amdhsa_exception_int_div_zero 0
	.end_amdhsa_kernel
	.section	.text._ZN5aiter32wv_splitk_small_fp16_bf16_kernelI6__halfLi64ELi1ELi1ELi8ELi4ELi3EEEviiPKT_S4_PS2_ii,"axG",@progbits,_ZN5aiter32wv_splitk_small_fp16_bf16_kernelI6__halfLi64ELi1ELi1ELi8ELi4ELi3EEEviiPKT_S4_PS2_ii,comdat
.Lfunc_end12:
	.size	_ZN5aiter32wv_splitk_small_fp16_bf16_kernelI6__halfLi64ELi1ELi1ELi8ELi4ELi3EEEviiPKT_S4_PS2_ii, .Lfunc_end12-_ZN5aiter32wv_splitk_small_fp16_bf16_kernelI6__halfLi64ELi1ELi1ELi8ELi4ELi3EEEviiPKT_S4_PS2_ii
                                        ; -- End function
	.section	.AMDGPU.csdata,"",@progbits
; Kernel info:
; codeLenInByte = 1636
; NumSgprs: 33
; NumVgprs: 84
; NumAgprs: 0
; TotalNumVgprs: 84
; ScratchSize: 0
; MemoryBound: 1
; FloatMode: 240
; IeeeMode: 1
; LDSByteSize: 0 bytes/workgroup (compile time only)
; SGPRBlocks: 4
; VGPRBlocks: 10
; NumSGPRsForWavesPerEU: 33
; NumVGPRsForWavesPerEU: 84
; AccumOffset: 84
; Occupancy: 5
; WaveLimiterHint : 0
; COMPUTE_PGM_RSRC2:SCRATCH_EN: 0
; COMPUTE_PGM_RSRC2:USER_SGPR: 2
; COMPUTE_PGM_RSRC2:TRAP_HANDLER: 0
; COMPUTE_PGM_RSRC2:TGID_X_EN: 1
; COMPUTE_PGM_RSRC2:TGID_Y_EN: 0
; COMPUTE_PGM_RSRC2:TGID_Z_EN: 0
; COMPUTE_PGM_RSRC2:TIDIG_COMP_CNT: 1
; COMPUTE_PGM_RSRC3_GFX90A:ACCUM_OFFSET: 20
; COMPUTE_PGM_RSRC3_GFX90A:TG_SPLIT: 0
	.section	.text._ZN5aiter32wv_splitk_small_fp16_bf16_kernelI6__halfLi64ELi1ELi1ELi8ELi4ELi4EEEviiPKT_S4_PS2_ii,"axG",@progbits,_ZN5aiter32wv_splitk_small_fp16_bf16_kernelI6__halfLi64ELi1ELi1ELi8ELi4ELi4EEEviiPKT_S4_PS2_ii,comdat
	.protected	_ZN5aiter32wv_splitk_small_fp16_bf16_kernelI6__halfLi64ELi1ELi1ELi8ELi4ELi4EEEviiPKT_S4_PS2_ii ; -- Begin function _ZN5aiter32wv_splitk_small_fp16_bf16_kernelI6__halfLi64ELi1ELi1ELi8ELi4ELi4EEEviiPKT_S4_PS2_ii
	.globl	_ZN5aiter32wv_splitk_small_fp16_bf16_kernelI6__halfLi64ELi1ELi1ELi8ELi4ELi4EEEviiPKT_S4_PS2_ii
	.p2align	8
	.type	_ZN5aiter32wv_splitk_small_fp16_bf16_kernelI6__halfLi64ELi1ELi1ELi8ELi4ELi4EEEviiPKT_S4_PS2_ii,@function
_ZN5aiter32wv_splitk_small_fp16_bf16_kernelI6__halfLi64ELi1ELi1ELi8ELi4ELi4EEEviiPKT_S4_PS2_ii: ; @_ZN5aiter32wv_splitk_small_fp16_bf16_kernelI6__halfLi64ELi1ELi1ELi8ELi4ELi4EEEviiPKT_S4_PS2_ii
; %bb.0:
	s_load_dwordx2 s[4:5], s[0:1], 0x20
	s_load_dwordx2 s[6:7], s[0:1], 0x0
	v_bfe_u32 v1, v0, 10, 10
	s_waitcnt lgkmcnt(0)
	s_mul_i32 s2, s2, s4
	v_add_u32_e32 v80, s2, v1
	v_cmp_gt_u32_e32 vcc, s7, v80
	s_and_saveexec_b64 s[2:3], vcc
	s_cbranch_execz .LBB13_25
; %bb.1:
	v_and_b32_e32 v0, 0x3ff, v0
	v_lshlrev_b32_e32 v82, 3, v0
	s_load_dwordx4 s[8:11], s[0:1], 0x8
	s_load_dwordx2 s[12:13], s[0:1], 0x18
	v_mad_u64_u32 v[84:85], s[2:3], s6, v80, v[82:83]
	v_lshl_add_u32 v83, s6, 1, v82
	s_cmp_lg_u32 s6, 0
	v_mad_u64_u32 v[86:87], s[2:3], s6, 3, v[82:83]
	s_cselect_b64 s[2:3], -1, 0
	v_cmp_eq_u32_e64 s[0:1], 63, v0
	s_mul_i32 s24, s5, s4
	v_cndmask_b32_e64 v0, 0, 1, s[2:3]
	s_mul_i32 s25, s24, s6
	v_add_u32_e32 v85, s6, v82
	s_mov_b64 s[14:15], 0
	v_cmp_ne_u32_e64 s[2:3], 1, v0
	v_mov_b32_e32 v89, 0
                                        ; implicit-def: $vgpr0_vgpr1_vgpr2_vgpr3
                                        ; implicit-def: $vgpr4_vgpr5_vgpr6_vgpr7
                                        ; implicit-def: $vgpr8_vgpr9_vgpr10_vgpr11
                                        ; implicit-def: $vgpr12_vgpr13_vgpr14_vgpr15
                                        ; implicit-def: $vgpr66_vgpr67
                                        ; implicit-def: $vgpr70_vgpr71
                                        ; implicit-def: $vgpr26_vgpr27
                                        ; implicit-def: $vgpr30_vgpr31
                                        ; implicit-def: $vgpr34_vgpr35
                                        ; implicit-def: $vgpr38_vgpr39
                                        ; implicit-def: $vgpr18_vgpr19
                                        ; implicit-def: $vgpr22_vgpr23
                                        ; implicit-def: $vgpr58_vgpr59
                                        ; implicit-def: $vgpr62_vgpr63
                                        ; implicit-def: $vgpr42_vgpr43
                                        ; implicit-def: $vgpr46_vgpr47
                                        ; implicit-def: $vgpr74_vgpr75
                                        ; implicit-def: $vgpr78_vgpr79
                                        ; implicit-def: $vgpr50_vgpr51
                                        ; implicit-def: $vgpr54_vgpr55
	s_branch .LBB13_3
.LBB13_2:                               ;   in Loop: Header=BB13_3 Depth=1
	s_or_b64 exec, exec, s[4:5]
	v_add_u32_e32 v80, s24, v80
	v_cmp_le_u32_e32 vcc, s7, v80
	s_or_b64 s[14:15], vcc, s[14:15]
	v_add_u32_e32 v84, s25, v84
	s_andn2_b64 exec, exec, s[14:15]
	s_cbranch_execz .LBB13_25
.LBB13_3:                               ; =>This Loop Header: Depth=1
                                        ;     Child Loop BB13_9 Depth 2
	s_and_b64 vcc, exec, s[2:3]
	s_mov_b32 s26, 0
	s_cbranch_vccnz .LBB13_22
; %bb.4:                                ;   in Loop: Header=BB13_3 Depth=1
	v_mov_b32_e32 v87, 0
	v_mov_b32_e32 v102, 0
	;; [unrolled: 1-line block ×4, first 2 shown]
	s_branch .LBB13_9
.LBB13_5:                               ;   in Loop: Header=BB13_9 Depth=2
	s_or_b64 exec, exec, s[20:21]
.LBB13_6:                               ;   in Loop: Header=BB13_9 Depth=2
	s_or_b64 exec, exec, s[18:19]
.LBB13_7:                               ;   in Loop: Header=BB13_9 Depth=2
	s_or_b64 exec, exec, s[16:17]
.LBB13_8:                               ;   in Loop: Header=BB13_9 Depth=2
	s_or_b64 exec, exec, s[4:5]
	s_addk_i32 s26, 0x800
	s_cmp_ge_u32 s26, s6
	s_cbranch_scc1 .LBB13_23
.LBB13_9:                               ;   Parent Loop BB13_3 Depth=1
                                        ; =>  This Inner Loop Header: Depth=2
	v_add_u32_e32 v90, s26, v82
	v_cmp_gt_u32_e32 vcc, s6, v90
	v_add_u32_e32 v92, 0x200, v90
	s_and_saveexec_b64 s[16:17], vcc
	s_cbranch_execz .LBB13_17
; %bb.10:                               ;   in Loop: Header=BB13_9 Depth=2
	v_add_u32_e32 v88, s26, v84
	v_mov_b32_e32 v91, v89
	v_add_u32_e32 v98, s26, v85
	v_mov_b32_e32 v99, v89
	;; [unrolled: 2-line block ×3, first 2 shown]
	s_waitcnt vmcnt(4) lgkmcnt(0)
	v_lshl_add_u64 v[12:13], v[88:89], 1, s[8:9]
	s_waitcnt vmcnt(0)
	v_lshl_add_u64 v[72:73], v[90:91], 1, s[10:11]
	v_lshl_add_u64 v[74:75], v[98:99], 1, s[10:11]
	v_lshl_add_u64 v[100:101], v[96:97], 1, s[10:11]
	v_add_u32_e32 v94, s26, v86
	v_mov_b32_e32 v95, v89
	global_load_dwordx4 v[12:15], v[12:13], off nt
	s_nop 0
	global_load_dwordx4 v[52:55], v[72:73], off
	global_load_dwordx4 v[48:51], v[74:75], off
	v_lshl_add_u64 v[104:105], v[94:95], 1, s[10:11]
	global_load_dwordx4 v[76:79], v[100:101], off
	global_load_dwordx4 v[72:75], v[104:105], off
	v_cmp_gt_u32_e64 s[4:5], s6, v92
	s_and_saveexec_b64 s[18:19], s[4:5]
	s_cbranch_execz .LBB13_16
; %bb.11:                               ;   in Loop: Header=BB13_9 Depth=2
	v_add_u32_e32 v8, 0x200, v88
	v_mov_b32_e32 v9, v89
	v_mov_b32_e32 v93, v89
	v_lshl_add_u64 v[8:9], v[8:9], 1, s[8:9]
	v_lshl_add_u64 v[56:57], v[92:93], 1, s[10:11]
	v_add_u32_e32 v40, 0x200, v98
	v_mov_b32_e32 v41, v89
	global_load_dwordx4 v[8:11], v[8:9], off nt
	v_lshl_add_u64 v[58:59], v[40:41], 1, s[10:11]
	global_load_dwordx4 v[44:47], v[56:57], off
	global_load_dwordx4 v[40:43], v[58:59], off
	v_add_u32_e32 v56, 0x200, v96
	v_mov_b32_e32 v57, v89
	v_lshl_add_u64 v[100:101], v[56:57], 1, s[10:11]
	v_add_u32_e32 v56, 0x200, v94
	v_lshl_add_u64 v[104:105], v[56:57], 1, s[10:11]
	global_load_dwordx4 v[60:63], v[100:101], off
	global_load_dwordx4 v[56:59], v[104:105], off
	v_add_u32_e32 v100, 0x400, v90
	v_cmp_gt_u32_e64 s[4:5], s6, v100
	s_and_saveexec_b64 s[20:21], s[4:5]
	s_cbranch_execz .LBB13_15
; %bb.12:                               ;   in Loop: Header=BB13_9 Depth=2
	v_add_u32_e32 v4, 0x400, v88
	v_mov_b32_e32 v5, v89
	v_mov_b32_e32 v101, v89
	v_lshl_add_u64 v[4:5], v[4:5], 1, s[8:9]
	v_lshl_add_u64 v[32:33], v[100:101], 1, s[10:11]
	v_add_u32_e32 v16, 0x400, v98
	v_mov_b32_e32 v17, v89
	global_load_dwordx4 v[4:7], v[4:5], off nt
	v_lshl_add_u64 v[34:35], v[16:17], 1, s[10:11]
	global_load_dwordx4 v[20:23], v[32:33], off
	global_load_dwordx4 v[16:19], v[34:35], off
	v_add_u32_e32 v32, 0x400, v96
	v_mov_b32_e32 v33, v89
	v_lshl_add_u64 v[100:101], v[32:33], 1, s[10:11]
	v_add_u32_e32 v32, 0x400, v94
	v_lshl_add_u64 v[104:105], v[32:33], 1, s[10:11]
	global_load_dwordx4 v[36:39], v[100:101], off
	global_load_dwordx4 v[32:35], v[104:105], off
	v_add_u32_e32 v100, 0x600, v90
	v_cmp_gt_u32_e64 s[4:5], s6, v100
	s_and_saveexec_b64 s[22:23], s[4:5]
	s_cbranch_execz .LBB13_14
; %bb.13:                               ;   in Loop: Header=BB13_9 Depth=2
	v_add_u32_e32 v88, 0x600, v88
	v_lshl_add_u64 v[0:1], v[88:89], 1, s[8:9]
	v_add_u32_e32 v88, 0x600, v98
	v_mov_b32_e32 v101, v89
	v_lshl_add_u64 v[66:67], v[88:89], 1, s[10:11]
	v_add_u32_e32 v88, 0x600, v96
	v_lshl_add_u64 v[64:65], v[100:101], 1, s[10:11]
	v_lshl_add_u64 v[96:97], v[88:89], 1, s[10:11]
	v_add_u32_e32 v88, 0x600, v94
	global_load_dwordx4 v[0:3], v[0:1], off nt
	s_nop 0
	global_load_dwordx4 v[28:31], v[64:65], off
	global_load_dwordx4 v[24:27], v[66:67], off
	v_lshl_add_u64 v[94:95], v[88:89], 1, s[10:11]
	global_load_dwordx4 v[68:71], v[96:97], off
	global_load_dwordx4 v[64:67], v[94:95], off
.LBB13_14:                              ;   in Loop: Header=BB13_9 Depth=2
	s_or_b64 exec, exec, s[22:23]
.LBB13_15:                              ;   in Loop: Header=BB13_9 Depth=2
	s_or_b64 exec, exec, s[20:21]
.LBB13_16:                              ;   in Loop: Header=BB13_9 Depth=2
	s_or_b64 exec, exec, s[18:19]
.LBB13_17:                              ;   in Loop: Header=BB13_9 Depth=2
	s_or_b64 exec, exec, s[16:17]
	s_and_saveexec_b64 s[4:5], vcc
	s_cbranch_execz .LBB13_8
; %bb.18:                               ;   in Loop: Header=BB13_9 Depth=2
	s_waitcnt vmcnt(3)
	;;#ASMSTART
	v_dot2c_f32_f16 v81, v52, v12
	;;#ASMEND
	s_waitcnt vmcnt(2)
	;;#ASMSTART
	v_dot2c_f32_f16 v103, v48, v12
	;;#ASMEND
	s_waitcnt vmcnt(1)
	;;#ASMSTART
	v_dot2c_f32_f16 v102, v76, v12
	;;#ASMEND
	s_waitcnt vmcnt(0)
	;;#ASMSTART
	v_dot2c_f32_f16 v87, v72, v12
	;;#ASMEND
	v_cmp_gt_u32_e32 vcc, s6, v92
	;;#ASMSTART
	v_dot2c_f32_f16 v81, v53, v13
	;;#ASMEND
	;;#ASMSTART
	v_dot2c_f32_f16 v103, v49, v13
	;;#ASMEND
	;; [unrolled: 3-line block ×4, first 2 shown]
	s_nop 0
	;;#ASMSTART
	v_dot2c_f32_f16 v81, v54, v14
	;;#ASMEND
	;;#ASMSTART
	v_dot2c_f32_f16 v103, v50, v14
	;;#ASMEND
	;; [unrolled: 3-line block ×4, first 2 shown]
	s_nop 0
	;;#ASMSTART
	v_dot2c_f32_f16 v81, v55, v15
	;;#ASMEND
	;;#ASMSTART
	v_dot2c_f32_f16 v103, v51, v15
	;;#ASMEND
	;;#ASMSTART
	v_dot2c_f32_f16 v102, v79, v15
	;;#ASMEND
	;;#ASMSTART
	v_dot2c_f32_f16 v87, v75, v15
	;;#ASMEND
	s_and_saveexec_b64 s[16:17], vcc
	s_cbranch_execz .LBB13_7
; %bb.19:                               ;   in Loop: Header=BB13_9 Depth=2
	;;#ASMSTART
	v_dot2c_f32_f16 v81, v44, v8
	;;#ASMEND
	;;#ASMSTART
	v_dot2c_f32_f16 v103, v40, v8
	;;#ASMEND
	;; [unrolled: 3-line block ×4, first 2 shown]
	v_add_u32_e32 v88, 0x400, v90
	;;#ASMSTART
	v_dot2c_f32_f16 v81, v45, v9
	;;#ASMEND
	;;#ASMSTART
	v_dot2c_f32_f16 v103, v41, v9
	;;#ASMEND
	;; [unrolled: 3-line block ×4, first 2 shown]
	v_cmp_gt_u32_e32 vcc, s6, v88
	;;#ASMSTART
	v_dot2c_f32_f16 v81, v46, v10
	;;#ASMEND
	;;#ASMSTART
	v_dot2c_f32_f16 v103, v42, v10
	;;#ASMEND
	;; [unrolled: 3-line block ×4, first 2 shown]
	s_nop 0
	;;#ASMSTART
	v_dot2c_f32_f16 v81, v47, v11
	;;#ASMEND
	;;#ASMSTART
	v_dot2c_f32_f16 v103, v43, v11
	;;#ASMEND
	;; [unrolled: 3-line block ×4, first 2 shown]
	s_and_saveexec_b64 s[18:19], vcc
	s_cbranch_execz .LBB13_6
; %bb.20:                               ;   in Loop: Header=BB13_9 Depth=2
	;;#ASMSTART
	v_dot2c_f32_f16 v81, v20, v4
	;;#ASMEND
	;;#ASMSTART
	v_dot2c_f32_f16 v103, v16, v4
	;;#ASMEND
	;; [unrolled: 3-line block ×4, first 2 shown]
	v_add_u32_e32 v88, 0x600, v90
	;;#ASMSTART
	v_dot2c_f32_f16 v81, v21, v5
	;;#ASMEND
	;;#ASMSTART
	v_dot2c_f32_f16 v103, v17, v5
	;;#ASMEND
	;; [unrolled: 3-line block ×4, first 2 shown]
	v_cmp_gt_u32_e32 vcc, s6, v88
	;;#ASMSTART
	v_dot2c_f32_f16 v81, v22, v6
	;;#ASMEND
	;;#ASMSTART
	v_dot2c_f32_f16 v103, v18, v6
	;;#ASMEND
	;; [unrolled: 3-line block ×4, first 2 shown]
	s_nop 0
	;;#ASMSTART
	v_dot2c_f32_f16 v81, v23, v7
	;;#ASMEND
	;;#ASMSTART
	v_dot2c_f32_f16 v103, v19, v7
	;;#ASMEND
	;; [unrolled: 3-line block ×4, first 2 shown]
	s_and_saveexec_b64 s[20:21], vcc
	s_cbranch_execz .LBB13_5
; %bb.21:                               ;   in Loop: Header=BB13_9 Depth=2
	;;#ASMSTART
	v_dot2c_f32_f16 v81, v28, v0
	;;#ASMEND
	;;#ASMSTART
	v_dot2c_f32_f16 v103, v24, v0
	;;#ASMEND
	;;#ASMSTART
	v_dot2c_f32_f16 v102, v68, v0
	;;#ASMEND
	;;#ASMSTART
	v_dot2c_f32_f16 v87, v64, v0
	;;#ASMEND
	s_nop 0
	;;#ASMSTART
	v_dot2c_f32_f16 v81, v29, v1
	;;#ASMEND
	;;#ASMSTART
	v_dot2c_f32_f16 v103, v25, v1
	;;#ASMEND
	;;#ASMSTART
	v_dot2c_f32_f16 v102, v69, v1
	;;#ASMEND
	;;#ASMSTART
	v_dot2c_f32_f16 v87, v65, v1
	;;#ASMEND
	s_nop 0
	;; [unrolled: 13-line block ×3, first 2 shown]
	;;#ASMSTART
	v_dot2c_f32_f16 v81, v31, v3
	;;#ASMEND
	;;#ASMSTART
	v_dot2c_f32_f16 v103, v27, v3
	;;#ASMEND
	;; [unrolled: 3-line block ×4, first 2 shown]
	s_branch .LBB13_5
.LBB13_22:                              ;   in Loop: Header=BB13_3 Depth=1
	v_mov_b32_e32 v81, v89
	v_mov_b32_e32 v103, v89
	;; [unrolled: 1-line block ×4, first 2 shown]
.LBB13_23:                              ;   in Loop: Header=BB13_3 Depth=1
	;;#ASMSTART
	s_nop 0
	v_add_f32 v81, v81, v81 row_shr:8 bound_ctrl:0 
	;;#ASMEND
	;;#ASMSTART
	s_nop 0
	v_add_f32 v103, v103, v103 row_shr:8 bound_ctrl:0 
	;;#ASMEND
	;;#ASMSTART
	s_nop 0
	v_add_f32 v102, v102, v102 row_shr:8 bound_ctrl:0 
	;;#ASMEND
	;;#ASMSTART
	s_nop 0
	v_add_f32 v87, v87, v87 row_shr:8 bound_ctrl:0 
	;;#ASMEND
	s_nop 0
	;;#ASMSTART
	s_nop 0
	v_add_f32 v81, v81, v81 row_shr:4 bound_ctrl:0 
	;;#ASMEND
	;;#ASMSTART
	s_nop 0
	v_add_f32 v103, v103, v103 row_shr:4 bound_ctrl:0 
	;;#ASMEND
	;;#ASMSTART
	s_nop 0
	v_add_f32 v102, v102, v102 row_shr:4 bound_ctrl:0 
	;;#ASMEND
	;;#ASMSTART
	s_nop 0
	v_add_f32 v87, v87, v87 row_shr:4 bound_ctrl:0 
	;;#ASMEND
	s_nop 0
	;; [unrolled: 17-line block ×3, first 2 shown]
	;;#ASMSTART
	s_nop 0
	v_add_f32 v81, v81, v81 wave_shr:1 bound_ctrl:0
	;;#ASMEND
	;;#ASMSTART
	s_nop 0
	v_add_f32 v103, v103, v103 wave_shr:1 bound_ctrl:0
	;;#ASMEND
	;; [unrolled: 4-line block ×4, first 2 shown]
	s_nop 0
	;;#ASMSTART
	s_nop 0
	v_add_f32 v81, v81, v81 row_bcast:15 bound_ctrl:0
	;;#ASMEND
	;;#ASMSTART
	s_nop 0
	v_add_f32 v103, v103, v103 row_bcast:15 bound_ctrl:0
	;;#ASMEND
	;; [unrolled: 4-line block ×4, first 2 shown]
	s_nop 0
	;;#ASMSTART
	s_nop 0
	v_add_f32 v81, v81, v81 row_bcast:31 bound_ctrl:0
	;;#ASMEND
	;;#ASMSTART
	s_nop 0
	v_add_f32 v103, v103, v103 row_bcast:31 bound_ctrl:0
	;;#ASMEND
	;; [unrolled: 4-line block ×4, first 2 shown]
	s_and_saveexec_b64 s[4:5], s[0:1]
	s_cbranch_execz .LBB13_2
; %bb.24:                               ;   in Loop: Header=BB13_3 Depth=1
	v_cvt_f16_f32_e32 v88, v81
	v_mov_b32_e32 v81, v89
	v_cvt_f16_f32_e32 v92, v103
	s_waitcnt lgkmcnt(0)
	v_lshl_add_u64 v[90:91], v[80:81], 1, s[12:13]
	v_cvt_f16_f32_e32 v81, v102
	global_store_short v[90:91], v88, off
	v_add_u32_e32 v88, s7, v80
	v_cvt_f16_f32_e32 v87, v87
	v_lshl_add_u64 v[90:91], v[88:89], 1, s[12:13]
	v_add_u32_e32 v88, s7, v88
	global_store_short v[90:91], v92, off
	v_lshl_add_u64 v[90:91], v[88:89], 1, s[12:13]
	v_add_u32_e32 v88, s7, v88
	global_store_short v[90:91], v81, off
	v_lshl_add_u64 v[90:91], v[88:89], 1, s[12:13]
	global_store_short v[90:91], v87, off
	s_branch .LBB13_2
.LBB13_25:
	s_endpgm
	.section	.rodata,"a",@progbits
	.p2align	6, 0x0
	.amdhsa_kernel _ZN5aiter32wv_splitk_small_fp16_bf16_kernelI6__halfLi64ELi1ELi1ELi8ELi4ELi4EEEviiPKT_S4_PS2_ii
		.amdhsa_group_segment_fixed_size 0
		.amdhsa_private_segment_fixed_size 0
		.amdhsa_kernarg_size 40
		.amdhsa_user_sgpr_count 2
		.amdhsa_user_sgpr_dispatch_ptr 0
		.amdhsa_user_sgpr_queue_ptr 0
		.amdhsa_user_sgpr_kernarg_segment_ptr 1
		.amdhsa_user_sgpr_dispatch_id 0
		.amdhsa_user_sgpr_kernarg_preload_length 0
		.amdhsa_user_sgpr_kernarg_preload_offset 0
		.amdhsa_user_sgpr_private_segment_size 0
		.amdhsa_uses_dynamic_stack 0
		.amdhsa_enable_private_segment 0
		.amdhsa_system_sgpr_workgroup_id_x 1
		.amdhsa_system_sgpr_workgroup_id_y 0
		.amdhsa_system_sgpr_workgroup_id_z 0
		.amdhsa_system_sgpr_workgroup_info 0
		.amdhsa_system_vgpr_workitem_id 1
		.amdhsa_next_free_vgpr 106
		.amdhsa_next_free_sgpr 27
		.amdhsa_accum_offset 108
		.amdhsa_reserve_vcc 1
		.amdhsa_float_round_mode_32 0
		.amdhsa_float_round_mode_16_64 0
		.amdhsa_float_denorm_mode_32 3
		.amdhsa_float_denorm_mode_16_64 3
		.amdhsa_dx10_clamp 1
		.amdhsa_ieee_mode 1
		.amdhsa_fp16_overflow 0
		.amdhsa_tg_split 0
		.amdhsa_exception_fp_ieee_invalid_op 0
		.amdhsa_exception_fp_denorm_src 0
		.amdhsa_exception_fp_ieee_div_zero 0
		.amdhsa_exception_fp_ieee_overflow 0
		.amdhsa_exception_fp_ieee_underflow 0
		.amdhsa_exception_fp_ieee_inexact 0
		.amdhsa_exception_int_div_zero 0
	.end_amdhsa_kernel
	.section	.text._ZN5aiter32wv_splitk_small_fp16_bf16_kernelI6__halfLi64ELi1ELi1ELi8ELi4ELi4EEEviiPKT_S4_PS2_ii,"axG",@progbits,_ZN5aiter32wv_splitk_small_fp16_bf16_kernelI6__halfLi64ELi1ELi1ELi8ELi4ELi4EEEviiPKT_S4_PS2_ii,comdat
.Lfunc_end13:
	.size	_ZN5aiter32wv_splitk_small_fp16_bf16_kernelI6__halfLi64ELi1ELi1ELi8ELi4ELi4EEEviiPKT_S4_PS2_ii, .Lfunc_end13-_ZN5aiter32wv_splitk_small_fp16_bf16_kernelI6__halfLi64ELi1ELi1ELi8ELi4ELi4EEEviiPKT_S4_PS2_ii
                                        ; -- End function
	.section	.AMDGPU.csdata,"",@progbits
; Kernel info:
; codeLenInByte = 2004
; NumSgprs: 33
; NumVgprs: 106
; NumAgprs: 0
; TotalNumVgprs: 106
; ScratchSize: 0
; MemoryBound: 1
; FloatMode: 240
; IeeeMode: 1
; LDSByteSize: 0 bytes/workgroup (compile time only)
; SGPRBlocks: 4
; VGPRBlocks: 13
; NumSGPRsForWavesPerEU: 33
; NumVGPRsForWavesPerEU: 106
; AccumOffset: 108
; Occupancy: 4
; WaveLimiterHint : 0
; COMPUTE_PGM_RSRC2:SCRATCH_EN: 0
; COMPUTE_PGM_RSRC2:USER_SGPR: 2
; COMPUTE_PGM_RSRC2:TRAP_HANDLER: 0
; COMPUTE_PGM_RSRC2:TGID_X_EN: 1
; COMPUTE_PGM_RSRC2:TGID_Y_EN: 0
; COMPUTE_PGM_RSRC2:TGID_Z_EN: 0
; COMPUTE_PGM_RSRC2:TIDIG_COMP_CNT: 1
; COMPUTE_PGM_RSRC3_GFX90A:ACCUM_OFFSET: 26
; COMPUTE_PGM_RSRC3_GFX90A:TG_SPLIT: 0
	.section	.text._ZN5aiter32wv_splitk_small_fp16_bf16_kernelI6__halfLi64ELi1ELi1ELi8ELi4ELi5EEEviiPKT_S4_PS2_ii,"axG",@progbits,_ZN5aiter32wv_splitk_small_fp16_bf16_kernelI6__halfLi64ELi1ELi1ELi8ELi4ELi5EEEviiPKT_S4_PS2_ii,comdat
	.protected	_ZN5aiter32wv_splitk_small_fp16_bf16_kernelI6__halfLi64ELi1ELi1ELi8ELi4ELi5EEEviiPKT_S4_PS2_ii ; -- Begin function _ZN5aiter32wv_splitk_small_fp16_bf16_kernelI6__halfLi64ELi1ELi1ELi8ELi4ELi5EEEviiPKT_S4_PS2_ii
	.globl	_ZN5aiter32wv_splitk_small_fp16_bf16_kernelI6__halfLi64ELi1ELi1ELi8ELi4ELi5EEEviiPKT_S4_PS2_ii
	.p2align	8
	.type	_ZN5aiter32wv_splitk_small_fp16_bf16_kernelI6__halfLi64ELi1ELi1ELi8ELi4ELi5EEEviiPKT_S4_PS2_ii,@function
_ZN5aiter32wv_splitk_small_fp16_bf16_kernelI6__halfLi64ELi1ELi1ELi8ELi4ELi5EEEviiPKT_S4_PS2_ii: ; @_ZN5aiter32wv_splitk_small_fp16_bf16_kernelI6__halfLi64ELi1ELi1ELi8ELi4ELi5EEEviiPKT_S4_PS2_ii
; %bb.0:
	s_load_dwordx2 s[4:5], s[0:1], 0x20
	s_load_dwordx2 s[6:7], s[0:1], 0x0
	v_bfe_u32 v1, v0, 10, 10
	s_waitcnt lgkmcnt(0)
	s_mul_i32 s2, s2, s4
	v_add_u32_e32 v96, s2, v1
	v_cmp_gt_u32_e32 vcc, s7, v96
	s_and_saveexec_b64 s[2:3], vcc
	s_cbranch_execz .LBB14_25
; %bb.1:
	v_and_b32_e32 v0, 0x3ff, v0
	v_lshlrev_b32_e32 v98, 3, v0
	s_load_dwordx4 s[8:11], s[0:1], 0x8
	s_load_dwordx2 s[12:13], s[0:1], 0x18
	v_mad_u64_u32 v[100:101], s[2:3], s6, v96, v[98:99]
	v_lshl_add_u32 v99, s6, 1, v98
	s_cmp_lg_u32 s6, 0
	v_mad_u64_u32 v[102:103], s[2:3], s6, 3, v[98:99]
	s_cselect_b64 s[2:3], -1, 0
	v_cmp_eq_u32_e64 s[0:1], 63, v0
	s_mul_i32 s24, s5, s4
	v_cndmask_b32_e64 v0, 0, 1, s[2:3]
	s_mul_i32 s25, s24, s6
	v_lshl_add_u32 v101, s6, 2, v98
	v_add_u32_e32 v103, s6, v98
	s_mov_b64 s[14:15], 0
	v_cmp_ne_u32_e64 s[2:3], 1, v0
	v_mov_b32_e32 v105, 0
                                        ; implicit-def: $vgpr0_vgpr1_vgpr2_vgpr3
                                        ; implicit-def: $vgpr4_vgpr5_vgpr6_vgpr7
                                        ; implicit-def: $vgpr8_vgpr9_vgpr10_vgpr11
                                        ; implicit-def: $vgpr12_vgpr13_vgpr14_vgpr15
                                        ; implicit-def: $vgpr90_vgpr91
                                        ; implicit-def: $vgpr62_vgpr63
                                        ; implicit-def: $vgpr66_vgpr67
                                        ; implicit-def: $vgpr22_vgpr23
                                        ; implicit-def: $vgpr30_vgpr31
                                        ; implicit-def: $vgpr46_vgpr47
                                        ; implicit-def: $vgpr34_vgpr35
                                        ; implicit-def: $vgpr38_vgpr39
                                        ; implicit-def: $vgpr18_vgpr19
                                        ; implicit-def: $vgpr26_vgpr27
                                        ; implicit-def: $vgpr78_vgpr79
                                        ; implicit-def: $vgpr70_vgpr71
                                        ; implicit-def: $vgpr74_vgpr75
                                        ; implicit-def: $vgpr42_vgpr43
                                        ; implicit-def: $vgpr50_vgpr51
                                        ; implicit-def: $vgpr94_vgpr95
                                        ; implicit-def: $vgpr82_vgpr83
                                        ; implicit-def: $vgpr86_vgpr87
                                        ; implicit-def: $vgpr54_vgpr55
                                        ; implicit-def: $vgpr58_vgpr59
	s_branch .LBB14_3
.LBB14_2:                               ;   in Loop: Header=BB14_3 Depth=1
	s_or_b64 exec, exec, s[4:5]
	v_add_u32_e32 v96, s24, v96
	v_cmp_le_u32_e32 vcc, s7, v96
	s_or_b64 s[14:15], vcc, s[14:15]
	v_add_u32_e32 v100, s25, v100
	s_andn2_b64 exec, exec, s[14:15]
	s_cbranch_execz .LBB14_25
.LBB14_3:                               ; =>This Loop Header: Depth=1
                                        ;     Child Loop BB14_9 Depth 2
	s_and_b64 vcc, exec, s[2:3]
	s_mov_b32 s26, 0
	s_cbranch_vccnz .LBB14_22
; %bb.4:                                ;   in Loop: Header=BB14_3 Depth=1
	v_mov_b32_e32 v120, 0
	v_mov_b32_e32 v121, 0
	;; [unrolled: 1-line block ×5, first 2 shown]
	s_branch .LBB14_9
.LBB14_5:                               ;   in Loop: Header=BB14_9 Depth=2
	s_or_b64 exec, exec, s[20:21]
.LBB14_6:                               ;   in Loop: Header=BB14_9 Depth=2
	s_or_b64 exec, exec, s[18:19]
.LBB14_7:                               ;   in Loop: Header=BB14_9 Depth=2
	s_or_b64 exec, exec, s[16:17]
.LBB14_8:                               ;   in Loop: Header=BB14_9 Depth=2
	s_or_b64 exec, exec, s[4:5]
	s_addk_i32 s26, 0x800
	s_cmp_ge_u32 s26, s6
	s_cbranch_scc1 .LBB14_23
.LBB14_9:                               ;   Parent Loop BB14_3 Depth=1
                                        ; =>  This Inner Loop Header: Depth=2
	v_add_u32_e32 v106, s26, v98
	v_cmp_gt_u32_e32 vcc, s6, v106
	v_add_u32_e32 v108, 0x200, v106
	s_and_saveexec_b64 s[16:17], vcc
	s_cbranch_execz .LBB14_17
; %bb.10:                               ;   in Loop: Header=BB14_9 Depth=2
	v_add_u32_e32 v104, s26, v100
	v_mov_b32_e32 v107, v105
	v_add_u32_e32 v116, s26, v103
	v_mov_b32_e32 v117, v105
	;; [unrolled: 2-line block ×3, first 2 shown]
	s_waitcnt vmcnt(5) lgkmcnt(0)
	v_lshl_add_u64 v[12:13], v[104:105], 1, s[8:9]
	s_waitcnt vmcnt(1)
	v_lshl_add_u64 v[80:81], v[106:107], 1, s[10:11]
	v_lshl_add_u64 v[82:83], v[116:117], 1, s[10:11]
	s_waitcnt vmcnt(0)
	v_lshl_add_u64 v[92:93], v[114:115], 1, s[10:11]
	v_add_u32_e32 v112, s26, v102
	v_mov_b32_e32 v113, v105
	v_add_u32_e32 v110, s26, v101
	v_mov_b32_e32 v111, v105
	global_load_dwordx4 v[12:15], v[12:13], off nt
	s_nop 0
	global_load_dwordx4 v[56:59], v[80:81], off
	global_load_dwordx4 v[52:55], v[82:83], off
	v_lshl_add_u64 v[94:95], v[112:113], 1, s[10:11]
	global_load_dwordx4 v[84:87], v[92:93], off
	global_load_dwordx4 v[80:83], v[94:95], off
	v_lshl_add_u64 v[92:93], v[110:111], 1, s[10:11]
	global_load_dwordx4 v[92:95], v[92:93], off
	v_cmp_gt_u32_e64 s[4:5], s6, v108
	s_and_saveexec_b64 s[18:19], s[4:5]
	s_cbranch_execz .LBB14_16
; %bb.11:                               ;   in Loop: Header=BB14_9 Depth=2
	v_add_u32_e32 v8, 0x200, v104
	v_mov_b32_e32 v9, v105
	v_mov_b32_e32 v109, v105
	v_lshl_add_u64 v[8:9], v[8:9], 1, s[8:9]
	v_lshl_add_u64 v[68:69], v[108:109], 1, s[10:11]
	v_add_u32_e32 v40, 0x200, v116
	v_mov_b32_e32 v41, v105
	global_load_dwordx4 v[8:11], v[8:9], off nt
	v_lshl_add_u64 v[70:71], v[40:41], 1, s[10:11]
	global_load_dwordx4 v[48:51], v[68:69], off
	global_load_dwordx4 v[40:43], v[70:71], off
	v_add_u32_e32 v68, 0x200, v114
	v_mov_b32_e32 v69, v105
	v_lshl_add_u64 v[76:77], v[68:69], 1, s[10:11]
	v_add_u32_e32 v68, 0x200, v112
	v_lshl_add_u64 v[78:79], v[68:69], 1, s[10:11]
	global_load_dwordx4 v[72:75], v[76:77], off
	global_load_dwordx4 v[68:71], v[78:79], off
	v_add_u32_e32 v76, 0x200, v110
	v_mov_b32_e32 v77, v105
	v_lshl_add_u64 v[76:77], v[76:77], 1, s[10:11]
	global_load_dwordx4 v[76:79], v[76:77], off
	v_add_u32_e32 v118, 0x400, v106
	v_cmp_gt_u32_e64 s[4:5], s6, v118
	s_and_saveexec_b64 s[20:21], s[4:5]
	s_cbranch_execz .LBB14_15
; %bb.12:                               ;   in Loop: Header=BB14_9 Depth=2
	v_add_u32_e32 v4, 0x400, v104
	v_mov_b32_e32 v5, v105
	v_mov_b32_e32 v119, v105
	v_lshl_add_u64 v[4:5], v[4:5], 1, s[8:9]
	v_lshl_add_u64 v[32:33], v[118:119], 1, s[10:11]
	v_add_u32_e32 v16, 0x400, v116
	v_mov_b32_e32 v17, v105
	global_load_dwordx4 v[4:7], v[4:5], off nt
	v_lshl_add_u64 v[34:35], v[16:17], 1, s[10:11]
	global_load_dwordx4 v[24:27], v[32:33], off
	global_load_dwordx4 v[16:19], v[34:35], off
	v_add_u32_e32 v32, 0x400, v114
	v_mov_b32_e32 v33, v105
	v_lshl_add_u64 v[44:45], v[32:33], 1, s[10:11]
	v_add_u32_e32 v32, 0x400, v112
	v_lshl_add_u64 v[46:47], v[32:33], 1, s[10:11]
	global_load_dwordx4 v[36:39], v[44:45], off
	global_load_dwordx4 v[32:35], v[46:47], off
	v_add_u32_e32 v44, 0x400, v110
	v_mov_b32_e32 v45, v105
	v_lshl_add_u64 v[44:45], v[44:45], 1, s[10:11]
	global_load_dwordx4 v[44:47], v[44:45], off
	v_add_u32_e32 v118, 0x600, v106
	v_cmp_gt_u32_e64 s[4:5], s6, v118
	s_and_saveexec_b64 s[22:23], s[4:5]
	s_cbranch_execz .LBB14_14
; %bb.13:                               ;   in Loop: Header=BB14_9 Depth=2
	v_add_u32_e32 v104, 0x600, v104
	v_lshl_add_u64 v[0:1], v[104:105], 1, s[8:9]
	v_add_u32_e32 v104, 0x600, v116
	v_lshl_add_u64 v[62:63], v[104:105], 1, s[10:11]
	v_add_u32_e32 v104, 0x600, v114
	v_mov_b32_e32 v119, v105
	v_lshl_add_u64 v[88:89], v[104:105], 1, s[10:11]
	v_add_u32_e32 v104, 0x600, v112
	v_lshl_add_u64 v[60:61], v[118:119], 1, s[10:11]
	v_lshl_add_u64 v[90:91], v[104:105], 1, s[10:11]
	v_add_u32_e32 v104, 0x600, v110
	global_load_dwordx4 v[0:3], v[0:1], off nt
	s_nop 0
	global_load_dwordx4 v[28:31], v[60:61], off
	global_load_dwordx4 v[20:23], v[62:63], off
	;; [unrolled: 1-line block ×3, first 2 shown]
	s_nop 0
	global_load_dwordx4 v[60:63], v[90:91], off
	v_lshl_add_u64 v[88:89], v[104:105], 1, s[10:11]
	global_load_dwordx4 v[88:91], v[88:89], off
.LBB14_14:                              ;   in Loop: Header=BB14_9 Depth=2
	s_or_b64 exec, exec, s[22:23]
.LBB14_15:                              ;   in Loop: Header=BB14_9 Depth=2
	s_or_b64 exec, exec, s[20:21]
.LBB14_16:                              ;   in Loop: Header=BB14_9 Depth=2
	s_or_b64 exec, exec, s[18:19]
.LBB14_17:                              ;   in Loop: Header=BB14_9 Depth=2
	s_or_b64 exec, exec, s[16:17]
	s_and_saveexec_b64 s[4:5], vcc
	s_cbranch_execz .LBB14_8
; %bb.18:                               ;   in Loop: Header=BB14_9 Depth=2
	s_waitcnt vmcnt(4)
	;;#ASMSTART
	v_dot2c_f32_f16 v97, v56, v12
	;;#ASMEND
	s_waitcnt vmcnt(3)
	;;#ASMSTART
	v_dot2c_f32_f16 v123, v52, v12
	;;#ASMEND
	;; [unrolled: 4-line block ×5, first 2 shown]
	v_cmp_gt_u32_e32 vcc, s6, v108
	;;#ASMSTART
	v_dot2c_f32_f16 v97, v57, v13
	;;#ASMEND
	;;#ASMSTART
	v_dot2c_f32_f16 v123, v53, v13
	;;#ASMEND
	;; [unrolled: 3-line block ×5, first 2 shown]
	s_nop 0
	;;#ASMSTART
	v_dot2c_f32_f16 v97, v58, v14
	;;#ASMEND
	;;#ASMSTART
	v_dot2c_f32_f16 v123, v54, v14
	;;#ASMEND
	;;#ASMSTART
	v_dot2c_f32_f16 v122, v86, v14
	;;#ASMEND
	;;#ASMSTART
	v_dot2c_f32_f16 v121, v82, v14
	;;#ASMEND
	;;#ASMSTART
	v_dot2c_f32_f16 v120, v94, v14
	;;#ASMEND
	s_nop 0
	;;#ASMSTART
	v_dot2c_f32_f16 v97, v59, v15
	;;#ASMEND
	;;#ASMSTART
	v_dot2c_f32_f16 v123, v55, v15
	;;#ASMEND
	;; [unrolled: 3-line block ×5, first 2 shown]
	s_and_saveexec_b64 s[16:17], vcc
	s_cbranch_execz .LBB14_7
; %bb.19:                               ;   in Loop: Header=BB14_9 Depth=2
	;;#ASMSTART
	v_dot2c_f32_f16 v97, v48, v8
	;;#ASMEND
	;;#ASMSTART
	v_dot2c_f32_f16 v123, v40, v8
	;;#ASMEND
	;; [unrolled: 3-line block ×5, first 2 shown]
	v_add_u32_e32 v104, 0x400, v106
	;;#ASMSTART
	v_dot2c_f32_f16 v97, v49, v9
	;;#ASMEND
	;;#ASMSTART
	v_dot2c_f32_f16 v123, v41, v9
	;;#ASMEND
	;; [unrolled: 3-line block ×5, first 2 shown]
	v_cmp_gt_u32_e32 vcc, s6, v104
	;;#ASMSTART
	v_dot2c_f32_f16 v97, v50, v10
	;;#ASMEND
	;;#ASMSTART
	v_dot2c_f32_f16 v123, v42, v10
	;;#ASMEND
	;;#ASMSTART
	v_dot2c_f32_f16 v122, v74, v10
	;;#ASMEND
	;;#ASMSTART
	v_dot2c_f32_f16 v121, v70, v10
	;;#ASMEND
	;;#ASMSTART
	v_dot2c_f32_f16 v120, v78, v10
	;;#ASMEND
	s_nop 0
	;;#ASMSTART
	v_dot2c_f32_f16 v97, v51, v11
	;;#ASMEND
	;;#ASMSTART
	v_dot2c_f32_f16 v123, v43, v11
	;;#ASMEND
	;; [unrolled: 3-line block ×5, first 2 shown]
	s_and_saveexec_b64 s[18:19], vcc
	s_cbranch_execz .LBB14_6
; %bb.20:                               ;   in Loop: Header=BB14_9 Depth=2
	;;#ASMSTART
	v_dot2c_f32_f16 v97, v24, v4
	;;#ASMEND
	;;#ASMSTART
	v_dot2c_f32_f16 v123, v16, v4
	;;#ASMEND
	;;#ASMSTART
	v_dot2c_f32_f16 v122, v36, v4
	;;#ASMEND
	;;#ASMSTART
	v_dot2c_f32_f16 v121, v32, v4
	;;#ASMEND
	;;#ASMSTART
	v_dot2c_f32_f16 v120, v44, v4
	;;#ASMEND
	v_add_u32_e32 v104, 0x600, v106
	;;#ASMSTART
	v_dot2c_f32_f16 v97, v25, v5
	;;#ASMEND
	;;#ASMSTART
	v_dot2c_f32_f16 v123, v17, v5
	;;#ASMEND
	;; [unrolled: 3-line block ×5, first 2 shown]
	v_cmp_gt_u32_e32 vcc, s6, v104
	;;#ASMSTART
	v_dot2c_f32_f16 v97, v26, v6
	;;#ASMEND
	;;#ASMSTART
	v_dot2c_f32_f16 v123, v18, v6
	;;#ASMEND
	;; [unrolled: 3-line block ×5, first 2 shown]
	s_nop 0
	;;#ASMSTART
	v_dot2c_f32_f16 v97, v27, v7
	;;#ASMEND
	;;#ASMSTART
	v_dot2c_f32_f16 v123, v19, v7
	;;#ASMEND
	;; [unrolled: 3-line block ×5, first 2 shown]
	s_and_saveexec_b64 s[20:21], vcc
	s_cbranch_execz .LBB14_5
; %bb.21:                               ;   in Loop: Header=BB14_9 Depth=2
	;;#ASMSTART
	v_dot2c_f32_f16 v97, v28, v0
	;;#ASMEND
	;;#ASMSTART
	v_dot2c_f32_f16 v123, v20, v0
	;;#ASMEND
	;;#ASMSTART
	v_dot2c_f32_f16 v122, v64, v0
	;;#ASMEND
	;;#ASMSTART
	v_dot2c_f32_f16 v121, v60, v0
	;;#ASMEND
	;;#ASMSTART
	v_dot2c_f32_f16 v120, v88, v0
	;;#ASMEND
	s_nop 0
	;;#ASMSTART
	v_dot2c_f32_f16 v97, v29, v1
	;;#ASMEND
	;;#ASMSTART
	v_dot2c_f32_f16 v123, v21, v1
	;;#ASMEND
	;;#ASMSTART
	v_dot2c_f32_f16 v122, v65, v1
	;;#ASMEND
	;;#ASMSTART
	v_dot2c_f32_f16 v121, v61, v1
	;;#ASMEND
	;;#ASMSTART
	v_dot2c_f32_f16 v120, v89, v1
	;;#ASMEND
	s_nop 0
	;; [unrolled: 16-line block ×3, first 2 shown]
	;;#ASMSTART
	v_dot2c_f32_f16 v97, v31, v3
	;;#ASMEND
	;;#ASMSTART
	v_dot2c_f32_f16 v123, v23, v3
	;;#ASMEND
	;; [unrolled: 3-line block ×5, first 2 shown]
	s_branch .LBB14_5
.LBB14_22:                              ;   in Loop: Header=BB14_3 Depth=1
	v_mov_b32_e32 v97, v105
	v_mov_b32_e32 v123, v105
	;; [unrolled: 1-line block ×5, first 2 shown]
.LBB14_23:                              ;   in Loop: Header=BB14_3 Depth=1
	;;#ASMSTART
	s_nop 0
	v_add_f32 v97, v97, v97 row_shr:8 bound_ctrl:0 
	;;#ASMEND
	;;#ASMSTART
	s_nop 0
	v_add_f32 v123, v123, v123 row_shr:8 bound_ctrl:0 
	;;#ASMEND
	;;#ASMSTART
	s_nop 0
	v_add_f32 v122, v122, v122 row_shr:8 bound_ctrl:0 
	;;#ASMEND
	;;#ASMSTART
	s_nop 0
	v_add_f32 v121, v121, v121 row_shr:8 bound_ctrl:0 
	;;#ASMEND
	;;#ASMSTART
	s_nop 0
	v_add_f32 v120, v120, v120 row_shr:8 bound_ctrl:0 
	;;#ASMEND
	s_nop 0
	;;#ASMSTART
	s_nop 0
	v_add_f32 v97, v97, v97 row_shr:4 bound_ctrl:0 
	;;#ASMEND
	;;#ASMSTART
	s_nop 0
	v_add_f32 v123, v123, v123 row_shr:4 bound_ctrl:0 
	;;#ASMEND
	;;#ASMSTART
	s_nop 0
	v_add_f32 v122, v122, v122 row_shr:4 bound_ctrl:0 
	;;#ASMEND
	;;#ASMSTART
	s_nop 0
	v_add_f32 v121, v121, v121 row_shr:4 bound_ctrl:0 
	;;#ASMEND
	;;#ASMSTART
	s_nop 0
	v_add_f32 v120, v120, v120 row_shr:4 bound_ctrl:0 
	;;#ASMEND
	s_nop 0
	;; [unrolled: 21-line block ×3, first 2 shown]
	;;#ASMSTART
	s_nop 0
	v_add_f32 v97, v97, v97 wave_shr:1 bound_ctrl:0
	;;#ASMEND
	;;#ASMSTART
	s_nop 0
	v_add_f32 v123, v123, v123 wave_shr:1 bound_ctrl:0
	;;#ASMEND
	;; [unrolled: 4-line block ×5, first 2 shown]
	s_nop 0
	;;#ASMSTART
	s_nop 0
	v_add_f32 v97, v97, v97 row_bcast:15 bound_ctrl:0
	;;#ASMEND
	;;#ASMSTART
	s_nop 0
	v_add_f32 v123, v123, v123 row_bcast:15 bound_ctrl:0
	;;#ASMEND
	;; [unrolled: 4-line block ×5, first 2 shown]
	s_nop 0
	;;#ASMSTART
	s_nop 0
	v_add_f32 v97, v97, v97 row_bcast:31 bound_ctrl:0
	;;#ASMEND
	;;#ASMSTART
	s_nop 0
	v_add_f32 v123, v123, v123 row_bcast:31 bound_ctrl:0
	;;#ASMEND
	;; [unrolled: 4-line block ×5, first 2 shown]
	s_and_saveexec_b64 s[4:5], s[0:1]
	s_cbranch_execz .LBB14_2
; %bb.24:                               ;   in Loop: Header=BB14_3 Depth=1
	v_cvt_f16_f32_e32 v104, v97
	v_mov_b32_e32 v97, v105
	v_cvt_f16_f32_e32 v108, v123
	s_waitcnt lgkmcnt(0)
	v_lshl_add_u64 v[106:107], v[96:97], 1, s[12:13]
	v_cvt_f16_f32_e32 v97, v122
	global_store_short v[106:107], v104, off
	v_add_u32_e32 v104, s7, v96
	v_lshl_add_u64 v[106:107], v[104:105], 1, s[12:13]
	v_add_u32_e32 v104, s7, v104
	global_store_short v[106:107], v108, off
	v_lshl_add_u64 v[106:107], v[104:105], 1, s[12:13]
	global_store_short v[106:107], v97, off
	v_cvt_f16_f32_e32 v97, v121
	v_cvt_f16_f32_e32 v108, v120
	v_add_u32_e32 v104, s7, v104
	v_lshl_add_u64 v[106:107], v[104:105], 1, s[12:13]
	v_add_u32_e32 v104, s7, v104
	global_store_short v[106:107], v97, off
	v_lshl_add_u64 v[106:107], v[104:105], 1, s[12:13]
	global_store_short v[106:107], v108, off
	s_branch .LBB14_2
.LBB14_25:
	s_endpgm
	.section	.rodata,"a",@progbits
	.p2align	6, 0x0
	.amdhsa_kernel _ZN5aiter32wv_splitk_small_fp16_bf16_kernelI6__halfLi64ELi1ELi1ELi8ELi4ELi5EEEviiPKT_S4_PS2_ii
		.amdhsa_group_segment_fixed_size 0
		.amdhsa_private_segment_fixed_size 0
		.amdhsa_kernarg_size 40
		.amdhsa_user_sgpr_count 2
		.amdhsa_user_sgpr_dispatch_ptr 0
		.amdhsa_user_sgpr_queue_ptr 0
		.amdhsa_user_sgpr_kernarg_segment_ptr 1
		.amdhsa_user_sgpr_dispatch_id 0
		.amdhsa_user_sgpr_kernarg_preload_length 0
		.amdhsa_user_sgpr_kernarg_preload_offset 0
		.amdhsa_user_sgpr_private_segment_size 0
		.amdhsa_uses_dynamic_stack 0
		.amdhsa_enable_private_segment 0
		.amdhsa_system_sgpr_workgroup_id_x 1
		.amdhsa_system_sgpr_workgroup_id_y 0
		.amdhsa_system_sgpr_workgroup_id_z 0
		.amdhsa_system_sgpr_workgroup_info 0
		.amdhsa_system_vgpr_workitem_id 1
		.amdhsa_next_free_vgpr 124
		.amdhsa_next_free_sgpr 27
		.amdhsa_accum_offset 124
		.amdhsa_reserve_vcc 1
		.amdhsa_float_round_mode_32 0
		.amdhsa_float_round_mode_16_64 0
		.amdhsa_float_denorm_mode_32 3
		.amdhsa_float_denorm_mode_16_64 3
		.amdhsa_dx10_clamp 1
		.amdhsa_ieee_mode 1
		.amdhsa_fp16_overflow 0
		.amdhsa_tg_split 0
		.amdhsa_exception_fp_ieee_invalid_op 0
		.amdhsa_exception_fp_denorm_src 0
		.amdhsa_exception_fp_ieee_div_zero 0
		.amdhsa_exception_fp_ieee_overflow 0
		.amdhsa_exception_fp_ieee_underflow 0
		.amdhsa_exception_fp_ieee_inexact 0
		.amdhsa_exception_int_div_zero 0
	.end_amdhsa_kernel
	.section	.text._ZN5aiter32wv_splitk_small_fp16_bf16_kernelI6__halfLi64ELi1ELi1ELi8ELi4ELi5EEEviiPKT_S4_PS2_ii,"axG",@progbits,_ZN5aiter32wv_splitk_small_fp16_bf16_kernelI6__halfLi64ELi1ELi1ELi8ELi4ELi5EEEviiPKT_S4_PS2_ii,comdat
.Lfunc_end14:
	.size	_ZN5aiter32wv_splitk_small_fp16_bf16_kernelI6__halfLi64ELi1ELi1ELi8ELi4ELi5EEEviiPKT_S4_PS2_ii, .Lfunc_end14-_ZN5aiter32wv_splitk_small_fp16_bf16_kernelI6__halfLi64ELi1ELi1ELi8ELi4ELi5EEEviiPKT_S4_PS2_ii
                                        ; -- End function
	.section	.AMDGPU.csdata,"",@progbits
; Kernel info:
; codeLenInByte = 2384
; NumSgprs: 33
; NumVgprs: 124
; NumAgprs: 0
; TotalNumVgprs: 124
; ScratchSize: 0
; MemoryBound: 1
; FloatMode: 240
; IeeeMode: 1
; LDSByteSize: 0 bytes/workgroup (compile time only)
; SGPRBlocks: 4
; VGPRBlocks: 15
; NumSGPRsForWavesPerEU: 33
; NumVGPRsForWavesPerEU: 124
; AccumOffset: 124
; Occupancy: 4
; WaveLimiterHint : 0
; COMPUTE_PGM_RSRC2:SCRATCH_EN: 0
; COMPUTE_PGM_RSRC2:USER_SGPR: 2
; COMPUTE_PGM_RSRC2:TRAP_HANDLER: 0
; COMPUTE_PGM_RSRC2:TGID_X_EN: 1
; COMPUTE_PGM_RSRC2:TGID_Y_EN: 0
; COMPUTE_PGM_RSRC2:TGID_Z_EN: 0
; COMPUTE_PGM_RSRC2:TIDIG_COMP_CNT: 1
; COMPUTE_PGM_RSRC3_GFX90A:ACCUM_OFFSET: 30
; COMPUTE_PGM_RSRC3_GFX90A:TG_SPLIT: 0
	.section	.text._ZN5aiter32wv_splitk_small_fp16_bf16_kernelI6__halfLi64ELi1ELi1ELi8ELi4ELi6EEEviiPKT_S4_PS2_ii,"axG",@progbits,_ZN5aiter32wv_splitk_small_fp16_bf16_kernelI6__halfLi64ELi1ELi1ELi8ELi4ELi6EEEviiPKT_S4_PS2_ii,comdat
	.protected	_ZN5aiter32wv_splitk_small_fp16_bf16_kernelI6__halfLi64ELi1ELi1ELi8ELi4ELi6EEEviiPKT_S4_PS2_ii ; -- Begin function _ZN5aiter32wv_splitk_small_fp16_bf16_kernelI6__halfLi64ELi1ELi1ELi8ELi4ELi6EEEviiPKT_S4_PS2_ii
	.globl	_ZN5aiter32wv_splitk_small_fp16_bf16_kernelI6__halfLi64ELi1ELi1ELi8ELi4ELi6EEEviiPKT_S4_PS2_ii
	.p2align	8
	.type	_ZN5aiter32wv_splitk_small_fp16_bf16_kernelI6__halfLi64ELi1ELi1ELi8ELi4ELi6EEEviiPKT_S4_PS2_ii,@function
_ZN5aiter32wv_splitk_small_fp16_bf16_kernelI6__halfLi64ELi1ELi1ELi8ELi4ELi6EEEviiPKT_S4_PS2_ii: ; @_ZN5aiter32wv_splitk_small_fp16_bf16_kernelI6__halfLi64ELi1ELi1ELi8ELi4ELi6EEEviiPKT_S4_PS2_ii
; %bb.0:
	s_load_dwordx2 s[4:5], s[0:1], 0x20
	s_load_dwordx2 s[6:7], s[0:1], 0x0
	v_bfe_u32 v1, v0, 10, 10
	s_waitcnt lgkmcnt(0)
	s_mul_i32 s2, s2, s4
	v_add_u32_e32 v112, s2, v1
	v_cmp_gt_u32_e32 vcc, s7, v112
	s_and_saveexec_b64 s[2:3], vcc
	s_cbranch_execz .LBB15_25
; %bb.1:
	v_and_b32_e32 v0, 0x3ff, v0
	v_lshlrev_b32_e32 v114, 3, v0
	s_load_dwordx4 s[8:11], s[0:1], 0x8
	s_load_dwordx2 s[12:13], s[0:1], 0x18
	v_mad_u64_u32 v[116:117], s[2:3], s6, v112, v[114:115]
	v_lshl_add_u32 v115, s6, 1, v114
	s_cmp_lg_u32 s6, 0
	v_mad_u64_u32 v[118:119], s[2:3], s6, 3, v[114:115]
	v_mad_u64_u32 v[120:121], s[2:3], s6, 5, v[114:115]
	s_cselect_b64 s[2:3], -1, 0
	v_cmp_eq_u32_e64 s[0:1], 63, v0
	s_mul_i32 s24, s5, s4
	v_cndmask_b32_e64 v0, 0, 1, s[2:3]
	s_mul_i32 s25, s24, s6
	v_lshl_add_u32 v117, s6, 2, v114
	v_add_u32_e32 v119, s6, v114
	s_mov_b64 s[14:15], 0
	v_cmp_ne_u32_e64 s[2:3], 1, v0
	v_mov_b32_e32 v123, 0
                                        ; implicit-def: $vgpr0_vgpr1_vgpr2_vgpr3
                                        ; implicit-def: $vgpr4_vgpr5_vgpr6_vgpr7
                                        ; implicit-def: $vgpr8_vgpr9_vgpr10_vgpr11
                                        ; implicit-def: $vgpr12_vgpr13_vgpr14_vgpr15
                                        ; implicit-def: $vgpr98_vgpr99
                                        ; implicit-def: $vgpr102_vgpr103
                                        ; implicit-def: $vgpr50_vgpr51
                                        ; implicit-def: $vgpr58_vgpr59
                                        ; implicit-def: $vgpr18_vgpr19
                                        ; implicit-def: $vgpr22_vgpr23
                                        ; implicit-def: $vgpr74_vgpr75
                                        ; implicit-def: $vgpr78_vgpr79
                                        ; implicit-def: $vgpr42_vgpr43
                                        ; implicit-def: $vgpr46_vgpr47
                                        ; implicit-def: $vgpr26_vgpr27
                                        ; implicit-def: $vgpr30_vgpr31
                                        ; implicit-def: $vgpr90_vgpr91
                                        ; implicit-def: $vgpr94_vgpr95
                                        ; implicit-def: $vgpr66_vgpr67
                                        ; implicit-def: $vgpr70_vgpr71
                                        ; implicit-def: $vgpr34_vgpr35
                                        ; implicit-def: $vgpr38_vgpr39
                                        ; implicit-def: $vgpr106_vgpr107
                                        ; implicit-def: $vgpr110_vgpr111
                                        ; implicit-def: $vgpr82_vgpr83
                                        ; implicit-def: $vgpr86_vgpr87
                                        ; implicit-def: $vgpr54_vgpr55
                                        ; implicit-def: $vgpr62_vgpr63
	s_branch .LBB15_3
.LBB15_2:                               ;   in Loop: Header=BB15_3 Depth=1
	s_or_b64 exec, exec, s[4:5]
	v_add_u32_e32 v112, s24, v112
	v_cmp_le_u32_e32 vcc, s7, v112
	s_or_b64 s[14:15], vcc, s[14:15]
	v_add_u32_e32 v116, s25, v116
	s_andn2_b64 exec, exec, s[14:15]
	s_cbranch_execz .LBB15_25
.LBB15_3:                               ; =>This Loop Header: Depth=1
                                        ;     Child Loop BB15_9 Depth 2
	s_and_b64 vcc, exec, s[2:3]
	s_mov_b32 s26, 0
	s_cbranch_vccnz .LBB15_22
; %bb.4:                                ;   in Loop: Header=BB15_3 Depth=1
	v_mov_b32_e32 v121, 0
	v_mov_b32_e32 v140, 0
	;; [unrolled: 1-line block ×6, first 2 shown]
	s_branch .LBB15_9
.LBB15_5:                               ;   in Loop: Header=BB15_9 Depth=2
	s_or_b64 exec, exec, s[20:21]
.LBB15_6:                               ;   in Loop: Header=BB15_9 Depth=2
	s_or_b64 exec, exec, s[18:19]
.LBB15_7:                               ;   in Loop: Header=BB15_9 Depth=2
	s_or_b64 exec, exec, s[16:17]
.LBB15_8:                               ;   in Loop: Header=BB15_9 Depth=2
	s_or_b64 exec, exec, s[4:5]
	s_addk_i32 s26, 0x800
	s_cmp_ge_u32 s26, s6
	s_cbranch_scc1 .LBB15_23
.LBB15_9:                               ;   Parent Loop BB15_3 Depth=1
                                        ; =>  This Inner Loop Header: Depth=2
	v_add_u32_e32 v124, s26, v114
	v_cmp_gt_u32_e32 vcc, s6, v124
	v_add_u32_e32 v126, 0x200, v124
	s_and_saveexec_b64 s[16:17], vcc
	s_cbranch_execz .LBB15_17
; %bb.10:                               ;   in Loop: Header=BB15_9 Depth=2
	v_add_u32_e32 v122, s26, v116
	v_mov_b32_e32 v125, v123
	v_add_u32_e32 v136, s26, v119
	v_mov_b32_e32 v137, v123
	s_waitcnt vmcnt(6) lgkmcnt(0)
	v_lshl_add_u64 v[12:13], v[122:123], 1, s[8:9]
	s_waitcnt vmcnt(2)
	v_lshl_add_u64 v[80:81], v[124:125], 1, s[10:11]
	v_lshl_add_u64 v[82:83], v[136:137], 1, s[10:11]
	v_add_u32_e32 v134, s26, v115
	v_mov_b32_e32 v135, v123
	v_add_u32_e32 v132, s26, v118
	v_mov_b32_e32 v133, v123
	;; [unrolled: 2-line block ×4, first 2 shown]
	global_load_dwordx4 v[12:15], v[12:13], off nt
	s_nop 0
	global_load_dwordx4 v[60:63], v[80:81], off
	global_load_dwordx4 v[52:55], v[82:83], off
	v_lshl_add_u64 v[80:81], v[134:135], 1, s[10:11]
	v_lshl_add_u64 v[82:83], v[132:133], 1, s[10:11]
	s_waitcnt vmcnt(3)
	v_lshl_add_u64 v[104:105], v[130:131], 1, s[10:11]
	v_lshl_add_u64 v[106:107], v[128:129], 1, s[10:11]
	global_load_dwordx4 v[84:87], v[80:81], off
	s_nop 0
	global_load_dwordx4 v[80:83], v[82:83], off
	s_nop 0
	;; [unrolled: 2-line block ×3, first 2 shown]
	global_load_dwordx4 v[104:107], v[106:107], off
	v_cmp_gt_u32_e64 s[4:5], s6, v126
	s_and_saveexec_b64 s[18:19], s[4:5]
	s_cbranch_execz .LBB15_16
; %bb.11:                               ;   in Loop: Header=BB15_9 Depth=2
	v_add_u32_e32 v8, 0x200, v122
	v_mov_b32_e32 v9, v123
	v_mov_b32_e32 v127, v123
	v_add_u32_e32 v32, 0x200, v136
	v_mov_b32_e32 v33, v123
	v_lshl_add_u64 v[8:9], v[8:9], 1, s[8:9]
	v_lshl_add_u64 v[64:65], v[126:127], 1, s[10:11]
	;; [unrolled: 1-line block ×3, first 2 shown]
	global_load_dwordx4 v[8:11], v[8:9], off nt
	s_nop 0
	global_load_dwordx4 v[36:39], v[64:65], off
	global_load_dwordx4 v[32:35], v[66:67], off
	v_add_u32_e32 v64, 0x200, v134
	v_mov_b32_e32 v65, v123
	v_add_u32_e32 v66, 0x200, v132
	v_mov_b32_e32 v67, v123
	v_add_u32_e32 v88, 0x200, v130
	v_mov_b32_e32 v89, v123
	v_add_u32_e32 v90, 0x200, v128
	v_mov_b32_e32 v91, v123
	v_lshl_add_u64 v[64:65], v[64:65], 1, s[10:11]
	v_lshl_add_u64 v[66:67], v[66:67], 1, s[10:11]
	;; [unrolled: 1-line block ×4, first 2 shown]
	global_load_dwordx4 v[68:71], v[64:65], off
	s_nop 0
	global_load_dwordx4 v[64:67], v[66:67], off
	s_nop 0
	;; [unrolled: 2-line block ×3, first 2 shown]
	global_load_dwordx4 v[88:91], v[90:91], off
	v_add_u32_e32 v138, 0x400, v124
	v_cmp_gt_u32_e64 s[4:5], s6, v138
	s_and_saveexec_b64 s[20:21], s[4:5]
	s_cbranch_execz .LBB15_15
; %bb.12:                               ;   in Loop: Header=BB15_9 Depth=2
	v_add_u32_e32 v4, 0x400, v122
	v_mov_b32_e32 v5, v123
	v_mov_b32_e32 v139, v123
	v_add_u32_e32 v24, 0x400, v136
	v_mov_b32_e32 v25, v123
	v_lshl_add_u64 v[4:5], v[4:5], 1, s[8:9]
	v_lshl_add_u64 v[40:41], v[138:139], 1, s[10:11]
	;; [unrolled: 1-line block ×3, first 2 shown]
	global_load_dwordx4 v[4:7], v[4:5], off nt
	s_nop 0
	global_load_dwordx4 v[28:31], v[40:41], off
	global_load_dwordx4 v[24:27], v[42:43], off
	v_add_u32_e32 v40, 0x400, v134
	v_mov_b32_e32 v41, v123
	v_add_u32_e32 v42, 0x400, v132
	v_mov_b32_e32 v43, v123
	;; [unrolled: 2-line block ×4, first 2 shown]
	v_lshl_add_u64 v[40:41], v[40:41], 1, s[10:11]
	v_lshl_add_u64 v[42:43], v[42:43], 1, s[10:11]
	v_lshl_add_u64 v[72:73], v[72:73], 1, s[10:11]
	v_lshl_add_u64 v[74:75], v[74:75], 1, s[10:11]
	global_load_dwordx4 v[44:47], v[40:41], off
	s_nop 0
	global_load_dwordx4 v[40:43], v[42:43], off
	s_nop 0
	;; [unrolled: 2-line block ×3, first 2 shown]
	global_load_dwordx4 v[72:75], v[74:75], off
	v_add_u32_e32 v138, 0x600, v124
	v_cmp_gt_u32_e64 s[4:5], s6, v138
	s_and_saveexec_b64 s[22:23], s[4:5]
	s_cbranch_execz .LBB15_14
; %bb.13:                               ;   in Loop: Header=BB15_9 Depth=2
	v_add_u32_e32 v122, 0x600, v122
	v_lshl_add_u64 v[0:1], v[122:123], 1, s[8:9]
	v_add_u32_e32 v122, 0x600, v136
	v_lshl_add_u64 v[50:51], v[122:123], 1, s[10:11]
	v_add_u32_e32 v122, 0x600, v134
	v_mov_b32_e32 v139, v123
	v_lshl_add_u64 v[96:97], v[122:123], 1, s[10:11]
	v_add_u32_e32 v122, 0x600, v132
	v_lshl_add_u64 v[48:49], v[138:139], 1, s[10:11]
	v_lshl_add_u64 v[98:99], v[122:123], 1, s[10:11]
	v_add_u32_e32 v122, 0x600, v130
	global_load_dwordx4 v[0:3], v[0:1], off nt
	s_nop 0
	global_load_dwordx4 v[20:23], v[48:49], off
	global_load_dwordx4 v[16:19], v[50:51], off
	;; [unrolled: 1-line block ×3, first 2 shown]
	s_nop 0
	global_load_dwordx4 v[48:51], v[98:99], off
	v_lshl_add_u64 v[96:97], v[122:123], 1, s[10:11]
	v_add_u32_e32 v122, 0x600, v128
	v_lshl_add_u64 v[98:99], v[122:123], 1, s[10:11]
	global_load_dwordx4 v[100:103], v[96:97], off
	s_nop 0
	global_load_dwordx4 v[96:99], v[98:99], off
.LBB15_14:                              ;   in Loop: Header=BB15_9 Depth=2
	s_or_b64 exec, exec, s[22:23]
.LBB15_15:                              ;   in Loop: Header=BB15_9 Depth=2
	s_or_b64 exec, exec, s[20:21]
.LBB15_16:                              ;   in Loop: Header=BB15_9 Depth=2
	s_or_b64 exec, exec, s[18:19]
.LBB15_17:                              ;   in Loop: Header=BB15_9 Depth=2
	s_or_b64 exec, exec, s[16:17]
	s_and_saveexec_b64 s[4:5], vcc
	s_cbranch_execz .LBB15_8
; %bb.18:                               ;   in Loop: Header=BB15_9 Depth=2
	s_waitcnt vmcnt(5)
	;;#ASMSTART
	v_dot2c_f32_f16 v113, v60, v12
	;;#ASMEND
	s_waitcnt vmcnt(4)
	;;#ASMSTART
	v_dot2c_f32_f16 v143, v52, v12
	;;#ASMEND
	;; [unrolled: 4-line block ×6, first 2 shown]
	;;#ASMSTART
	v_dot2c_f32_f16 v113, v61, v13
	;;#ASMEND
	;;#ASMSTART
	v_dot2c_f32_f16 v143, v53, v13
	;;#ASMEND
	;; [unrolled: 3-line block ×5, first 2 shown]
	s_nop 0
	;;#ASMSTART
	v_dot2c_f32_f16 v121, v105, v13
	;;#ASMEND
	;;#ASMSTART
	v_dot2c_f32_f16 v113, v62, v14
	;;#ASMEND
	;; [unrolled: 3-line block ×6, first 2 shown]
	s_nop 0
	;;#ASMSTART
	v_dot2c_f32_f16 v121, v106, v14
	;;#ASMEND
	v_cmp_gt_u32_e32 vcc, s6, v126
	;;#ASMSTART
	v_dot2c_f32_f16 v113, v63, v15
	;;#ASMEND
	;;#ASMSTART
	v_dot2c_f32_f16 v143, v55, v15
	;;#ASMEND
	;; [unrolled: 3-line block ×6, first 2 shown]
	s_and_saveexec_b64 s[16:17], vcc
	s_cbranch_execz .LBB15_7
; %bb.19:                               ;   in Loop: Header=BB15_9 Depth=2
	;;#ASMSTART
	v_dot2c_f32_f16 v113, v36, v8
	;;#ASMEND
	;;#ASMSTART
	v_dot2c_f32_f16 v143, v32, v8
	;;#ASMEND
	;; [unrolled: 3-line block ×6, first 2 shown]
	s_nop 0
	;;#ASMSTART
	v_dot2c_f32_f16 v113, v37, v9
	;;#ASMEND
	;;#ASMSTART
	v_dot2c_f32_f16 v143, v33, v9
	;;#ASMEND
	;; [unrolled: 3-line block ×6, first 2 shown]
	v_add_u32_e32 v122, 0x400, v124
	;;#ASMSTART
	v_dot2c_f32_f16 v113, v38, v10
	;;#ASMEND
	;;#ASMSTART
	v_dot2c_f32_f16 v143, v34, v10
	;;#ASMEND
	;; [unrolled: 3-line block ×6, first 2 shown]
	v_cmp_gt_u32_e32 vcc, s6, v122
	;;#ASMSTART
	v_dot2c_f32_f16 v113, v39, v11
	;;#ASMEND
	;;#ASMSTART
	v_dot2c_f32_f16 v143, v35, v11
	;;#ASMEND
	;; [unrolled: 3-line block ×6, first 2 shown]
	s_and_saveexec_b64 s[18:19], vcc
	s_cbranch_execz .LBB15_6
; %bb.20:                               ;   in Loop: Header=BB15_9 Depth=2
	;;#ASMSTART
	v_dot2c_f32_f16 v113, v28, v4
	;;#ASMEND
	;;#ASMSTART
	v_dot2c_f32_f16 v143, v24, v4
	;;#ASMEND
	;; [unrolled: 3-line block ×6, first 2 shown]
	s_nop 0
	;;#ASMSTART
	v_dot2c_f32_f16 v113, v29, v5
	;;#ASMEND
	;;#ASMSTART
	v_dot2c_f32_f16 v143, v25, v5
	;;#ASMEND
	;; [unrolled: 3-line block ×6, first 2 shown]
	v_add_u32_e32 v122, 0x600, v124
	;;#ASMSTART
	v_dot2c_f32_f16 v113, v30, v6
	;;#ASMEND
	;;#ASMSTART
	v_dot2c_f32_f16 v143, v26, v6
	;;#ASMEND
	;; [unrolled: 3-line block ×6, first 2 shown]
	v_cmp_gt_u32_e32 vcc, s6, v122
	;;#ASMSTART
	v_dot2c_f32_f16 v113, v31, v7
	;;#ASMEND
	;;#ASMSTART
	v_dot2c_f32_f16 v143, v27, v7
	;;#ASMEND
	;; [unrolled: 3-line block ×6, first 2 shown]
	s_and_saveexec_b64 s[20:21], vcc
	s_cbranch_execz .LBB15_5
; %bb.21:                               ;   in Loop: Header=BB15_9 Depth=2
	;;#ASMSTART
	v_dot2c_f32_f16 v113, v20, v0
	;;#ASMEND
	;;#ASMSTART
	v_dot2c_f32_f16 v143, v16, v0
	;;#ASMEND
	;;#ASMSTART
	v_dot2c_f32_f16 v142, v56, v0
	;;#ASMEND
	;;#ASMSTART
	v_dot2c_f32_f16 v141, v48, v0
	;;#ASMEND
	;;#ASMSTART
	v_dot2c_f32_f16 v140, v100, v0
	;;#ASMEND
	;;#ASMSTART
	v_dot2c_f32_f16 v121, v96, v0
	;;#ASMEND
	s_nop 0
	;;#ASMSTART
	v_dot2c_f32_f16 v113, v21, v1
	;;#ASMEND
	;;#ASMSTART
	v_dot2c_f32_f16 v143, v17, v1
	;;#ASMEND
	;;#ASMSTART
	v_dot2c_f32_f16 v142, v57, v1
	;;#ASMEND
	;;#ASMSTART
	v_dot2c_f32_f16 v141, v49, v1
	;;#ASMEND
	;;#ASMSTART
	v_dot2c_f32_f16 v140, v101, v1
	;;#ASMEND
	;;#ASMSTART
	v_dot2c_f32_f16 v121, v97, v1
	;;#ASMEND
	s_nop 0
	;; [unrolled: 19-line block ×3, first 2 shown]
	;;#ASMSTART
	v_dot2c_f32_f16 v113, v23, v3
	;;#ASMEND
	;;#ASMSTART
	v_dot2c_f32_f16 v143, v19, v3
	;;#ASMEND
	;; [unrolled: 3-line block ×6, first 2 shown]
	s_branch .LBB15_5
.LBB15_22:                              ;   in Loop: Header=BB15_3 Depth=1
	v_mov_b32_e32 v113, v123
	v_mov_b32_e32 v143, v123
	;; [unrolled: 1-line block ×6, first 2 shown]
.LBB15_23:                              ;   in Loop: Header=BB15_3 Depth=1
	;;#ASMSTART
	s_nop 0
	v_add_f32 v113, v113, v113 row_shr:8 bound_ctrl:0 
	;;#ASMEND
	;;#ASMSTART
	s_nop 0
	v_add_f32 v143, v143, v143 row_shr:8 bound_ctrl:0 
	;;#ASMEND
	;;#ASMSTART
	s_nop 0
	v_add_f32 v142, v142, v142 row_shr:8 bound_ctrl:0 
	;;#ASMEND
	;;#ASMSTART
	s_nop 0
	v_add_f32 v141, v141, v141 row_shr:8 bound_ctrl:0 
	;;#ASMEND
	;;#ASMSTART
	s_nop 0
	v_add_f32 v140, v140, v140 row_shr:8 bound_ctrl:0 
	;;#ASMEND
	;;#ASMSTART
	s_nop 0
	v_add_f32 v121, v121, v121 row_shr:8 bound_ctrl:0 
	;;#ASMEND
	s_nop 0
	;;#ASMSTART
	s_nop 0
	v_add_f32 v113, v113, v113 row_shr:4 bound_ctrl:0 
	;;#ASMEND
	;;#ASMSTART
	s_nop 0
	v_add_f32 v143, v143, v143 row_shr:4 bound_ctrl:0 
	;;#ASMEND
	;;#ASMSTART
	s_nop 0
	v_add_f32 v142, v142, v142 row_shr:4 bound_ctrl:0 
	;;#ASMEND
	;;#ASMSTART
	s_nop 0
	v_add_f32 v141, v141, v141 row_shr:4 bound_ctrl:0 
	;;#ASMEND
	;;#ASMSTART
	s_nop 0
	v_add_f32 v140, v140, v140 row_shr:4 bound_ctrl:0 
	;;#ASMEND
	;;#ASMSTART
	s_nop 0
	v_add_f32 v121, v121, v121 row_shr:4 bound_ctrl:0 
	;;#ASMEND
	s_nop 0
	;; [unrolled: 25-line block ×3, first 2 shown]
	;;#ASMSTART
	s_nop 0
	v_add_f32 v113, v113, v113 wave_shr:1 bound_ctrl:0
	;;#ASMEND
	;;#ASMSTART
	s_nop 0
	v_add_f32 v143, v143, v143 wave_shr:1 bound_ctrl:0
	;;#ASMEND
	;; [unrolled: 4-line block ×6, first 2 shown]
	s_nop 0
	;;#ASMSTART
	s_nop 0
	v_add_f32 v113, v113, v113 row_bcast:15 bound_ctrl:0
	;;#ASMEND
	;;#ASMSTART
	s_nop 0
	v_add_f32 v143, v143, v143 row_bcast:15 bound_ctrl:0
	;;#ASMEND
	;; [unrolled: 4-line block ×6, first 2 shown]
	s_nop 0
	;;#ASMSTART
	s_nop 0
	v_add_f32 v113, v113, v113 row_bcast:31 bound_ctrl:0
	;;#ASMEND
	;;#ASMSTART
	s_nop 0
	v_add_f32 v143, v143, v143 row_bcast:31 bound_ctrl:0
	;;#ASMEND
	;; [unrolled: 4-line block ×6, first 2 shown]
	s_and_saveexec_b64 s[4:5], s[0:1]
	s_cbranch_execz .LBB15_2
; %bb.24:                               ;   in Loop: Header=BB15_3 Depth=1
	v_cvt_f16_f32_e32 v122, v113
	v_mov_b32_e32 v113, v123
	v_cvt_f16_f32_e32 v126, v143
	s_waitcnt lgkmcnt(0)
	v_lshl_add_u64 v[124:125], v[112:113], 1, s[12:13]
	v_cvt_f16_f32_e32 v113, v142
	global_store_short v[124:125], v122, off
	v_add_u32_e32 v122, s7, v112
	v_lshl_add_u64 v[124:125], v[122:123], 1, s[12:13]
	v_add_u32_e32 v122, s7, v122
	global_store_short v[124:125], v126, off
	v_lshl_add_u64 v[124:125], v[122:123], 1, s[12:13]
	v_cvt_f16_f32_e32 v126, v141
	global_store_short v[124:125], v113, off
	v_cvt_f16_f32_e32 v113, v140
	v_add_u32_e32 v122, s7, v122
	v_cvt_f16_f32_e32 v121, v121
	v_lshl_add_u64 v[124:125], v[122:123], 1, s[12:13]
	v_add_u32_e32 v122, s7, v122
	global_store_short v[124:125], v126, off
	v_lshl_add_u64 v[124:125], v[122:123], 1, s[12:13]
	v_add_u32_e32 v122, s7, v122
	global_store_short v[124:125], v113, off
	v_lshl_add_u64 v[124:125], v[122:123], 1, s[12:13]
	global_store_short v[124:125], v121, off
	s_branch .LBB15_2
.LBB15_25:
	s_endpgm
	.section	.rodata,"a",@progbits
	.p2align	6, 0x0
	.amdhsa_kernel _ZN5aiter32wv_splitk_small_fp16_bf16_kernelI6__halfLi64ELi1ELi1ELi8ELi4ELi6EEEviiPKT_S4_PS2_ii
		.amdhsa_group_segment_fixed_size 0
		.amdhsa_private_segment_fixed_size 0
		.amdhsa_kernarg_size 40
		.amdhsa_user_sgpr_count 2
		.amdhsa_user_sgpr_dispatch_ptr 0
		.amdhsa_user_sgpr_queue_ptr 0
		.amdhsa_user_sgpr_kernarg_segment_ptr 1
		.amdhsa_user_sgpr_dispatch_id 0
		.amdhsa_user_sgpr_kernarg_preload_length 0
		.amdhsa_user_sgpr_kernarg_preload_offset 0
		.amdhsa_user_sgpr_private_segment_size 0
		.amdhsa_uses_dynamic_stack 0
		.amdhsa_enable_private_segment 0
		.amdhsa_system_sgpr_workgroup_id_x 1
		.amdhsa_system_sgpr_workgroup_id_y 0
		.amdhsa_system_sgpr_workgroup_id_z 0
		.amdhsa_system_sgpr_workgroup_info 0
		.amdhsa_system_vgpr_workitem_id 1
		.amdhsa_next_free_vgpr 144
		.amdhsa_next_free_sgpr 27
		.amdhsa_accum_offset 144
		.amdhsa_reserve_vcc 1
		.amdhsa_float_round_mode_32 0
		.amdhsa_float_round_mode_16_64 0
		.amdhsa_float_denorm_mode_32 3
		.amdhsa_float_denorm_mode_16_64 3
		.amdhsa_dx10_clamp 1
		.amdhsa_ieee_mode 1
		.amdhsa_fp16_overflow 0
		.amdhsa_tg_split 0
		.amdhsa_exception_fp_ieee_invalid_op 0
		.amdhsa_exception_fp_denorm_src 0
		.amdhsa_exception_fp_ieee_div_zero 0
		.amdhsa_exception_fp_ieee_overflow 0
		.amdhsa_exception_fp_ieee_underflow 0
		.amdhsa_exception_fp_ieee_inexact 0
		.amdhsa_exception_int_div_zero 0
	.end_amdhsa_kernel
	.section	.text._ZN5aiter32wv_splitk_small_fp16_bf16_kernelI6__halfLi64ELi1ELi1ELi8ELi4ELi6EEEviiPKT_S4_PS2_ii,"axG",@progbits,_ZN5aiter32wv_splitk_small_fp16_bf16_kernelI6__halfLi64ELi1ELi1ELi8ELi4ELi6EEEviiPKT_S4_PS2_ii,comdat
.Lfunc_end15:
	.size	_ZN5aiter32wv_splitk_small_fp16_bf16_kernelI6__halfLi64ELi1ELi1ELi8ELi4ELi6EEEviiPKT_S4_PS2_ii, .Lfunc_end15-_ZN5aiter32wv_splitk_small_fp16_bf16_kernelI6__halfLi64ELi1ELi1ELi8ELi4ELi6EEEviiPKT_S4_PS2_ii
                                        ; -- End function
	.section	.AMDGPU.csdata,"",@progbits
; Kernel info:
; codeLenInByte = 2812
; NumSgprs: 33
; NumVgprs: 144
; NumAgprs: 0
; TotalNumVgprs: 144
; ScratchSize: 0
; MemoryBound: 1
; FloatMode: 240
; IeeeMode: 1
; LDSByteSize: 0 bytes/workgroup (compile time only)
; SGPRBlocks: 4
; VGPRBlocks: 17
; NumSGPRsForWavesPerEU: 33
; NumVGPRsForWavesPerEU: 144
; AccumOffset: 144
; Occupancy: 3
; WaveLimiterHint : 0
; COMPUTE_PGM_RSRC2:SCRATCH_EN: 0
; COMPUTE_PGM_RSRC2:USER_SGPR: 2
; COMPUTE_PGM_RSRC2:TRAP_HANDLER: 0
; COMPUTE_PGM_RSRC2:TGID_X_EN: 1
; COMPUTE_PGM_RSRC2:TGID_Y_EN: 0
; COMPUTE_PGM_RSRC2:TGID_Z_EN: 0
; COMPUTE_PGM_RSRC2:TIDIG_COMP_CNT: 1
; COMPUTE_PGM_RSRC3_GFX90A:ACCUM_OFFSET: 35
; COMPUTE_PGM_RSRC3_GFX90A:TG_SPLIT: 0
	.section	.text._ZN5aiter32wv_splitk_small_fp16_bf16_kernelI6__halfLi64ELi1ELi1ELi8ELi4ELi7EEEviiPKT_S4_PS2_ii,"axG",@progbits,_ZN5aiter32wv_splitk_small_fp16_bf16_kernelI6__halfLi64ELi1ELi1ELi8ELi4ELi7EEEviiPKT_S4_PS2_ii,comdat
	.protected	_ZN5aiter32wv_splitk_small_fp16_bf16_kernelI6__halfLi64ELi1ELi1ELi8ELi4ELi7EEEviiPKT_S4_PS2_ii ; -- Begin function _ZN5aiter32wv_splitk_small_fp16_bf16_kernelI6__halfLi64ELi1ELi1ELi8ELi4ELi7EEEviiPKT_S4_PS2_ii
	.globl	_ZN5aiter32wv_splitk_small_fp16_bf16_kernelI6__halfLi64ELi1ELi1ELi8ELi4ELi7EEEviiPKT_S4_PS2_ii
	.p2align	8
	.type	_ZN5aiter32wv_splitk_small_fp16_bf16_kernelI6__halfLi64ELi1ELi1ELi8ELi4ELi7EEEviiPKT_S4_PS2_ii,@function
_ZN5aiter32wv_splitk_small_fp16_bf16_kernelI6__halfLi64ELi1ELi1ELi8ELi4ELi7EEEviiPKT_S4_PS2_ii: ; @_ZN5aiter32wv_splitk_small_fp16_bf16_kernelI6__halfLi64ELi1ELi1ELi8ELi4ELi7EEEviiPKT_S4_PS2_ii
; %bb.0:
	s_load_dwordx2 s[4:5], s[0:1], 0x20
	s_load_dwordx2 s[6:7], s[0:1], 0x0
	v_bfe_u32 v1, v0, 10, 10
	s_waitcnt lgkmcnt(0)
	s_mul_i32 s2, s2, s4
	v_add_u32_e32 v128, s2, v1
	v_cmp_gt_u32_e32 vcc, s7, v128
	s_and_saveexec_b64 s[2:3], vcc
	s_cbranch_execz .LBB16_25
; %bb.1:
	v_and_b32_e32 v0, 0x3ff, v0
	v_lshlrev_b32_e32 v130, 3, v0
	s_load_dwordx4 s[8:11], s[0:1], 0x8
	s_load_dwordx2 s[12:13], s[0:1], 0x18
	v_mad_u64_u32 v[132:133], s[2:3], s6, v128, v[130:131]
	v_lshl_add_u32 v131, s6, 1, v130
	s_cmp_lg_u32 s6, 0
	v_mad_u64_u32 v[134:135], s[2:3], s6, 3, v[130:131]
	v_mad_u64_u32 v[136:137], s[2:3], s6, 5, v[130:131]
	;; [unrolled: 1-line block ×3, first 2 shown]
	s_cselect_b64 s[2:3], -1, 0
	v_cmp_eq_u32_e64 s[0:1], 63, v0
	s_mul_i32 s24, s5, s4
	v_cndmask_b32_e64 v0, 0, 1, s[2:3]
	s_mul_i32 s25, s24, s6
	v_lshl_add_u32 v133, s6, 2, v130
	v_add_u32_e32 v135, s6, v130
	s_mov_b64 s[14:15], 0
	v_cmp_ne_u32_e64 s[2:3], 1, v0
	v_mov_b32_e32 v141, 0
                                        ; implicit-def: $vgpr0_vgpr1_vgpr2_vgpr3
                                        ; implicit-def: $vgpr4_vgpr5_vgpr6_vgpr7
                                        ; implicit-def: $vgpr8_vgpr9_vgpr10_vgpr11
                                        ; implicit-def: $vgpr12_vgpr13_vgpr14_vgpr15
                                        ; implicit-def: $vgpr122_vgpr123
                                        ; implicit-def: $vgpr102_vgpr103
                                        ; implicit-def: $vgpr106_vgpr107
                                        ; implicit-def: $vgpr50_vgpr51
                                        ; implicit-def: $vgpr54_vgpr55
                                        ; implicit-def: $vgpr18_vgpr19
                                        ; implicit-def: $vgpr22_vgpr23
                                        ; implicit-def: $vgpr82_vgpr83
                                        ; implicit-def: $vgpr74_vgpr75
                                        ; implicit-def: $vgpr78_vgpr79
                                        ; implicit-def: $vgpr42_vgpr43
                                        ; implicit-def: $vgpr46_vgpr47
                                        ; implicit-def: $vgpr26_vgpr27
                                        ; implicit-def: $vgpr30_vgpr31
                                        ; implicit-def: $vgpr110_vgpr111
                                        ; implicit-def: $vgpr94_vgpr95
                                        ; implicit-def: $vgpr98_vgpr99
                                        ; implicit-def: $vgpr66_vgpr67
                                        ; implicit-def: $vgpr70_vgpr71
                                        ; implicit-def: $vgpr34_vgpr35
                                        ; implicit-def: $vgpr38_vgpr39
                                        ; implicit-def: $vgpr126_vgpr127
                                        ; implicit-def: $vgpr114_vgpr115
                                        ; implicit-def: $vgpr118_vgpr119
                                        ; implicit-def: $vgpr86_vgpr87
                                        ; implicit-def: $vgpr90_vgpr91
                                        ; implicit-def: $vgpr58_vgpr59
                                        ; implicit-def: $vgpr62_vgpr63
	s_branch .LBB16_3
.LBB16_2:                               ;   in Loop: Header=BB16_3 Depth=1
	s_or_b64 exec, exec, s[4:5]
	v_add_u32_e32 v128, s24, v128
	v_cmp_le_u32_e32 vcc, s7, v128
	s_or_b64 s[14:15], vcc, s[14:15]
	v_add_u32_e32 v132, s25, v132
	s_andn2_b64 exec, exec, s[14:15]
	s_cbranch_execz .LBB16_25
.LBB16_3:                               ; =>This Loop Header: Depth=1
                                        ;     Child Loop BB16_9 Depth 2
	s_and_b64 vcc, exec, s[2:3]
	s_mov_b32 s26, 0
	s_cbranch_vccnz .LBB16_22
; %bb.4:                                ;   in Loop: Header=BB16_3 Depth=1
	v_mov_b32_e32 v137, 0
	v_mov_b32_e32 v139, 0
	;; [unrolled: 1-line block ×7, first 2 shown]
	s_branch .LBB16_9
.LBB16_5:                               ;   in Loop: Header=BB16_9 Depth=2
	s_or_b64 exec, exec, s[20:21]
.LBB16_6:                               ;   in Loop: Header=BB16_9 Depth=2
	s_or_b64 exec, exec, s[18:19]
.LBB16_7:                               ;   in Loop: Header=BB16_9 Depth=2
	s_or_b64 exec, exec, s[16:17]
.LBB16_8:                               ;   in Loop: Header=BB16_9 Depth=2
	s_or_b64 exec, exec, s[4:5]
	s_addk_i32 s26, 0x800
	s_cmp_ge_u32 s26, s6
	s_cbranch_scc1 .LBB16_23
.LBB16_9:                               ;   Parent Loop BB16_3 Depth=1
                                        ; =>  This Inner Loop Header: Depth=2
	v_add_u32_e32 v142, s26, v130
	v_cmp_gt_u32_e32 vcc, s6, v142
	v_add_u32_e32 v144, 0x200, v142
	s_and_saveexec_b64 s[16:17], vcc
	s_cbranch_execz .LBB16_17
; %bb.10:                               ;   in Loop: Header=BB16_9 Depth=2
	v_add_u32_e32 v140, s26, v132
	v_mov_b32_e32 v143, v141
	v_add_u32_e32 v156, s26, v135
	v_mov_b32_e32 v157, v141
	;; [unrolled: 2-line block ×7, first 2 shown]
	s_waitcnt vmcnt(7) lgkmcnt(0)
	v_lshl_add_u64 v[12:13], v[140:141], 1, s[8:9]
	s_waitcnt vmcnt(5)
	v_lshl_add_u64 v[56:57], v[142:143], 1, s[10:11]
	v_lshl_add_u64 v[58:59], v[156:157], 1, s[10:11]
	s_waitcnt vmcnt(3)
	v_lshl_add_u64 v[84:85], v[154:155], 1, s[10:11]
	;; [unrolled: 3-line block ×4, first 2 shown]
	global_load_dwordx4 v[12:15], v[12:13], off nt
	s_nop 0
	global_load_dwordx4 v[60:63], v[56:57], off
	s_nop 0
	global_load_dwordx4 v[56:59], v[58:59], off
	;; [unrolled: 2-line block ×6, first 2 shown]
	v_cmp_gt_u32_e64 s[4:5], s6, v144
	global_load_dwordx4 v[124:127], v[124:125], off
	s_and_saveexec_b64 s[18:19], s[4:5]
	s_cbranch_execz .LBB16_16
; %bb.11:                               ;   in Loop: Header=BB16_9 Depth=2
	v_add_u32_e32 v8, 0x200, v140
	v_mov_b32_e32 v9, v141
	v_mov_b32_e32 v145, v141
	v_add_u32_e32 v34, 0x200, v156
	v_mov_b32_e32 v35, v141
	v_add_u32_e32 v64, 0x200, v154
	;; [unrolled: 2-line block ×6, first 2 shown]
	v_mov_b32_e32 v109, v141
	v_lshl_add_u64 v[8:9], v[8:9], 1, s[8:9]
	v_lshl_add_u64 v[32:33], v[144:145], 1, s[10:11]
	;; [unrolled: 1-line block ×8, first 2 shown]
	global_load_dwordx4 v[8:11], v[8:9], off nt
	s_nop 0
	global_load_dwordx4 v[36:39], v[32:33], off
	s_nop 0
	global_load_dwordx4 v[32:35], v[34:35], off
	;; [unrolled: 2-line block ×6, first 2 shown]
	v_add_u32_e32 v158, 0x400, v142
	global_load_dwordx4 v[108:111], v[108:109], off
	v_cmp_gt_u32_e64 s[4:5], s6, v158
	s_and_saveexec_b64 s[20:21], s[4:5]
	s_cbranch_execz .LBB16_15
; %bb.12:                               ;   in Loop: Header=BB16_9 Depth=2
	v_add_u32_e32 v4, 0x400, v140
	v_mov_b32_e32 v5, v141
	v_mov_b32_e32 v159, v141
	v_add_u32_e32 v26, 0x400, v156
	v_mov_b32_e32 v27, v141
	v_add_u32_e32 v40, 0x400, v154
	;; [unrolled: 2-line block ×6, first 2 shown]
	v_mov_b32_e32 v81, v141
	v_lshl_add_u64 v[4:5], v[4:5], 1, s[8:9]
	v_lshl_add_u64 v[24:25], v[158:159], 1, s[10:11]
	;; [unrolled: 1-line block ×8, first 2 shown]
	global_load_dwordx4 v[4:7], v[4:5], off nt
	s_nop 0
	global_load_dwordx4 v[28:31], v[24:25], off
	s_nop 0
	global_load_dwordx4 v[24:27], v[26:27], off
	;; [unrolled: 2-line block ×6, first 2 shown]
	v_add_u32_e32 v158, 0x600, v142
	global_load_dwordx4 v[80:83], v[80:81], off
	v_cmp_gt_u32_e64 s[4:5], s6, v158
	s_and_saveexec_b64 s[22:23], s[4:5]
	s_cbranch_execz .LBB16_14
; %bb.13:                               ;   in Loop: Header=BB16_9 Depth=2
	v_add_u32_e32 v140, 0x600, v140
	v_lshl_add_u64 v[0:1], v[140:141], 1, s[8:9]
	v_add_u32_e32 v140, 0x600, v156
	v_lshl_add_u64 v[18:19], v[140:141], 1, s[10:11]
	;; [unrolled: 2-line block ×5, first 2 shown]
	v_add_u32_e32 v140, 0x600, v148
	v_mov_b32_e32 v159, v141
	v_lshl_add_u64 v[102:103], v[140:141], 1, s[10:11]
	v_add_u32_e32 v140, 0x600, v146
	v_lshl_add_u64 v[16:17], v[158:159], 1, s[10:11]
	v_lshl_add_u64 v[120:121], v[140:141], 1, s[10:11]
	global_load_dwordx4 v[0:3], v[0:1], off nt
	s_nop 0
	global_load_dwordx4 v[20:23], v[16:17], off
	s_nop 0
	global_load_dwordx4 v[16:19], v[18:19], off
	;; [unrolled: 2-line block ×7, first 2 shown]
.LBB16_14:                              ;   in Loop: Header=BB16_9 Depth=2
	s_or_b64 exec, exec, s[22:23]
.LBB16_15:                              ;   in Loop: Header=BB16_9 Depth=2
	s_or_b64 exec, exec, s[20:21]
.LBB16_16:                              ;   in Loop: Header=BB16_9 Depth=2
	s_or_b64 exec, exec, s[18:19]
.LBB16_17:                              ;   in Loop: Header=BB16_9 Depth=2
	s_or_b64 exec, exec, s[16:17]
	s_and_saveexec_b64 s[4:5], vcc
	s_cbranch_execz .LBB16_8
; %bb.18:                               ;   in Loop: Header=BB16_9 Depth=2
	s_waitcnt vmcnt(6)
	;;#ASMSTART
	v_dot2c_f32_f16 v129, v60, v12
	;;#ASMEND
	s_waitcnt vmcnt(5)
	;;#ASMSTART
	v_dot2c_f32_f16 v163, v56, v12
	;;#ASMEND
	;; [unrolled: 4-line block ×7, first 2 shown]
	;;#ASMSTART
	v_dot2c_f32_f16 v129, v61, v13
	;;#ASMEND
	;;#ASMSTART
	v_dot2c_f32_f16 v163, v57, v13
	;;#ASMEND
	;; [unrolled: 3-line block ×6, first 2 shown]
	s_nop 0
	;;#ASMSTART
	v_dot2c_f32_f16 v137, v125, v13
	;;#ASMEND
	;;#ASMSTART
	v_dot2c_f32_f16 v129, v62, v14
	;;#ASMEND
	;; [unrolled: 3-line block ×7, first 2 shown]
	s_nop 0
	;;#ASMSTART
	v_dot2c_f32_f16 v137, v126, v14
	;;#ASMEND
	v_cmp_gt_u32_e32 vcc, s6, v144
	;;#ASMSTART
	v_dot2c_f32_f16 v129, v63, v15
	;;#ASMEND
	;;#ASMSTART
	v_dot2c_f32_f16 v163, v59, v15
	;;#ASMEND
	;; [unrolled: 3-line block ×7, first 2 shown]
	s_and_saveexec_b64 s[16:17], vcc
	s_cbranch_execz .LBB16_7
; %bb.19:                               ;   in Loop: Header=BB16_9 Depth=2
	;;#ASMSTART
	v_dot2c_f32_f16 v129, v36, v8
	;;#ASMEND
	;;#ASMSTART
	v_dot2c_f32_f16 v163, v32, v8
	;;#ASMEND
	;; [unrolled: 3-line block ×7, first 2 shown]
	s_nop 0
	;;#ASMSTART
	v_dot2c_f32_f16 v129, v37, v9
	;;#ASMEND
	;;#ASMSTART
	v_dot2c_f32_f16 v163, v33, v9
	;;#ASMEND
	;; [unrolled: 3-line block ×7, first 2 shown]
	v_add_u32_e32 v140, 0x400, v142
	;;#ASMSTART
	v_dot2c_f32_f16 v129, v38, v10
	;;#ASMEND
	;;#ASMSTART
	v_dot2c_f32_f16 v163, v34, v10
	;;#ASMEND
	;; [unrolled: 3-line block ×7, first 2 shown]
	v_cmp_gt_u32_e32 vcc, s6, v140
	;;#ASMSTART
	v_dot2c_f32_f16 v129, v39, v11
	;;#ASMEND
	;;#ASMSTART
	v_dot2c_f32_f16 v163, v35, v11
	;;#ASMEND
	;;#ASMSTART
	v_dot2c_f32_f16 v162, v71, v11
	;;#ASMEND
	;;#ASMSTART
	v_dot2c_f32_f16 v161, v67, v11
	;;#ASMEND
	;;#ASMSTART
	v_dot2c_f32_f16 v160, v99, v11
	;;#ASMEND
	;;#ASMSTART
	v_dot2c_f32_f16 v139, v95, v11
	;;#ASMEND
	;;#ASMSTART
	v_dot2c_f32_f16 v137, v111, v11
	;;#ASMEND
	s_and_saveexec_b64 s[18:19], vcc
	s_cbranch_execz .LBB16_6
; %bb.20:                               ;   in Loop: Header=BB16_9 Depth=2
	;;#ASMSTART
	v_dot2c_f32_f16 v129, v28, v4
	;;#ASMEND
	;;#ASMSTART
	v_dot2c_f32_f16 v163, v24, v4
	;;#ASMEND
	;; [unrolled: 3-line block ×7, first 2 shown]
	s_nop 0
	;;#ASMSTART
	v_dot2c_f32_f16 v129, v29, v5
	;;#ASMEND
	;;#ASMSTART
	v_dot2c_f32_f16 v163, v25, v5
	;;#ASMEND
	;; [unrolled: 3-line block ×7, first 2 shown]
	v_add_u32_e32 v140, 0x600, v142
	;;#ASMSTART
	v_dot2c_f32_f16 v129, v30, v6
	;;#ASMEND
	;;#ASMSTART
	v_dot2c_f32_f16 v163, v26, v6
	;;#ASMEND
	;; [unrolled: 3-line block ×7, first 2 shown]
	v_cmp_gt_u32_e32 vcc, s6, v140
	;;#ASMSTART
	v_dot2c_f32_f16 v129, v31, v7
	;;#ASMEND
	;;#ASMSTART
	v_dot2c_f32_f16 v163, v27, v7
	;;#ASMEND
	;;#ASMSTART
	v_dot2c_f32_f16 v162, v47, v7
	;;#ASMEND
	;;#ASMSTART
	v_dot2c_f32_f16 v161, v43, v7
	;;#ASMEND
	;;#ASMSTART
	v_dot2c_f32_f16 v160, v79, v7
	;;#ASMEND
	;;#ASMSTART
	v_dot2c_f32_f16 v139, v75, v7
	;;#ASMEND
	;;#ASMSTART
	v_dot2c_f32_f16 v137, v83, v7
	;;#ASMEND
	s_and_saveexec_b64 s[20:21], vcc
	s_cbranch_execz .LBB16_5
; %bb.21:                               ;   in Loop: Header=BB16_9 Depth=2
	;;#ASMSTART
	v_dot2c_f32_f16 v129, v20, v0
	;;#ASMEND
	;;#ASMSTART
	v_dot2c_f32_f16 v163, v16, v0
	;;#ASMEND
	;;#ASMSTART
	v_dot2c_f32_f16 v162, v52, v0
	;;#ASMEND
	;;#ASMSTART
	v_dot2c_f32_f16 v161, v48, v0
	;;#ASMEND
	;;#ASMSTART
	v_dot2c_f32_f16 v160, v104, v0
	;;#ASMEND
	;;#ASMSTART
	v_dot2c_f32_f16 v139, v100, v0
	;;#ASMEND
	;;#ASMSTART
	v_dot2c_f32_f16 v137, v120, v0
	;;#ASMEND
	s_nop 0
	;;#ASMSTART
	v_dot2c_f32_f16 v129, v21, v1
	;;#ASMEND
	;;#ASMSTART
	v_dot2c_f32_f16 v163, v17, v1
	;;#ASMEND
	;;#ASMSTART
	v_dot2c_f32_f16 v162, v53, v1
	;;#ASMEND
	;;#ASMSTART
	v_dot2c_f32_f16 v161, v49, v1
	;;#ASMEND
	;;#ASMSTART
	v_dot2c_f32_f16 v160, v105, v1
	;;#ASMEND
	;;#ASMSTART
	v_dot2c_f32_f16 v139, v101, v1
	;;#ASMEND
	;;#ASMSTART
	v_dot2c_f32_f16 v137, v121, v1
	;;#ASMEND
	s_nop 0
	;; [unrolled: 22-line block ×3, first 2 shown]
	;;#ASMSTART
	v_dot2c_f32_f16 v129, v23, v3
	;;#ASMEND
	;;#ASMSTART
	v_dot2c_f32_f16 v163, v19, v3
	;;#ASMEND
	;; [unrolled: 3-line block ×7, first 2 shown]
	s_branch .LBB16_5
.LBB16_22:                              ;   in Loop: Header=BB16_3 Depth=1
	v_mov_b32_e32 v129, v141
	v_mov_b32_e32 v163, v141
	;; [unrolled: 1-line block ×7, first 2 shown]
.LBB16_23:                              ;   in Loop: Header=BB16_3 Depth=1
	;;#ASMSTART
	s_nop 0
	v_add_f32 v129, v129, v129 row_shr:8 bound_ctrl:0 
	;;#ASMEND
	;;#ASMSTART
	s_nop 0
	v_add_f32 v163, v163, v163 row_shr:8 bound_ctrl:0 
	;;#ASMEND
	;;#ASMSTART
	s_nop 0
	v_add_f32 v162, v162, v162 row_shr:8 bound_ctrl:0 
	;;#ASMEND
	;;#ASMSTART
	s_nop 0
	v_add_f32 v161, v161, v161 row_shr:8 bound_ctrl:0 
	;;#ASMEND
	;;#ASMSTART
	s_nop 0
	v_add_f32 v160, v160, v160 row_shr:8 bound_ctrl:0 
	;;#ASMEND
	;;#ASMSTART
	s_nop 0
	v_add_f32 v139, v139, v139 row_shr:8 bound_ctrl:0 
	;;#ASMEND
	;;#ASMSTART
	s_nop 0
	v_add_f32 v137, v137, v137 row_shr:8 bound_ctrl:0 
	;;#ASMEND
	s_nop 0
	;;#ASMSTART
	s_nop 0
	v_add_f32 v129, v129, v129 row_shr:4 bound_ctrl:0 
	;;#ASMEND
	;;#ASMSTART
	s_nop 0
	v_add_f32 v163, v163, v163 row_shr:4 bound_ctrl:0 
	;;#ASMEND
	;;#ASMSTART
	s_nop 0
	v_add_f32 v162, v162, v162 row_shr:4 bound_ctrl:0 
	;;#ASMEND
	;;#ASMSTART
	s_nop 0
	v_add_f32 v161, v161, v161 row_shr:4 bound_ctrl:0 
	;;#ASMEND
	;;#ASMSTART
	s_nop 0
	v_add_f32 v160, v160, v160 row_shr:4 bound_ctrl:0 
	;;#ASMEND
	;;#ASMSTART
	s_nop 0
	v_add_f32 v139, v139, v139 row_shr:4 bound_ctrl:0 
	;;#ASMEND
	;;#ASMSTART
	s_nop 0
	v_add_f32 v137, v137, v137 row_shr:4 bound_ctrl:0 
	;;#ASMEND
	s_nop 0
	;; [unrolled: 29-line block ×3, first 2 shown]
	;;#ASMSTART
	s_nop 0
	v_add_f32 v129, v129, v129 wave_shr:1 bound_ctrl:0
	;;#ASMEND
	;;#ASMSTART
	s_nop 0
	v_add_f32 v163, v163, v163 wave_shr:1 bound_ctrl:0
	;;#ASMEND
	;; [unrolled: 4-line block ×7, first 2 shown]
	s_nop 0
	;;#ASMSTART
	s_nop 0
	v_add_f32 v129, v129, v129 row_bcast:15 bound_ctrl:0
	;;#ASMEND
	;;#ASMSTART
	s_nop 0
	v_add_f32 v163, v163, v163 row_bcast:15 bound_ctrl:0
	;;#ASMEND
	;; [unrolled: 4-line block ×7, first 2 shown]
	s_nop 0
	;;#ASMSTART
	s_nop 0
	v_add_f32 v129, v129, v129 row_bcast:31 bound_ctrl:0
	;;#ASMEND
	;;#ASMSTART
	s_nop 0
	v_add_f32 v163, v163, v163 row_bcast:31 bound_ctrl:0
	;;#ASMEND
	;; [unrolled: 4-line block ×7, first 2 shown]
	s_and_saveexec_b64 s[4:5], s[0:1]
	s_cbranch_execz .LBB16_2
; %bb.24:                               ;   in Loop: Header=BB16_3 Depth=1
	v_cvt_f16_f32_e32 v140, v129
	v_mov_b32_e32 v129, v141
	v_cvt_f16_f32_e32 v144, v163
	s_waitcnt lgkmcnt(0)
	v_lshl_add_u64 v[142:143], v[128:129], 1, s[12:13]
	v_cvt_f16_f32_e32 v129, v162
	global_store_short v[142:143], v140, off
	v_add_u32_e32 v140, s7, v128
	v_lshl_add_u64 v[142:143], v[140:141], 1, s[12:13]
	v_add_u32_e32 v140, s7, v140
	global_store_short v[142:143], v144, off
	v_lshl_add_u64 v[142:143], v[140:141], 1, s[12:13]
	global_store_short v[142:143], v129, off
	v_cvt_f16_f32_e32 v129, v161
	v_add_u32_e32 v140, s7, v140
	v_lshl_add_u64 v[142:143], v[140:141], 1, s[12:13]
	v_cvt_f16_f32_e32 v144, v160
	global_store_short v[142:143], v129, off
	v_cvt_f16_f32_e32 v129, v139
	v_add_u32_e32 v140, s7, v140
	v_cvt_f16_f32_e32 v137, v137
	v_lshl_add_u64 v[142:143], v[140:141], 1, s[12:13]
	v_add_u32_e32 v140, s7, v140
	global_store_short v[142:143], v144, off
	v_lshl_add_u64 v[142:143], v[140:141], 1, s[12:13]
	v_add_u32_e32 v140, s7, v140
	global_store_short v[142:143], v129, off
	v_lshl_add_u64 v[142:143], v[140:141], 1, s[12:13]
	global_store_short v[142:143], v137, off
	s_branch .LBB16_2
.LBB16_25:
	s_endpgm
	.section	.rodata,"a",@progbits
	.p2align	6, 0x0
	.amdhsa_kernel _ZN5aiter32wv_splitk_small_fp16_bf16_kernelI6__halfLi64ELi1ELi1ELi8ELi4ELi7EEEviiPKT_S4_PS2_ii
		.amdhsa_group_segment_fixed_size 0
		.amdhsa_private_segment_fixed_size 0
		.amdhsa_kernarg_size 40
		.amdhsa_user_sgpr_count 2
		.amdhsa_user_sgpr_dispatch_ptr 0
		.amdhsa_user_sgpr_queue_ptr 0
		.amdhsa_user_sgpr_kernarg_segment_ptr 1
		.amdhsa_user_sgpr_dispatch_id 0
		.amdhsa_user_sgpr_kernarg_preload_length 0
		.amdhsa_user_sgpr_kernarg_preload_offset 0
		.amdhsa_user_sgpr_private_segment_size 0
		.amdhsa_uses_dynamic_stack 0
		.amdhsa_enable_private_segment 0
		.amdhsa_system_sgpr_workgroup_id_x 1
		.amdhsa_system_sgpr_workgroup_id_y 0
		.amdhsa_system_sgpr_workgroup_id_z 0
		.amdhsa_system_sgpr_workgroup_info 0
		.amdhsa_system_vgpr_workitem_id 1
		.amdhsa_next_free_vgpr 164
		.amdhsa_next_free_sgpr 27
		.amdhsa_accum_offset 164
		.amdhsa_reserve_vcc 1
		.amdhsa_float_round_mode_32 0
		.amdhsa_float_round_mode_16_64 0
		.amdhsa_float_denorm_mode_32 3
		.amdhsa_float_denorm_mode_16_64 3
		.amdhsa_dx10_clamp 1
		.amdhsa_ieee_mode 1
		.amdhsa_fp16_overflow 0
		.amdhsa_tg_split 0
		.amdhsa_exception_fp_ieee_invalid_op 0
		.amdhsa_exception_fp_denorm_src 0
		.amdhsa_exception_fp_ieee_div_zero 0
		.amdhsa_exception_fp_ieee_overflow 0
		.amdhsa_exception_fp_ieee_underflow 0
		.amdhsa_exception_fp_ieee_inexact 0
		.amdhsa_exception_int_div_zero 0
	.end_amdhsa_kernel
	.section	.text._ZN5aiter32wv_splitk_small_fp16_bf16_kernelI6__halfLi64ELi1ELi1ELi8ELi4ELi7EEEviiPKT_S4_PS2_ii,"axG",@progbits,_ZN5aiter32wv_splitk_small_fp16_bf16_kernelI6__halfLi64ELi1ELi1ELi8ELi4ELi7EEEviiPKT_S4_PS2_ii,comdat
.Lfunc_end16:
	.size	_ZN5aiter32wv_splitk_small_fp16_bf16_kernelI6__halfLi64ELi1ELi1ELi8ELi4ELi7EEEviiPKT_S4_PS2_ii, .Lfunc_end16-_ZN5aiter32wv_splitk_small_fp16_bf16_kernelI6__halfLi64ELi1ELi1ELi8ELi4ELi7EEEviiPKT_S4_PS2_ii
                                        ; -- End function
	.section	.AMDGPU.csdata,"",@progbits
; Kernel info:
; codeLenInByte = 3232
; NumSgprs: 33
; NumVgprs: 164
; NumAgprs: 0
; TotalNumVgprs: 164
; ScratchSize: 0
; MemoryBound: 1
; FloatMode: 240
; IeeeMode: 1
; LDSByteSize: 0 bytes/workgroup (compile time only)
; SGPRBlocks: 4
; VGPRBlocks: 20
; NumSGPRsForWavesPerEU: 33
; NumVGPRsForWavesPerEU: 164
; AccumOffset: 164
; Occupancy: 3
; WaveLimiterHint : 0
; COMPUTE_PGM_RSRC2:SCRATCH_EN: 0
; COMPUTE_PGM_RSRC2:USER_SGPR: 2
; COMPUTE_PGM_RSRC2:TRAP_HANDLER: 0
; COMPUTE_PGM_RSRC2:TGID_X_EN: 1
; COMPUTE_PGM_RSRC2:TGID_Y_EN: 0
; COMPUTE_PGM_RSRC2:TGID_Z_EN: 0
; COMPUTE_PGM_RSRC2:TIDIG_COMP_CNT: 1
; COMPUTE_PGM_RSRC3_GFX90A:ACCUM_OFFSET: 40
; COMPUTE_PGM_RSRC3_GFX90A:TG_SPLIT: 0
	.section	.text._ZN5aiter32wv_splitk_small_fp16_bf16_kernelI6__halfLi64ELi1ELi1ELi8ELi4ELi8EEEviiPKT_S4_PS2_ii,"axG",@progbits,_ZN5aiter32wv_splitk_small_fp16_bf16_kernelI6__halfLi64ELi1ELi1ELi8ELi4ELi8EEEviiPKT_S4_PS2_ii,comdat
	.protected	_ZN5aiter32wv_splitk_small_fp16_bf16_kernelI6__halfLi64ELi1ELi1ELi8ELi4ELi8EEEviiPKT_S4_PS2_ii ; -- Begin function _ZN5aiter32wv_splitk_small_fp16_bf16_kernelI6__halfLi64ELi1ELi1ELi8ELi4ELi8EEEviiPKT_S4_PS2_ii
	.globl	_ZN5aiter32wv_splitk_small_fp16_bf16_kernelI6__halfLi64ELi1ELi1ELi8ELi4ELi8EEEviiPKT_S4_PS2_ii
	.p2align	8
	.type	_ZN5aiter32wv_splitk_small_fp16_bf16_kernelI6__halfLi64ELi1ELi1ELi8ELi4ELi8EEEviiPKT_S4_PS2_ii,@function
_ZN5aiter32wv_splitk_small_fp16_bf16_kernelI6__halfLi64ELi1ELi1ELi8ELi4ELi8EEEviiPKT_S4_PS2_ii: ; @_ZN5aiter32wv_splitk_small_fp16_bf16_kernelI6__halfLi64ELi1ELi1ELi8ELi4ELi8EEEviiPKT_S4_PS2_ii
; %bb.0:
	s_load_dwordx2 s[4:5], s[0:1], 0x20
	s_load_dwordx2 s[6:7], s[0:1], 0x0
	v_bfe_u32 v1, v0, 10, 10
	s_waitcnt lgkmcnt(0)
	s_mul_i32 s2, s2, s4
	v_add_u32_e32 v144, s2, v1
	v_cmp_gt_u32_e32 vcc, s7, v144
	s_and_saveexec_b64 s[2:3], vcc
	s_cbranch_execz .LBB17_25
; %bb.1:
	v_and_b32_e32 v0, 0x3ff, v0
	v_lshlrev_b32_e32 v146, 3, v0
	s_load_dwordx4 s[8:11], s[0:1], 0x8
	s_load_dwordx2 s[12:13], s[0:1], 0x18
	v_mad_u64_u32 v[148:149], s[2:3], s6, v144, v[146:147]
	v_lshl_add_u32 v147, s6, 1, v146
	s_cmp_lg_u32 s6, 0
	v_mad_u64_u32 v[150:151], s[2:3], s6, 3, v[146:147]
	v_mad_u64_u32 v[152:153], s[2:3], s6, 5, v[146:147]
	;; [unrolled: 1-line block ×4, first 2 shown]
	s_cselect_b64 s[2:3], -1, 0
	v_cmp_eq_u32_e64 s[0:1], 63, v0
	s_mul_i32 s24, s5, s4
	v_cndmask_b32_e64 v0, 0, 1, s[2:3]
	s_mul_i32 s25, s24, s6
	v_lshl_add_u32 v149, s6, 2, v146
	v_add_u32_e32 v151, s6, v146
	s_mov_b64 s[14:15], 0
	v_cmp_ne_u32_e64 s[2:3], 1, v0
	v_mov_b32_e32 v159, 0
                                        ; implicit-def: $vgpr0_vgpr1_vgpr2_vgpr3
                                        ; implicit-def: $vgpr4_vgpr5_vgpr6_vgpr7
                                        ; implicit-def: $vgpr8_vgpr9_vgpr10_vgpr11
                                        ; implicit-def: $vgpr12_vgpr13_vgpr14_vgpr15
                                        ; implicit-def: $vgpr130_vgpr131
                                        ; implicit-def: $vgpr134_vgpr135
                                        ; implicit-def: $vgpr82_vgpr83
                                        ; implicit-def: $vgpr90_vgpr91
                                        ; implicit-def: $vgpr50_vgpr51
                                        ; implicit-def: $vgpr54_vgpr55
                                        ; implicit-def: $vgpr18_vgpr19
                                        ; implicit-def: $vgpr22_vgpr23
                                        ; implicit-def: $vgpr86_vgpr87
                                        ; implicit-def: $vgpr98_vgpr99
                                        ; implicit-def: $vgpr58_vgpr59
                                        ; implicit-def: $vgpr66_vgpr67
                                        ; implicit-def: $vgpr34_vgpr35
                                        ; implicit-def: $vgpr42_vgpr43
                                        ; implicit-def: $vgpr26_vgpr27
                                        ; implicit-def: $vgpr30_vgpr31
                                        ; implicit-def: $vgpr114_vgpr115
                                        ; implicit-def: $vgpr122_vgpr123
                                        ; implicit-def: $vgpr94_vgpr95
                                        ; implicit-def: $vgpr106_vgpr107
                                        ; implicit-def: $vgpr62_vgpr63
                                        ; implicit-def: $vgpr74_vgpr75
                                        ; implicit-def: $vgpr38_vgpr39
                                        ; implicit-def: $vgpr46_vgpr47
                                        ; implicit-def: $vgpr138_vgpr139
                                        ; implicit-def: $vgpr142_vgpr143
                                        ; implicit-def: $vgpr118_vgpr119
                                        ; implicit-def: $vgpr126_vgpr127
                                        ; implicit-def: $vgpr102_vgpr103
                                        ; implicit-def: $vgpr110_vgpr111
                                        ; implicit-def: $vgpr70_vgpr71
                                        ; implicit-def: $vgpr78_vgpr79
	s_branch .LBB17_3
.LBB17_2:                               ;   in Loop: Header=BB17_3 Depth=1
	s_or_b64 exec, exec, s[4:5]
	v_add_u32_e32 v144, s24, v144
	v_cmp_le_u32_e32 vcc, s7, v144
	s_or_b64 s[14:15], vcc, s[14:15]
	v_add_u32_e32 v148, s25, v148
	s_andn2_b64 exec, exec, s[14:15]
	s_cbranch_execz .LBB17_25
.LBB17_3:                               ; =>This Loop Header: Depth=1
                                        ;     Child Loop BB17_9 Depth 2
	s_and_b64 vcc, exec, s[2:3]
	s_mov_b32 s26, 0
	s_cbranch_vccnz .LBB17_22
; %bb.4:                                ;   in Loop: Header=BB17_3 Depth=1
	v_mov_b32_e32 v153, 0
	v_mov_b32_e32 v155, 0
	;; [unrolled: 1-line block ×8, first 2 shown]
	s_branch .LBB17_9
.LBB17_5:                               ;   in Loop: Header=BB17_9 Depth=2
	s_or_b64 exec, exec, s[20:21]
.LBB17_6:                               ;   in Loop: Header=BB17_9 Depth=2
	s_or_b64 exec, exec, s[18:19]
.LBB17_7:                               ;   in Loop: Header=BB17_9 Depth=2
	s_or_b64 exec, exec, s[16:17]
.LBB17_8:                               ;   in Loop: Header=BB17_9 Depth=2
	s_or_b64 exec, exec, s[4:5]
	s_addk_i32 s26, 0x800
	s_cmp_ge_u32 s26, s6
	s_cbranch_scc1 .LBB17_23
.LBB17_9:                               ;   Parent Loop BB17_3 Depth=1
                                        ; =>  This Inner Loop Header: Depth=2
	v_add_u32_e32 v160, s26, v146
	v_cmp_gt_u32_e32 vcc, s6, v160
	v_add_u32_e32 v162, 0x200, v160
	s_and_saveexec_b64 s[16:17], vcc
	s_cbranch_execz .LBB17_17
; %bb.10:                               ;   in Loop: Header=BB17_9 Depth=2
	v_add_u32_e32 v158, s26, v148
	v_mov_b32_e32 v161, v159
	v_add_u32_e32 v176, s26, v151
	v_mov_b32_e32 v177, v159
	v_add_u32_e32 v174, s26, v147
	v_mov_b32_e32 v175, v159
	v_add_u32_e32 v172, s26, v150
	v_mov_b32_e32 v173, v159
	v_add_u32_e32 v170, s26, v149
	v_mov_b32_e32 v171, v159
	v_add_u32_e32 v168, s26, v152
	v_mov_b32_e32 v169, v159
	v_add_u32_e32 v166, s26, v154
	v_mov_b32_e32 v167, v159
	v_add_u32_e32 v164, s26, v156
	v_mov_b32_e32 v165, v159
	s_waitcnt vmcnt(8) lgkmcnt(0)
	v_lshl_add_u64 v[12:13], v[158:159], 1, s[8:9]
	s_waitcnt vmcnt(6)
	v_lshl_add_u64 v[68:69], v[160:161], 1, s[10:11]
	v_lshl_add_u64 v[70:71], v[176:177], 1, s[10:11]
	s_waitcnt vmcnt(4)
	v_lshl_add_u64 v[100:101], v[174:175], 1, s[10:11]
	;; [unrolled: 3-line block ×4, first 2 shown]
	v_lshl_add_u64 v[138:139], v[164:165], 1, s[10:11]
	global_load_dwordx4 v[12:15], v[12:13], off nt
	s_nop 0
	global_load_dwordx4 v[76:79], v[68:69], off
	s_nop 0
	global_load_dwordx4 v[68:71], v[70:71], off
	;; [unrolled: 2-line block ×8, first 2 shown]
	v_cmp_gt_u32_e64 s[4:5], s6, v162
	s_and_saveexec_b64 s[18:19], s[4:5]
	s_cbranch_execz .LBB17_16
; %bb.11:                               ;   in Loop: Header=BB17_9 Depth=2
	v_add_u32_e32 v8, 0x200, v158
	v_mov_b32_e32 v9, v159
	v_mov_b32_e32 v163, v159
	v_add_u32_e32 v38, 0x200, v176
	v_mov_b32_e32 v39, v159
	v_add_u32_e32 v60, 0x200, v174
	;; [unrolled: 2-line block ×7, first 2 shown]
	v_mov_b32_e32 v115, v159
	v_lshl_add_u64 v[8:9], v[8:9], 1, s[8:9]
	v_lshl_add_u64 v[36:37], v[162:163], 1, s[10:11]
	;; [unrolled: 1-line block ×9, first 2 shown]
	global_load_dwordx4 v[8:11], v[8:9], off nt
	s_nop 0
	global_load_dwordx4 v[44:47], v[36:37], off
	s_nop 0
	global_load_dwordx4 v[36:39], v[38:39], off
	;; [unrolled: 2-line block ×8, first 2 shown]
	v_add_u32_e32 v178, 0x400, v160
	v_cmp_gt_u32_e64 s[4:5], s6, v178
	s_and_saveexec_b64 s[20:21], s[4:5]
	s_cbranch_execz .LBB17_15
; %bb.12:                               ;   in Loop: Header=BB17_9 Depth=2
	v_add_u32_e32 v4, 0x400, v158
	v_mov_b32_e32 v5, v159
	v_mov_b32_e32 v179, v159
	v_add_u32_e32 v26, 0x400, v176
	v_mov_b32_e32 v27, v159
	v_add_u32_e32 v32, 0x400, v174
	;; [unrolled: 2-line block ×7, first 2 shown]
	v_mov_b32_e32 v87, v159
	v_lshl_add_u64 v[4:5], v[4:5], 1, s[8:9]
	v_lshl_add_u64 v[24:25], v[178:179], 1, s[10:11]
	;; [unrolled: 1-line block ×9, first 2 shown]
	global_load_dwordx4 v[4:7], v[4:5], off nt
	s_nop 0
	global_load_dwordx4 v[28:31], v[24:25], off
	s_nop 0
	global_load_dwordx4 v[24:27], v[26:27], off
	;; [unrolled: 2-line block ×8, first 2 shown]
	v_add_u32_e32 v178, 0x600, v160
	v_cmp_gt_u32_e64 s[4:5], s6, v178
	s_and_saveexec_b64 s[22:23], s[4:5]
	s_cbranch_execz .LBB17_14
; %bb.13:                               ;   in Loop: Header=BB17_9 Depth=2
	v_add_u32_e32 v158, 0x600, v158
	v_lshl_add_u64 v[0:1], v[158:159], 1, s[8:9]
	v_add_u32_e32 v158, 0x600, v176
	v_lshl_add_u64 v[18:19], v[158:159], 1, s[10:11]
	;; [unrolled: 2-line block ×6, first 2 shown]
	v_add_u32_e32 v158, 0x600, v166
	v_mov_b32_e32 v179, v159
	v_lshl_add_u64 v[128:129], v[158:159], 1, s[10:11]
	v_add_u32_e32 v158, 0x600, v164
	v_lshl_add_u64 v[16:17], v[178:179], 1, s[10:11]
	v_lshl_add_u64 v[130:131], v[158:159], 1, s[10:11]
	global_load_dwordx4 v[0:3], v[0:1], off nt
	s_nop 0
	global_load_dwordx4 v[20:23], v[16:17], off
	s_nop 0
	global_load_dwordx4 v[16:19], v[18:19], off
	;; [unrolled: 2-line block ×8, first 2 shown]
.LBB17_14:                              ;   in Loop: Header=BB17_9 Depth=2
	s_or_b64 exec, exec, s[22:23]
.LBB17_15:                              ;   in Loop: Header=BB17_9 Depth=2
	s_or_b64 exec, exec, s[20:21]
.LBB17_16:                              ;   in Loop: Header=BB17_9 Depth=2
	s_or_b64 exec, exec, s[18:19]
.LBB17_17:                              ;   in Loop: Header=BB17_9 Depth=2
	s_or_b64 exec, exec, s[16:17]
	s_and_saveexec_b64 s[4:5], vcc
	s_cbranch_execz .LBB17_8
; %bb.18:                               ;   in Loop: Header=BB17_9 Depth=2
	s_waitcnt vmcnt(7)
	;;#ASMSTART
	v_dot2c_f32_f16 v145, v76, v12
	;;#ASMEND
	s_waitcnt vmcnt(6)
	;;#ASMSTART
	v_dot2c_f32_f16 v183, v68, v12
	;;#ASMEND
	;; [unrolled: 4-line block ×8, first 2 shown]
	;;#ASMSTART
	v_dot2c_f32_f16 v145, v77, v13
	;;#ASMEND
	;;#ASMSTART
	v_dot2c_f32_f16 v183, v69, v13
	;;#ASMEND
	;; [unrolled: 3-line block ×7, first 2 shown]
	s_nop 0
	;;#ASMSTART
	v_dot2c_f32_f16 v153, v137, v13
	;;#ASMEND
	;;#ASMSTART
	v_dot2c_f32_f16 v145, v78, v14
	;;#ASMEND
	;; [unrolled: 3-line block ×8, first 2 shown]
	s_nop 0
	;;#ASMSTART
	v_dot2c_f32_f16 v153, v138, v14
	;;#ASMEND
	v_cmp_gt_u32_e32 vcc, s6, v162
	;;#ASMSTART
	v_dot2c_f32_f16 v145, v79, v15
	;;#ASMEND
	;;#ASMSTART
	v_dot2c_f32_f16 v183, v71, v15
	;;#ASMEND
	;;#ASMSTART
	v_dot2c_f32_f16 v182, v111, v15
	;;#ASMEND
	;;#ASMSTART
	v_dot2c_f32_f16 v181, v103, v15
	;;#ASMEND
	;;#ASMSTART
	v_dot2c_f32_f16 v180, v127, v15
	;;#ASMEND
	;;#ASMSTART
	v_dot2c_f32_f16 v157, v119, v15
	;;#ASMEND
	;;#ASMSTART
	v_dot2c_f32_f16 v155, v143, v15
	;;#ASMEND
	;;#ASMSTART
	v_dot2c_f32_f16 v153, v139, v15
	;;#ASMEND
	s_and_saveexec_b64 s[16:17], vcc
	s_cbranch_execz .LBB17_7
; %bb.19:                               ;   in Loop: Header=BB17_9 Depth=2
	;;#ASMSTART
	v_dot2c_f32_f16 v145, v44, v8
	;;#ASMEND
	;;#ASMSTART
	v_dot2c_f32_f16 v183, v36, v8
	;;#ASMEND
	;; [unrolled: 3-line block ×8, first 2 shown]
	s_nop 0
	;;#ASMSTART
	v_dot2c_f32_f16 v145, v45, v9
	;;#ASMEND
	;;#ASMSTART
	v_dot2c_f32_f16 v183, v37, v9
	;;#ASMEND
	;;#ASMSTART
	v_dot2c_f32_f16 v182, v73, v9
	;;#ASMEND
	;;#ASMSTART
	v_dot2c_f32_f16 v181, v61, v9
	;;#ASMEND
	;;#ASMSTART
	v_dot2c_f32_f16 v180, v105, v9
	;;#ASMEND
	;;#ASMSTART
	v_dot2c_f32_f16 v157, v93, v9
	;;#ASMEND
	;;#ASMSTART
	v_dot2c_f32_f16 v155, v121, v9
	;;#ASMEND
	;;#ASMSTART
	v_dot2c_f32_f16 v153, v113, v9
	;;#ASMEND
	v_add_u32_e32 v158, 0x400, v160
	;;#ASMSTART
	v_dot2c_f32_f16 v145, v46, v10
	;;#ASMEND
	;;#ASMSTART
	v_dot2c_f32_f16 v183, v38, v10
	;;#ASMEND
	;; [unrolled: 3-line block ×8, first 2 shown]
	v_cmp_gt_u32_e32 vcc, s6, v158
	;;#ASMSTART
	v_dot2c_f32_f16 v145, v47, v11
	;;#ASMEND
	;;#ASMSTART
	v_dot2c_f32_f16 v183, v39, v11
	;;#ASMEND
	;; [unrolled: 3-line block ×8, first 2 shown]
	s_and_saveexec_b64 s[18:19], vcc
	s_cbranch_execz .LBB17_6
; %bb.20:                               ;   in Loop: Header=BB17_9 Depth=2
	;;#ASMSTART
	v_dot2c_f32_f16 v145, v28, v4
	;;#ASMEND
	;;#ASMSTART
	v_dot2c_f32_f16 v183, v24, v4
	;;#ASMEND
	;; [unrolled: 3-line block ×8, first 2 shown]
	s_nop 0
	;;#ASMSTART
	v_dot2c_f32_f16 v145, v29, v5
	;;#ASMEND
	;;#ASMSTART
	v_dot2c_f32_f16 v183, v25, v5
	;;#ASMEND
	;; [unrolled: 3-line block ×8, first 2 shown]
	v_add_u32_e32 v158, 0x600, v160
	;;#ASMSTART
	v_dot2c_f32_f16 v145, v30, v6
	;;#ASMEND
	;;#ASMSTART
	v_dot2c_f32_f16 v183, v26, v6
	;;#ASMEND
	;; [unrolled: 3-line block ×8, first 2 shown]
	v_cmp_gt_u32_e32 vcc, s6, v158
	;;#ASMSTART
	v_dot2c_f32_f16 v145, v31, v7
	;;#ASMEND
	;;#ASMSTART
	v_dot2c_f32_f16 v183, v27, v7
	;;#ASMEND
	;; [unrolled: 3-line block ×8, first 2 shown]
	s_and_saveexec_b64 s[20:21], vcc
	s_cbranch_execz .LBB17_5
; %bb.21:                               ;   in Loop: Header=BB17_9 Depth=2
	;;#ASMSTART
	v_dot2c_f32_f16 v145, v20, v0
	;;#ASMEND
	;;#ASMSTART
	v_dot2c_f32_f16 v183, v16, v0
	;;#ASMEND
	;;#ASMSTART
	v_dot2c_f32_f16 v182, v52, v0
	;;#ASMEND
	;;#ASMSTART
	v_dot2c_f32_f16 v181, v48, v0
	;;#ASMEND
	;;#ASMSTART
	v_dot2c_f32_f16 v180, v88, v0
	;;#ASMEND
	;;#ASMSTART
	v_dot2c_f32_f16 v157, v80, v0
	;;#ASMEND
	;;#ASMSTART
	v_dot2c_f32_f16 v155, v132, v0
	;;#ASMEND
	;;#ASMSTART
	v_dot2c_f32_f16 v153, v128, v0
	;;#ASMEND
	s_nop 0
	;;#ASMSTART
	v_dot2c_f32_f16 v145, v21, v1
	;;#ASMEND
	;;#ASMSTART
	v_dot2c_f32_f16 v183, v17, v1
	;;#ASMEND
	;;#ASMSTART
	v_dot2c_f32_f16 v182, v53, v1
	;;#ASMEND
	;;#ASMSTART
	v_dot2c_f32_f16 v181, v49, v1
	;;#ASMEND
	;;#ASMSTART
	v_dot2c_f32_f16 v180, v89, v1
	;;#ASMEND
	;;#ASMSTART
	v_dot2c_f32_f16 v157, v81, v1
	;;#ASMEND
	;;#ASMSTART
	v_dot2c_f32_f16 v155, v133, v1
	;;#ASMEND
	;;#ASMSTART
	v_dot2c_f32_f16 v153, v129, v1
	;;#ASMEND
	s_nop 0
	;; [unrolled: 25-line block ×3, first 2 shown]
	;;#ASMSTART
	v_dot2c_f32_f16 v145, v23, v3
	;;#ASMEND
	;;#ASMSTART
	v_dot2c_f32_f16 v183, v19, v3
	;;#ASMEND
	;; [unrolled: 3-line block ×8, first 2 shown]
	s_branch .LBB17_5
.LBB17_22:                              ;   in Loop: Header=BB17_3 Depth=1
	v_mov_b32_e32 v145, v159
	v_mov_b32_e32 v183, v159
	;; [unrolled: 1-line block ×8, first 2 shown]
.LBB17_23:                              ;   in Loop: Header=BB17_3 Depth=1
	;;#ASMSTART
	s_nop 0
	v_add_f32 v145, v145, v145 row_shr:8 bound_ctrl:0 
	;;#ASMEND
	;;#ASMSTART
	s_nop 0
	v_add_f32 v183, v183, v183 row_shr:8 bound_ctrl:0 
	;;#ASMEND
	;;#ASMSTART
	s_nop 0
	v_add_f32 v182, v182, v182 row_shr:8 bound_ctrl:0 
	;;#ASMEND
	;;#ASMSTART
	s_nop 0
	v_add_f32 v181, v181, v181 row_shr:8 bound_ctrl:0 
	;;#ASMEND
	;;#ASMSTART
	s_nop 0
	v_add_f32 v180, v180, v180 row_shr:8 bound_ctrl:0 
	;;#ASMEND
	;;#ASMSTART
	s_nop 0
	v_add_f32 v157, v157, v157 row_shr:8 bound_ctrl:0 
	;;#ASMEND
	;;#ASMSTART
	s_nop 0
	v_add_f32 v155, v155, v155 row_shr:8 bound_ctrl:0 
	;;#ASMEND
	;;#ASMSTART
	s_nop 0
	v_add_f32 v153, v153, v153 row_shr:8 bound_ctrl:0 
	;;#ASMEND
	s_nop 0
	;;#ASMSTART
	s_nop 0
	v_add_f32 v145, v145, v145 row_shr:4 bound_ctrl:0 
	;;#ASMEND
	;;#ASMSTART
	s_nop 0
	v_add_f32 v183, v183, v183 row_shr:4 bound_ctrl:0 
	;;#ASMEND
	;;#ASMSTART
	s_nop 0
	v_add_f32 v182, v182, v182 row_shr:4 bound_ctrl:0 
	;;#ASMEND
	;;#ASMSTART
	s_nop 0
	v_add_f32 v181, v181, v181 row_shr:4 bound_ctrl:0 
	;;#ASMEND
	;;#ASMSTART
	s_nop 0
	v_add_f32 v180, v180, v180 row_shr:4 bound_ctrl:0 
	;;#ASMEND
	;;#ASMSTART
	s_nop 0
	v_add_f32 v157, v157, v157 row_shr:4 bound_ctrl:0 
	;;#ASMEND
	;;#ASMSTART
	s_nop 0
	v_add_f32 v155, v155, v155 row_shr:4 bound_ctrl:0 
	;;#ASMEND
	;;#ASMSTART
	s_nop 0
	v_add_f32 v153, v153, v153 row_shr:4 bound_ctrl:0 
	;;#ASMEND
	s_nop 0
	;;#ASMSTART
	s_nop 0
	v_add_f32 v145, v145, v145 row_shr:2 bound_ctrl:0 
	;;#ASMEND
	;;#ASMSTART
	s_nop 0
	v_add_f32 v183, v183, v183 row_shr:2 bound_ctrl:0 
	;;#ASMEND
	;;#ASMSTART
	s_nop 0
	v_add_f32 v182, v182, v182 row_shr:2 bound_ctrl:0 
	;;#ASMEND
	;;#ASMSTART
	s_nop 0
	v_add_f32 v181, v181, v181 row_shr:2 bound_ctrl:0 
	;;#ASMEND
	;;#ASMSTART
	s_nop 0
	v_add_f32 v180, v180, v180 row_shr:2 bound_ctrl:0 
	;;#ASMEND
	;;#ASMSTART
	s_nop 0
	v_add_f32 v157, v157, v157 row_shr:2 bound_ctrl:0 
	;;#ASMEND
	;;#ASMSTART
	s_nop 0
	v_add_f32 v155, v155, v155 row_shr:2 bound_ctrl:0 
	;;#ASMEND
	;;#ASMSTART
	s_nop 0
	v_add_f32 v153, v153, v153 row_shr:2 bound_ctrl:0 
	;;#ASMEND
	s_nop 0
	;;#ASMSTART
	s_nop 0
	v_add_f32 v145, v145, v145 wave_shr:1 bound_ctrl:0
	;;#ASMEND
	;;#ASMSTART
	s_nop 0
	v_add_f32 v183, v183, v183 wave_shr:1 bound_ctrl:0
	;;#ASMEND
	;; [unrolled: 4-line block ×8, first 2 shown]
	s_nop 0
	;;#ASMSTART
	s_nop 0
	v_add_f32 v145, v145, v145 row_bcast:15 bound_ctrl:0
	;;#ASMEND
	;;#ASMSTART
	s_nop 0
	v_add_f32 v183, v183, v183 row_bcast:15 bound_ctrl:0
	;;#ASMEND
	;; [unrolled: 4-line block ×8, first 2 shown]
	s_nop 0
	;;#ASMSTART
	s_nop 0
	v_add_f32 v145, v145, v145 row_bcast:31 bound_ctrl:0
	;;#ASMEND
	;;#ASMSTART
	s_nop 0
	v_add_f32 v183, v183, v183 row_bcast:31 bound_ctrl:0
	;;#ASMEND
	;; [unrolled: 4-line block ×8, first 2 shown]
	s_and_saveexec_b64 s[4:5], s[0:1]
	s_cbranch_execz .LBB17_2
; %bb.24:                               ;   in Loop: Header=BB17_3 Depth=1
	v_cvt_f16_f32_e32 v158, v145
	v_mov_b32_e32 v145, v159
	v_cvt_f16_f32_e32 v162, v183
	s_waitcnt lgkmcnt(0)
	v_lshl_add_u64 v[160:161], v[144:145], 1, s[12:13]
	v_cvt_f16_f32_e32 v145, v182
	global_store_short v[160:161], v158, off
	v_add_u32_e32 v158, s7, v144
	v_lshl_add_u64 v[160:161], v[158:159], 1, s[12:13]
	v_add_u32_e32 v158, s7, v158
	global_store_short v[160:161], v162, off
	v_lshl_add_u64 v[160:161], v[158:159], 1, s[12:13]
	v_cvt_f16_f32_e32 v162, v181
	global_store_short v[160:161], v145, off
	v_cvt_f16_f32_e32 v145, v180
	v_add_u32_e32 v158, s7, v158
	v_lshl_add_u64 v[160:161], v[158:159], 1, s[12:13]
	v_add_u32_e32 v158, s7, v158
	global_store_short v[160:161], v162, off
	v_lshl_add_u64 v[160:161], v[158:159], 1, s[12:13]
	v_cvt_f16_f32_e32 v157, v157
	global_store_short v[160:161], v145, off
	v_cvt_f16_f32_e32 v145, v155
	v_add_u32_e32 v158, s7, v158
	v_cvt_f16_f32_e32 v153, v153
	v_lshl_add_u64 v[160:161], v[158:159], 1, s[12:13]
	v_add_u32_e32 v158, s7, v158
	global_store_short v[160:161], v157, off
	v_lshl_add_u64 v[160:161], v[158:159], 1, s[12:13]
	v_add_u32_e32 v158, s7, v158
	global_store_short v[160:161], v145, off
	v_lshl_add_u64 v[160:161], v[158:159], 1, s[12:13]
	global_store_short v[160:161], v153, off
	s_branch .LBB17_2
.LBB17_25:
	s_endpgm
	.section	.rodata,"a",@progbits
	.p2align	6, 0x0
	.amdhsa_kernel _ZN5aiter32wv_splitk_small_fp16_bf16_kernelI6__halfLi64ELi1ELi1ELi8ELi4ELi8EEEviiPKT_S4_PS2_ii
		.amdhsa_group_segment_fixed_size 0
		.amdhsa_private_segment_fixed_size 0
		.amdhsa_kernarg_size 40
		.amdhsa_user_sgpr_count 2
		.amdhsa_user_sgpr_dispatch_ptr 0
		.amdhsa_user_sgpr_queue_ptr 0
		.amdhsa_user_sgpr_kernarg_segment_ptr 1
		.amdhsa_user_sgpr_dispatch_id 0
		.amdhsa_user_sgpr_kernarg_preload_length 0
		.amdhsa_user_sgpr_kernarg_preload_offset 0
		.amdhsa_user_sgpr_private_segment_size 0
		.amdhsa_uses_dynamic_stack 0
		.amdhsa_enable_private_segment 0
		.amdhsa_system_sgpr_workgroup_id_x 1
		.amdhsa_system_sgpr_workgroup_id_y 0
		.amdhsa_system_sgpr_workgroup_id_z 0
		.amdhsa_system_sgpr_workgroup_info 0
		.amdhsa_system_vgpr_workitem_id 1
		.amdhsa_next_free_vgpr 184
		.amdhsa_next_free_sgpr 27
		.amdhsa_accum_offset 184
		.amdhsa_reserve_vcc 1
		.amdhsa_float_round_mode_32 0
		.amdhsa_float_round_mode_16_64 0
		.amdhsa_float_denorm_mode_32 3
		.amdhsa_float_denorm_mode_16_64 3
		.amdhsa_dx10_clamp 1
		.amdhsa_ieee_mode 1
		.amdhsa_fp16_overflow 0
		.amdhsa_tg_split 0
		.amdhsa_exception_fp_ieee_invalid_op 0
		.amdhsa_exception_fp_denorm_src 0
		.amdhsa_exception_fp_ieee_div_zero 0
		.amdhsa_exception_fp_ieee_overflow 0
		.amdhsa_exception_fp_ieee_underflow 0
		.amdhsa_exception_fp_ieee_inexact 0
		.amdhsa_exception_int_div_zero 0
	.end_amdhsa_kernel
	.section	.text._ZN5aiter32wv_splitk_small_fp16_bf16_kernelI6__halfLi64ELi1ELi1ELi8ELi4ELi8EEEviiPKT_S4_PS2_ii,"axG",@progbits,_ZN5aiter32wv_splitk_small_fp16_bf16_kernelI6__halfLi64ELi1ELi1ELi8ELi4ELi8EEEviiPKT_S4_PS2_ii,comdat
.Lfunc_end17:
	.size	_ZN5aiter32wv_splitk_small_fp16_bf16_kernelI6__halfLi64ELi1ELi1ELi8ELi4ELi8EEEviiPKT_S4_PS2_ii, .Lfunc_end17-_ZN5aiter32wv_splitk_small_fp16_bf16_kernelI6__halfLi64ELi1ELi1ELi8ELi4ELi8EEEviiPKT_S4_PS2_ii
                                        ; -- End function
	.section	.AMDGPU.csdata,"",@progbits
; Kernel info:
; codeLenInByte = 3632
; NumSgprs: 33
; NumVgprs: 184
; NumAgprs: 0
; TotalNumVgprs: 184
; ScratchSize: 0
; MemoryBound: 1
; FloatMode: 240
; IeeeMode: 1
; LDSByteSize: 0 bytes/workgroup (compile time only)
; SGPRBlocks: 4
; VGPRBlocks: 22
; NumSGPRsForWavesPerEU: 33
; NumVGPRsForWavesPerEU: 184
; AccumOffset: 184
; Occupancy: 2
; WaveLimiterHint : 0
; COMPUTE_PGM_RSRC2:SCRATCH_EN: 0
; COMPUTE_PGM_RSRC2:USER_SGPR: 2
; COMPUTE_PGM_RSRC2:TRAP_HANDLER: 0
; COMPUTE_PGM_RSRC2:TGID_X_EN: 1
; COMPUTE_PGM_RSRC2:TGID_Y_EN: 0
; COMPUTE_PGM_RSRC2:TGID_Z_EN: 0
; COMPUTE_PGM_RSRC2:TIDIG_COMP_CNT: 1
; COMPUTE_PGM_RSRC3_GFX90A:ACCUM_OFFSET: 45
; COMPUTE_PGM_RSRC3_GFX90A:TG_SPLIT: 0
	.section	.text._ZN5aiter32wv_splitk_small_fp16_bf16_kernelI6__halfLi64ELi1ELi1ELi8ELi4ELi9EEEviiPKT_S4_PS2_ii,"axG",@progbits,_ZN5aiter32wv_splitk_small_fp16_bf16_kernelI6__halfLi64ELi1ELi1ELi8ELi4ELi9EEEviiPKT_S4_PS2_ii,comdat
	.protected	_ZN5aiter32wv_splitk_small_fp16_bf16_kernelI6__halfLi64ELi1ELi1ELi8ELi4ELi9EEEviiPKT_S4_PS2_ii ; -- Begin function _ZN5aiter32wv_splitk_small_fp16_bf16_kernelI6__halfLi64ELi1ELi1ELi8ELi4ELi9EEEviiPKT_S4_PS2_ii
	.globl	_ZN5aiter32wv_splitk_small_fp16_bf16_kernelI6__halfLi64ELi1ELi1ELi8ELi4ELi9EEEviiPKT_S4_PS2_ii
	.p2align	8
	.type	_ZN5aiter32wv_splitk_small_fp16_bf16_kernelI6__halfLi64ELi1ELi1ELi8ELi4ELi9EEEviiPKT_S4_PS2_ii,@function
_ZN5aiter32wv_splitk_small_fp16_bf16_kernelI6__halfLi64ELi1ELi1ELi8ELi4ELi9EEEviiPKT_S4_PS2_ii: ; @_ZN5aiter32wv_splitk_small_fp16_bf16_kernelI6__halfLi64ELi1ELi1ELi8ELi4ELi9EEEviiPKT_S4_PS2_ii
; %bb.0:
	s_load_dwordx2 s[4:5], s[0:1], 0x20
	s_load_dwordx2 s[6:7], s[0:1], 0x0
	v_bfe_u32 v1, v0, 10, 10
	s_waitcnt lgkmcnt(0)
	s_mul_i32 s2, s2, s4
	v_add_u32_e32 v160, s2, v1
	v_cmp_gt_u32_e32 vcc, s7, v160
	s_and_saveexec_b64 s[2:3], vcc
	s_cbranch_execz .LBB18_25
; %bb.1:
	v_and_b32_e32 v0, 0x3ff, v0
	v_lshlrev_b32_e32 v162, 3, v0
	s_load_dwordx4 s[8:11], s[0:1], 0x8
	s_load_dwordx2 s[12:13], s[0:1], 0x18
	v_mad_u64_u32 v[164:165], s[2:3], s6, v160, v[162:163]
	v_lshl_add_u32 v163, s6, 1, v162
	s_cmp_lg_u32 s6, 0
	v_mad_u64_u32 v[166:167], s[2:3], s6, 3, v[162:163]
	v_mad_u64_u32 v[168:169], s[2:3], s6, 5, v[162:163]
	;; [unrolled: 1-line block ×4, first 2 shown]
	s_cselect_b64 s[2:3], -1, 0
	v_cmp_eq_u32_e64 s[0:1], 63, v0
	s_mul_i32 s24, s5, s4
	v_cndmask_b32_e64 v0, 0, 1, s[2:3]
	s_mul_i32 s25, s24, s6
	v_lshl_add_u32 v165, s6, 2, v162
	v_lshl_add_u32 v167, s6, 3, v162
	v_add_u32_e32 v169, s6, v162
	s_mov_b64 s[14:15], 0
	v_cmp_ne_u32_e64 s[2:3], 1, v0
	v_mov_b32_e32 v175, 0
                                        ; implicit-def: $vgpr0_vgpr1_vgpr2_vgpr3
                                        ; implicit-def: $vgpr4_vgpr5_vgpr6_vgpr7
                                        ; implicit-def: $vgpr8_vgpr9_vgpr10_vgpr11
                                        ; implicit-def: $vgpr12_vgpr13_vgpr14_vgpr15
                                        ; implicit-def: $vgpr154_vgpr155
                                        ; implicit-def: $vgpr134_vgpr135
                                        ; implicit-def: $vgpr142_vgpr143
                                        ; implicit-def: $vgpr82_vgpr83
                                        ; implicit-def: $vgpr86_vgpr87
                                        ; implicit-def: $vgpr38_vgpr39
                                        ; implicit-def: $vgpr46_vgpr47
                                        ; implicit-def: $vgpr18_vgpr19
                                        ; implicit-def: $vgpr22_vgpr23
                                        ; implicit-def: $vgpr114_vgpr115
                                        ; implicit-def: $vgpr90_vgpr91
                                        ; implicit-def: $vgpr94_vgpr95
                                        ; implicit-def: $vgpr58_vgpr59
                                        ; implicit-def: $vgpr62_vgpr63
                                        ; implicit-def: $vgpr34_vgpr35
                                        ; implicit-def: $vgpr42_vgpr43
                                        ; implicit-def: $vgpr26_vgpr27
                                        ; implicit-def: $vgpr30_vgpr31
                                        ; implicit-def: $vgpr138_vgpr139
                                        ; implicit-def: $vgpr118_vgpr119
                                        ; implicit-def: $vgpr122_vgpr123
                                        ; implicit-def: $vgpr98_vgpr99
                                        ; implicit-def: $vgpr102_vgpr103
                                        ; implicit-def: $vgpr66_vgpr67
                                        ; implicit-def: $vgpr70_vgpr71
                                        ; implicit-def: $vgpr50_vgpr51
                                        ; implicit-def: $vgpr54_vgpr55
                                        ; implicit-def: $vgpr158_vgpr159
                                        ; implicit-def: $vgpr146_vgpr147
                                        ; implicit-def: $vgpr150_vgpr151
                                        ; implicit-def: $vgpr126_vgpr127
                                        ; implicit-def: $vgpr130_vgpr131
                                        ; implicit-def: $vgpr106_vgpr107
                                        ; implicit-def: $vgpr110_vgpr111
                                        ; implicit-def: $vgpr74_vgpr75
                                        ; implicit-def: $vgpr78_vgpr79
	s_branch .LBB18_3
.LBB18_2:                               ;   in Loop: Header=BB18_3 Depth=1
	s_or_b64 exec, exec, s[4:5]
	v_add_u32_e32 v160, s24, v160
	v_cmp_le_u32_e32 vcc, s7, v160
	s_or_b64 s[14:15], vcc, s[14:15]
	v_add_u32_e32 v164, s25, v164
	s_andn2_b64 exec, exec, s[14:15]
	s_cbranch_execz .LBB18_25
.LBB18_3:                               ; =>This Loop Header: Depth=1
                                        ;     Child Loop BB18_9 Depth 2
	s_and_b64 vcc, exec, s[2:3]
	s_mov_b32 s26, 0
	s_cbranch_vccnz .LBB18_22
; %bb.4:                                ;   in Loop: Header=BB18_3 Depth=1
	v_mov_b32_e32 v171, 0
	v_mov_b32_e32 v173, 0
	;; [unrolled: 1-line block ×9, first 2 shown]
	s_branch .LBB18_9
.LBB18_5:                               ;   in Loop: Header=BB18_9 Depth=2
	s_or_b64 exec, exec, s[20:21]
.LBB18_6:                               ;   in Loop: Header=BB18_9 Depth=2
	s_or_b64 exec, exec, s[18:19]
.LBB18_7:                               ;   in Loop: Header=BB18_9 Depth=2
	s_or_b64 exec, exec, s[16:17]
.LBB18_8:                               ;   in Loop: Header=BB18_9 Depth=2
	s_or_b64 exec, exec, s[4:5]
	s_addk_i32 s26, 0x800
	s_cmp_ge_u32 s26, s6
	s_cbranch_scc1 .LBB18_23
.LBB18_9:                               ;   Parent Loop BB18_3 Depth=1
                                        ; =>  This Inner Loop Header: Depth=2
	v_add_u32_e32 v176, s26, v162
	v_cmp_gt_u32_e32 vcc, s6, v176
	v_add_u32_e32 v178, 0x200, v176
	s_and_saveexec_b64 s[16:17], vcc
	s_cbranch_execz .LBB18_17
; %bb.10:                               ;   in Loop: Header=BB18_9 Depth=2
	v_add_u32_e32 v174, s26, v164
	v_mov_b32_e32 v177, v175
	v_add_u32_e32 v194, s26, v169
	v_mov_b32_e32 v195, v175
	;; [unrolled: 2-line block ×9, first 2 shown]
	s_waitcnt vmcnt(9) lgkmcnt(0)
	v_lshl_add_u64 v[12:13], v[174:175], 1, s[8:9]
	s_waitcnt vmcnt(7)
	v_lshl_add_u64 v[72:73], v[176:177], 1, s[10:11]
	v_lshl_add_u64 v[74:75], v[194:195], 1, s[10:11]
	s_waitcnt vmcnt(5)
	v_lshl_add_u64 v[104:105], v[192:193], 1, s[10:11]
	;; [unrolled: 3-line block ×5, first 2 shown]
	global_load_dwordx4 v[12:15], v[12:13], off nt
	s_nop 0
	global_load_dwordx4 v[76:79], v[72:73], off
	s_nop 0
	global_load_dwordx4 v[72:75], v[74:75], off
	;; [unrolled: 2-line block ×8, first 2 shown]
	v_cmp_gt_u32_e64 s[4:5], s6, v178
	global_load_dwordx4 v[156:159], v[156:157], off
	s_and_saveexec_b64 s[18:19], s[4:5]
	s_cbranch_execz .LBB18_16
; %bb.11:                               ;   in Loop: Header=BB18_9 Depth=2
	v_add_u32_e32 v8, 0x200, v174
	v_mov_b32_e32 v9, v175
	v_mov_b32_e32 v179, v175
	v_add_u32_e32 v50, 0x200, v194
	v_mov_b32_e32 v51, v175
	v_add_u32_e32 v64, 0x200, v192
	v_mov_b32_e32 v65, v175
	v_add_u32_e32 v66, 0x200, v190
	v_mov_b32_e32 v67, v175
	v_add_u32_e32 v96, 0x200, v188
	v_mov_b32_e32 v97, v175
	v_add_u32_e32 v98, 0x200, v186
	v_mov_b32_e32 v99, v175
	v_add_u32_e32 v116, 0x200, v184
	v_mov_b32_e32 v117, v175
	v_add_u32_e32 v118, 0x200, v182
	v_mov_b32_e32 v119, v175
	v_add_u32_e32 v136, 0x200, v180
	v_mov_b32_e32 v137, v175
	v_lshl_add_u64 v[8:9], v[8:9], 1, s[8:9]
	v_lshl_add_u64 v[48:49], v[178:179], 1, s[10:11]
	;; [unrolled: 1-line block ×10, first 2 shown]
	global_load_dwordx4 v[8:11], v[8:9], off nt
	s_nop 0
	global_load_dwordx4 v[52:55], v[48:49], off
	s_nop 0
	global_load_dwordx4 v[48:51], v[50:51], off
	;; [unrolled: 2-line block ×8, first 2 shown]
	v_add_u32_e32 v196, 0x400, v176
	global_load_dwordx4 v[136:139], v[136:137], off
	v_cmp_gt_u32_e64 s[4:5], s6, v196
	s_and_saveexec_b64 s[20:21], s[4:5]
	s_cbranch_execz .LBB18_15
; %bb.12:                               ;   in Loop: Header=BB18_9 Depth=2
	v_add_u32_e32 v4, 0x400, v174
	v_mov_b32_e32 v5, v175
	v_mov_b32_e32 v197, v175
	v_add_u32_e32 v26, 0x400, v194
	v_mov_b32_e32 v27, v175
	v_add_u32_e32 v32, 0x400, v192
	;; [unrolled: 2-line block ×8, first 2 shown]
	v_mov_b32_e32 v113, v175
	v_lshl_add_u64 v[4:5], v[4:5], 1, s[8:9]
	v_lshl_add_u64 v[24:25], v[196:197], 1, s[10:11]
	;; [unrolled: 1-line block ×10, first 2 shown]
	global_load_dwordx4 v[4:7], v[4:5], off nt
	s_nop 0
	global_load_dwordx4 v[28:31], v[24:25], off
	s_nop 0
	global_load_dwordx4 v[24:27], v[26:27], off
	;; [unrolled: 2-line block ×8, first 2 shown]
	v_add_u32_e32 v196, 0x600, v176
	global_load_dwordx4 v[112:115], v[112:113], off
	v_cmp_gt_u32_e64 s[4:5], s6, v196
	s_and_saveexec_b64 s[22:23], s[4:5]
	s_cbranch_execz .LBB18_14
; %bb.13:                               ;   in Loop: Header=BB18_9 Depth=2
	v_add_u32_e32 v174, 0x600, v174
	v_lshl_add_u64 v[0:1], v[174:175], 1, s[8:9]
	v_add_u32_e32 v174, 0x600, v194
	v_lshl_add_u64 v[18:19], v[174:175], 1, s[10:11]
	;; [unrolled: 2-line block ×7, first 2 shown]
	v_add_u32_e32 v174, 0x600, v182
	v_mov_b32_e32 v197, v175
	v_lshl_add_u64 v[134:135], v[174:175], 1, s[10:11]
	v_add_u32_e32 v174, 0x600, v180
	v_lshl_add_u64 v[16:17], v[196:197], 1, s[10:11]
	v_lshl_add_u64 v[152:153], v[174:175], 1, s[10:11]
	global_load_dwordx4 v[0:3], v[0:1], off nt
	s_nop 0
	global_load_dwordx4 v[20:23], v[16:17], off
	s_nop 0
	global_load_dwordx4 v[16:19], v[18:19], off
	;; [unrolled: 2-line block ×9, first 2 shown]
.LBB18_14:                              ;   in Loop: Header=BB18_9 Depth=2
	s_or_b64 exec, exec, s[22:23]
.LBB18_15:                              ;   in Loop: Header=BB18_9 Depth=2
	s_or_b64 exec, exec, s[20:21]
.LBB18_16:                              ;   in Loop: Header=BB18_9 Depth=2
	s_or_b64 exec, exec, s[18:19]
.LBB18_17:                              ;   in Loop: Header=BB18_9 Depth=2
	s_or_b64 exec, exec, s[16:17]
	s_and_saveexec_b64 s[4:5], vcc
	s_cbranch_execz .LBB18_8
; %bb.18:                               ;   in Loop: Header=BB18_9 Depth=2
	s_waitcnt vmcnt(8)
	;;#ASMSTART
	v_dot2c_f32_f16 v161, v76, v12
	;;#ASMEND
	s_waitcnt vmcnt(7)
	;;#ASMSTART
	v_dot2c_f32_f16 v203, v72, v12
	;;#ASMEND
	;; [unrolled: 4-line block ×9, first 2 shown]
	;;#ASMSTART
	v_dot2c_f32_f16 v161, v77, v13
	;;#ASMEND
	;;#ASMSTART
	v_dot2c_f32_f16 v203, v73, v13
	;;#ASMEND
	;; [unrolled: 3-line block ×8, first 2 shown]
	s_nop 0
	;;#ASMSTART
	v_dot2c_f32_f16 v171, v157, v13
	;;#ASMEND
	;;#ASMSTART
	v_dot2c_f32_f16 v161, v78, v14
	;;#ASMEND
	;;#ASMSTART
	v_dot2c_f32_f16 v203, v74, v14
	;;#ASMEND
	;;#ASMSTART
	v_dot2c_f32_f16 v202, v110, v14
	;;#ASMEND
	;;#ASMSTART
	v_dot2c_f32_f16 v201, v106, v14
	;;#ASMEND
	;;#ASMSTART
	v_dot2c_f32_f16 v200, v130, v14
	;;#ASMEND
	;;#ASMSTART
	v_dot2c_f32_f16 v199, v126, v14
	;;#ASMEND
	;;#ASMSTART
	v_dot2c_f32_f16 v198, v150, v14
	;;#ASMEND
	;;#ASMSTART
	v_dot2c_f32_f16 v173, v146, v14
	;;#ASMEND
	s_nop 0
	;;#ASMSTART
	v_dot2c_f32_f16 v171, v158, v14
	;;#ASMEND
	v_cmp_gt_u32_e32 vcc, s6, v178
	;;#ASMSTART
	v_dot2c_f32_f16 v161, v79, v15
	;;#ASMEND
	;;#ASMSTART
	v_dot2c_f32_f16 v203, v75, v15
	;;#ASMEND
	;;#ASMSTART
	v_dot2c_f32_f16 v202, v111, v15
	;;#ASMEND
	;;#ASMSTART
	v_dot2c_f32_f16 v201, v107, v15
	;;#ASMEND
	;;#ASMSTART
	v_dot2c_f32_f16 v200, v131, v15
	;;#ASMEND
	;;#ASMSTART
	v_dot2c_f32_f16 v199, v127, v15
	;;#ASMEND
	;;#ASMSTART
	v_dot2c_f32_f16 v198, v151, v15
	;;#ASMEND
	;;#ASMSTART
	v_dot2c_f32_f16 v173, v147, v15
	;;#ASMEND
	;;#ASMSTART
	v_dot2c_f32_f16 v171, v159, v15
	;;#ASMEND
	s_and_saveexec_b64 s[16:17], vcc
	s_cbranch_execz .LBB18_7
; %bb.19:                               ;   in Loop: Header=BB18_9 Depth=2
	;;#ASMSTART
	v_dot2c_f32_f16 v161, v52, v8
	;;#ASMEND
	;;#ASMSTART
	v_dot2c_f32_f16 v203, v48, v8
	;;#ASMEND
	;; [unrolled: 3-line block ×9, first 2 shown]
	s_nop 0
	;;#ASMSTART
	v_dot2c_f32_f16 v161, v53, v9
	;;#ASMEND
	;;#ASMSTART
	v_dot2c_f32_f16 v203, v49, v9
	;;#ASMEND
	;;#ASMSTART
	v_dot2c_f32_f16 v202, v69, v9
	;;#ASMEND
	;;#ASMSTART
	v_dot2c_f32_f16 v201, v65, v9
	;;#ASMEND
	;;#ASMSTART
	v_dot2c_f32_f16 v200, v101, v9
	;;#ASMEND
	;;#ASMSTART
	v_dot2c_f32_f16 v199, v97, v9
	;;#ASMEND
	;;#ASMSTART
	v_dot2c_f32_f16 v198, v121, v9
	;;#ASMEND
	;;#ASMSTART
	v_dot2c_f32_f16 v173, v117, v9
	;;#ASMEND
	;;#ASMSTART
	v_dot2c_f32_f16 v171, v137, v9
	;;#ASMEND
	v_add_u32_e32 v174, 0x400, v176
	;;#ASMSTART
	v_dot2c_f32_f16 v161, v54, v10
	;;#ASMEND
	;;#ASMSTART
	v_dot2c_f32_f16 v203, v50, v10
	;;#ASMEND
	;; [unrolled: 3-line block ×9, first 2 shown]
	v_cmp_gt_u32_e32 vcc, s6, v174
	;;#ASMSTART
	v_dot2c_f32_f16 v161, v55, v11
	;;#ASMEND
	;;#ASMSTART
	v_dot2c_f32_f16 v203, v51, v11
	;;#ASMEND
	;; [unrolled: 3-line block ×9, first 2 shown]
	s_and_saveexec_b64 s[18:19], vcc
	s_cbranch_execz .LBB18_6
; %bb.20:                               ;   in Loop: Header=BB18_9 Depth=2
	;;#ASMSTART
	v_dot2c_f32_f16 v161, v28, v4
	;;#ASMEND
	;;#ASMSTART
	v_dot2c_f32_f16 v203, v24, v4
	;;#ASMEND
	;; [unrolled: 3-line block ×9, first 2 shown]
	s_nop 0
	;;#ASMSTART
	v_dot2c_f32_f16 v161, v29, v5
	;;#ASMEND
	;;#ASMSTART
	v_dot2c_f32_f16 v203, v25, v5
	;;#ASMEND
	;; [unrolled: 3-line block ×9, first 2 shown]
	v_add_u32_e32 v174, 0x600, v176
	;;#ASMSTART
	v_dot2c_f32_f16 v161, v30, v6
	;;#ASMEND
	;;#ASMSTART
	v_dot2c_f32_f16 v203, v26, v6
	;;#ASMEND
	;; [unrolled: 3-line block ×9, first 2 shown]
	v_cmp_gt_u32_e32 vcc, s6, v174
	;;#ASMSTART
	v_dot2c_f32_f16 v161, v31, v7
	;;#ASMEND
	;;#ASMSTART
	v_dot2c_f32_f16 v203, v27, v7
	;;#ASMEND
	;; [unrolled: 3-line block ×9, first 2 shown]
	s_and_saveexec_b64 s[20:21], vcc
	s_cbranch_execz .LBB18_5
; %bb.21:                               ;   in Loop: Header=BB18_9 Depth=2
	;;#ASMSTART
	v_dot2c_f32_f16 v161, v20, v0
	;;#ASMEND
	;;#ASMSTART
	v_dot2c_f32_f16 v203, v16, v0
	;;#ASMEND
	;;#ASMSTART
	v_dot2c_f32_f16 v202, v44, v0
	;;#ASMEND
	;;#ASMSTART
	v_dot2c_f32_f16 v201, v36, v0
	;;#ASMEND
	;;#ASMSTART
	v_dot2c_f32_f16 v200, v84, v0
	;;#ASMEND
	;;#ASMSTART
	v_dot2c_f32_f16 v199, v80, v0
	;;#ASMEND
	;;#ASMSTART
	v_dot2c_f32_f16 v198, v140, v0
	;;#ASMEND
	;;#ASMSTART
	v_dot2c_f32_f16 v173, v132, v0
	;;#ASMEND
	;;#ASMSTART
	v_dot2c_f32_f16 v171, v152, v0
	;;#ASMEND
	s_nop 0
	;;#ASMSTART
	v_dot2c_f32_f16 v161, v21, v1
	;;#ASMEND
	;;#ASMSTART
	v_dot2c_f32_f16 v203, v17, v1
	;;#ASMEND
	;;#ASMSTART
	v_dot2c_f32_f16 v202, v45, v1
	;;#ASMEND
	;;#ASMSTART
	v_dot2c_f32_f16 v201, v37, v1
	;;#ASMEND
	;;#ASMSTART
	v_dot2c_f32_f16 v200, v85, v1
	;;#ASMEND
	;;#ASMSTART
	v_dot2c_f32_f16 v199, v81, v1
	;;#ASMEND
	;;#ASMSTART
	v_dot2c_f32_f16 v198, v141, v1
	;;#ASMEND
	;;#ASMSTART
	v_dot2c_f32_f16 v173, v133, v1
	;;#ASMEND
	;;#ASMSTART
	v_dot2c_f32_f16 v171, v153, v1
	;;#ASMEND
	s_nop 0
	;; [unrolled: 28-line block ×3, first 2 shown]
	;;#ASMSTART
	v_dot2c_f32_f16 v161, v23, v3
	;;#ASMEND
	;;#ASMSTART
	v_dot2c_f32_f16 v203, v19, v3
	;;#ASMEND
	;; [unrolled: 3-line block ×9, first 2 shown]
	s_branch .LBB18_5
.LBB18_22:                              ;   in Loop: Header=BB18_3 Depth=1
	v_mov_b32_e32 v161, v175
	v_mov_b32_e32 v203, v175
	;; [unrolled: 1-line block ×9, first 2 shown]
.LBB18_23:                              ;   in Loop: Header=BB18_3 Depth=1
	;;#ASMSTART
	s_nop 0
	v_add_f32 v161, v161, v161 row_shr:8 bound_ctrl:0 
	;;#ASMEND
	;;#ASMSTART
	s_nop 0
	v_add_f32 v203, v203, v203 row_shr:8 bound_ctrl:0 
	;;#ASMEND
	;;#ASMSTART
	s_nop 0
	v_add_f32 v202, v202, v202 row_shr:8 bound_ctrl:0 
	;;#ASMEND
	;;#ASMSTART
	s_nop 0
	v_add_f32 v201, v201, v201 row_shr:8 bound_ctrl:0 
	;;#ASMEND
	;;#ASMSTART
	s_nop 0
	v_add_f32 v200, v200, v200 row_shr:8 bound_ctrl:0 
	;;#ASMEND
	;;#ASMSTART
	s_nop 0
	v_add_f32 v199, v199, v199 row_shr:8 bound_ctrl:0 
	;;#ASMEND
	;;#ASMSTART
	s_nop 0
	v_add_f32 v198, v198, v198 row_shr:8 bound_ctrl:0 
	;;#ASMEND
	;;#ASMSTART
	s_nop 0
	v_add_f32 v173, v173, v173 row_shr:8 bound_ctrl:0 
	;;#ASMEND
	;;#ASMSTART
	s_nop 0
	v_add_f32 v171, v171, v171 row_shr:8 bound_ctrl:0 
	;;#ASMEND
	s_nop 0
	;;#ASMSTART
	s_nop 0
	v_add_f32 v161, v161, v161 row_shr:4 bound_ctrl:0 
	;;#ASMEND
	;;#ASMSTART
	s_nop 0
	v_add_f32 v203, v203, v203 row_shr:4 bound_ctrl:0 
	;;#ASMEND
	;;#ASMSTART
	s_nop 0
	v_add_f32 v202, v202, v202 row_shr:4 bound_ctrl:0 
	;;#ASMEND
	;;#ASMSTART
	s_nop 0
	v_add_f32 v201, v201, v201 row_shr:4 bound_ctrl:0 
	;;#ASMEND
	;;#ASMSTART
	s_nop 0
	v_add_f32 v200, v200, v200 row_shr:4 bound_ctrl:0 
	;;#ASMEND
	;;#ASMSTART
	s_nop 0
	v_add_f32 v199, v199, v199 row_shr:4 bound_ctrl:0 
	;;#ASMEND
	;;#ASMSTART
	s_nop 0
	v_add_f32 v198, v198, v198 row_shr:4 bound_ctrl:0 
	;;#ASMEND
	;;#ASMSTART
	s_nop 0
	v_add_f32 v173, v173, v173 row_shr:4 bound_ctrl:0 
	;;#ASMEND
	;;#ASMSTART
	s_nop 0
	v_add_f32 v171, v171, v171 row_shr:4 bound_ctrl:0 
	;;#ASMEND
	s_nop 0
	;; [unrolled: 37-line block ×3, first 2 shown]
	;;#ASMSTART
	s_nop 0
	v_add_f32 v161, v161, v161 wave_shr:1 bound_ctrl:0
	;;#ASMEND
	;;#ASMSTART
	s_nop 0
	v_add_f32 v203, v203, v203 wave_shr:1 bound_ctrl:0
	;;#ASMEND
	;; [unrolled: 4-line block ×9, first 2 shown]
	s_nop 0
	;;#ASMSTART
	s_nop 0
	v_add_f32 v161, v161, v161 row_bcast:15 bound_ctrl:0
	;;#ASMEND
	;;#ASMSTART
	s_nop 0
	v_add_f32 v203, v203, v203 row_bcast:15 bound_ctrl:0
	;;#ASMEND
	;; [unrolled: 4-line block ×9, first 2 shown]
	s_nop 0
	;;#ASMSTART
	s_nop 0
	v_add_f32 v161, v161, v161 row_bcast:31 bound_ctrl:0
	;;#ASMEND
	;;#ASMSTART
	s_nop 0
	v_add_f32 v203, v203, v203 row_bcast:31 bound_ctrl:0
	;;#ASMEND
	;; [unrolled: 4-line block ×9, first 2 shown]
	s_and_saveexec_b64 s[4:5], s[0:1]
	s_cbranch_execz .LBB18_2
; %bb.24:                               ;   in Loop: Header=BB18_3 Depth=1
	v_cvt_f16_f32_e32 v174, v161
	v_mov_b32_e32 v161, v175
	v_cvt_f16_f32_e32 v178, v203
	s_waitcnt lgkmcnt(0)
	v_lshl_add_u64 v[176:177], v[160:161], 1, s[12:13]
	v_cvt_f16_f32_e32 v161, v202
	global_store_short v[176:177], v174, off
	v_add_u32_e32 v174, s7, v160
	v_lshl_add_u64 v[176:177], v[174:175], 1, s[12:13]
	v_add_u32_e32 v174, s7, v174
	global_store_short v[176:177], v178, off
	v_lshl_add_u64 v[176:177], v[174:175], 1, s[12:13]
	global_store_short v[176:177], v161, off
	v_cvt_f16_f32_e32 v161, v201
	v_add_u32_e32 v174, s7, v174
	v_lshl_add_u64 v[176:177], v[174:175], 1, s[12:13]
	v_cvt_f16_f32_e32 v178, v200
	global_store_short v[176:177], v161, off
	v_cvt_f16_f32_e32 v161, v199
	v_add_u32_e32 v174, s7, v174
	v_lshl_add_u64 v[176:177], v[174:175], 1, s[12:13]
	v_add_u32_e32 v174, s7, v174
	global_store_short v[176:177], v178, off
	v_lshl_add_u64 v[176:177], v[174:175], 1, s[12:13]
	v_cvt_f16_f32_e32 v178, v198
	global_store_short v[176:177], v161, off
	v_cvt_f16_f32_e32 v161, v173
	v_add_u32_e32 v174, s7, v174
	v_cvt_f16_f32_e32 v171, v171
	v_lshl_add_u64 v[176:177], v[174:175], 1, s[12:13]
	v_add_u32_e32 v174, s7, v174
	global_store_short v[176:177], v178, off
	v_lshl_add_u64 v[176:177], v[174:175], 1, s[12:13]
	v_add_u32_e32 v174, s7, v174
	global_store_short v[176:177], v161, off
	v_lshl_add_u64 v[176:177], v[174:175], 1, s[12:13]
	global_store_short v[176:177], v171, off
	s_branch .LBB18_2
.LBB18_25:
	s_endpgm
	.section	.rodata,"a",@progbits
	.p2align	6, 0x0
	.amdhsa_kernel _ZN5aiter32wv_splitk_small_fp16_bf16_kernelI6__halfLi64ELi1ELi1ELi8ELi4ELi9EEEviiPKT_S4_PS2_ii
		.amdhsa_group_segment_fixed_size 0
		.amdhsa_private_segment_fixed_size 0
		.amdhsa_kernarg_size 40
		.amdhsa_user_sgpr_count 2
		.amdhsa_user_sgpr_dispatch_ptr 0
		.amdhsa_user_sgpr_queue_ptr 0
		.amdhsa_user_sgpr_kernarg_segment_ptr 1
		.amdhsa_user_sgpr_dispatch_id 0
		.amdhsa_user_sgpr_kernarg_preload_length 0
		.amdhsa_user_sgpr_kernarg_preload_offset 0
		.amdhsa_user_sgpr_private_segment_size 0
		.amdhsa_uses_dynamic_stack 0
		.amdhsa_enable_private_segment 0
		.amdhsa_system_sgpr_workgroup_id_x 1
		.amdhsa_system_sgpr_workgroup_id_y 0
		.amdhsa_system_sgpr_workgroup_id_z 0
		.amdhsa_system_sgpr_workgroup_info 0
		.amdhsa_system_vgpr_workitem_id 1
		.amdhsa_next_free_vgpr 204
		.amdhsa_next_free_sgpr 27
		.amdhsa_accum_offset 204
		.amdhsa_reserve_vcc 1
		.amdhsa_float_round_mode_32 0
		.amdhsa_float_round_mode_16_64 0
		.amdhsa_float_denorm_mode_32 3
		.amdhsa_float_denorm_mode_16_64 3
		.amdhsa_dx10_clamp 1
		.amdhsa_ieee_mode 1
		.amdhsa_fp16_overflow 0
		.amdhsa_tg_split 0
		.amdhsa_exception_fp_ieee_invalid_op 0
		.amdhsa_exception_fp_denorm_src 0
		.amdhsa_exception_fp_ieee_div_zero 0
		.amdhsa_exception_fp_ieee_overflow 0
		.amdhsa_exception_fp_ieee_underflow 0
		.amdhsa_exception_fp_ieee_inexact 0
		.amdhsa_exception_int_div_zero 0
	.end_amdhsa_kernel
	.section	.text._ZN5aiter32wv_splitk_small_fp16_bf16_kernelI6__halfLi64ELi1ELi1ELi8ELi4ELi9EEEviiPKT_S4_PS2_ii,"axG",@progbits,_ZN5aiter32wv_splitk_small_fp16_bf16_kernelI6__halfLi64ELi1ELi1ELi8ELi4ELi9EEEviiPKT_S4_PS2_ii,comdat
.Lfunc_end18:
	.size	_ZN5aiter32wv_splitk_small_fp16_bf16_kernelI6__halfLi64ELi1ELi1ELi8ELi4ELi9EEEviiPKT_S4_PS2_ii, .Lfunc_end18-_ZN5aiter32wv_splitk_small_fp16_bf16_kernelI6__halfLi64ELi1ELi1ELi8ELi4ELi9EEEviiPKT_S4_PS2_ii
                                        ; -- End function
	.section	.AMDGPU.csdata,"",@progbits
; Kernel info:
; codeLenInByte = 4012
; NumSgprs: 33
; NumVgprs: 204
; NumAgprs: 0
; TotalNumVgprs: 204
; ScratchSize: 0
; MemoryBound: 1
; FloatMode: 240
; IeeeMode: 1
; LDSByteSize: 0 bytes/workgroup (compile time only)
; SGPRBlocks: 4
; VGPRBlocks: 25
; NumSGPRsForWavesPerEU: 33
; NumVGPRsForWavesPerEU: 204
; AccumOffset: 204
; Occupancy: 2
; WaveLimiterHint : 0
; COMPUTE_PGM_RSRC2:SCRATCH_EN: 0
; COMPUTE_PGM_RSRC2:USER_SGPR: 2
; COMPUTE_PGM_RSRC2:TRAP_HANDLER: 0
; COMPUTE_PGM_RSRC2:TGID_X_EN: 1
; COMPUTE_PGM_RSRC2:TGID_Y_EN: 0
; COMPUTE_PGM_RSRC2:TGID_Z_EN: 0
; COMPUTE_PGM_RSRC2:TIDIG_COMP_CNT: 1
; COMPUTE_PGM_RSRC3_GFX90A:ACCUM_OFFSET: 50
; COMPUTE_PGM_RSRC3_GFX90A:TG_SPLIT: 0
	.section	.text._ZN5aiter32wv_splitk_small_fp16_bf16_kernelI6__halfLi64ELi1ELi1ELi8ELi4ELi10EEEviiPKT_S4_PS2_ii,"axG",@progbits,_ZN5aiter32wv_splitk_small_fp16_bf16_kernelI6__halfLi64ELi1ELi1ELi8ELi4ELi10EEEviiPKT_S4_PS2_ii,comdat
	.protected	_ZN5aiter32wv_splitk_small_fp16_bf16_kernelI6__halfLi64ELi1ELi1ELi8ELi4ELi10EEEviiPKT_S4_PS2_ii ; -- Begin function _ZN5aiter32wv_splitk_small_fp16_bf16_kernelI6__halfLi64ELi1ELi1ELi8ELi4ELi10EEEviiPKT_S4_PS2_ii
	.globl	_ZN5aiter32wv_splitk_small_fp16_bf16_kernelI6__halfLi64ELi1ELi1ELi8ELi4ELi10EEEviiPKT_S4_PS2_ii
	.p2align	8
	.type	_ZN5aiter32wv_splitk_small_fp16_bf16_kernelI6__halfLi64ELi1ELi1ELi8ELi4ELi10EEEviiPKT_S4_PS2_ii,@function
_ZN5aiter32wv_splitk_small_fp16_bf16_kernelI6__halfLi64ELi1ELi1ELi8ELi4ELi10EEEviiPKT_S4_PS2_ii: ; @_ZN5aiter32wv_splitk_small_fp16_bf16_kernelI6__halfLi64ELi1ELi1ELi8ELi4ELi10EEEviiPKT_S4_PS2_ii
; %bb.0:
	s_load_dwordx2 s[4:5], s[0:1], 0x20
	s_load_dwordx2 s[6:7], s[0:1], 0x0
	v_bfe_u32 v1, v0, 10, 10
	s_waitcnt lgkmcnt(0)
	s_mul_i32 s2, s2, s4
	v_add_u32_e32 v176, s2, v1
	v_cmp_gt_u32_e32 vcc, s7, v176
	s_and_saveexec_b64 s[2:3], vcc
	s_cbranch_execz .LBB19_25
; %bb.1:
	v_and_b32_e32 v0, 0x3ff, v0
	v_lshlrev_b32_e32 v178, 3, v0
	s_load_dwordx4 s[8:11], s[0:1], 0x8
	s_load_dwordx2 s[12:13], s[0:1], 0x18
	v_mad_u64_u32 v[180:181], s[2:3], s6, v176, v[178:179]
	v_lshl_add_u32 v179, s6, 1, v178
	s_cmp_lg_u32 s6, 0
	v_mad_u64_u32 v[182:183], s[2:3], s6, 3, v[178:179]
	v_mad_u64_u32 v[184:185], s[2:3], s6, 5, v[178:179]
	;; [unrolled: 1-line block ×5, first 2 shown]
	s_cselect_b64 s[2:3], -1, 0
	v_cmp_eq_u32_e64 s[0:1], 63, v0
	s_mul_i32 s24, s5, s4
	v_cndmask_b32_e64 v0, 0, 1, s[2:3]
	s_mul_i32 s25, s24, s6
	v_lshl_add_u32 v181, s6, 2, v178
	v_lshl_add_u32 v183, s6, 3, v178
	v_add_u32_e32 v185, s6, v178
	s_mov_b64 s[14:15], 0
	v_cmp_ne_u32_e64 s[2:3], 1, v0
	v_mov_b32_e32 v193, 0
                                        ; implicit-def: $vgpr0_vgpr1_vgpr2_vgpr3
                                        ; implicit-def: $vgpr4_vgpr5_vgpr6_vgpr7
                                        ; implicit-def: $vgpr8_vgpr9_vgpr10_vgpr11
                                        ; implicit-def: $vgpr12_vgpr13_vgpr14_vgpr15
                                        ; implicit-def: $vgpr162_vgpr163
                                        ; implicit-def: $vgpr166_vgpr167
                                        ; implicit-def: $vgpr130_vgpr131
                                        ; implicit-def: $vgpr134_vgpr135
                                        ; implicit-def: $vgpr78_vgpr79
                                        ; implicit-def: $vgpr86_vgpr87
                                        ; implicit-def: $vgpr34_vgpr35
                                        ; implicit-def: $vgpr38_vgpr39
                                        ; implicit-def: $vgpr18_vgpr19
                                        ; implicit-def: $vgpr22_vgpr23
                                        ; implicit-def: $vgpr114_vgpr115
                                        ; implicit-def: $vgpr118_vgpr119
                                        ; implicit-def: $vgpr90_vgpr91
                                        ; implicit-def: $vgpr94_vgpr95
                                        ; implicit-def: $vgpr58_vgpr59
                                        ; implicit-def: $vgpr62_vgpr63
                                        ; implicit-def: $vgpr42_vgpr43
                                        ; implicit-def: $vgpr46_vgpr47
                                        ; implicit-def: $vgpr26_vgpr27
                                        ; implicit-def: $vgpr30_vgpr31
                                        ; implicit-def: $vgpr146_vgpr147
                                        ; implicit-def: $vgpr150_vgpr151
                                        ; implicit-def: $vgpr122_vgpr123
                                        ; implicit-def: $vgpr126_vgpr127
                                        ; implicit-def: $vgpr98_vgpr99
                                        ; implicit-def: $vgpr102_vgpr103
                                        ; implicit-def: $vgpr66_vgpr67
                                        ; implicit-def: $vgpr70_vgpr71
                                        ; implicit-def: $vgpr50_vgpr51
                                        ; implicit-def: $vgpr54_vgpr55
                                        ; implicit-def: $vgpr170_vgpr171
                                        ; implicit-def: $vgpr174_vgpr175
                                        ; implicit-def: $vgpr154_vgpr155
                                        ; implicit-def: $vgpr158_vgpr159
                                        ; implicit-def: $vgpr138_vgpr139
                                        ; implicit-def: $vgpr142_vgpr143
                                        ; implicit-def: $vgpr106_vgpr107
                                        ; implicit-def: $vgpr110_vgpr111
                                        ; implicit-def: $vgpr74_vgpr75
                                        ; implicit-def: $vgpr82_vgpr83
	s_branch .LBB19_3
.LBB19_2:                               ;   in Loop: Header=BB19_3 Depth=1
	s_or_b64 exec, exec, s[4:5]
	v_add_u32_e32 v176, s24, v176
	v_cmp_le_u32_e32 vcc, s7, v176
	s_or_b64 s[14:15], vcc, s[14:15]
	v_add_u32_e32 v180, s25, v180
	s_andn2_b64 exec, exec, s[14:15]
	s_cbranch_execz .LBB19_25
.LBB19_3:                               ; =>This Loop Header: Depth=1
                                        ;     Child Loop BB19_9 Depth 2
	s_and_b64 vcc, exec, s[2:3]
	s_mov_b32 s26, 0
	s_cbranch_vccnz .LBB19_22
; %bb.4:                                ;   in Loop: Header=BB19_3 Depth=1
	v_mov_b32_e32 v187, 0
	v_mov_b32_e32 v189, 0
	;; [unrolled: 1-line block ×10, first 2 shown]
	s_branch .LBB19_9
.LBB19_5:                               ;   in Loop: Header=BB19_9 Depth=2
	s_or_b64 exec, exec, s[20:21]
.LBB19_6:                               ;   in Loop: Header=BB19_9 Depth=2
	s_or_b64 exec, exec, s[18:19]
.LBB19_7:                               ;   in Loop: Header=BB19_9 Depth=2
	s_or_b64 exec, exec, s[16:17]
.LBB19_8:                               ;   in Loop: Header=BB19_9 Depth=2
	s_or_b64 exec, exec, s[4:5]
	s_addk_i32 s26, 0x800
	s_cmp_ge_u32 s26, s6
	s_cbranch_scc1 .LBB19_23
.LBB19_9:                               ;   Parent Loop BB19_3 Depth=1
                                        ; =>  This Inner Loop Header: Depth=2
	v_add_u32_e32 v194, s26, v178
	v_cmp_gt_u32_e32 vcc, s6, v194
	v_add_u32_e32 v196, 0x200, v194
	s_and_saveexec_b64 s[16:17], vcc
	s_cbranch_execz .LBB19_17
; %bb.10:                               ;   in Loop: Header=BB19_9 Depth=2
	v_add_u32_e32 v192, s26, v180
	v_mov_b32_e32 v195, v193
	v_add_u32_e32 v214, s26, v185
	v_mov_b32_e32 v215, v193
	;; [unrolled: 2-line block ×10, first 2 shown]
	s_waitcnt vmcnt(10) lgkmcnt(0)
	v_lshl_add_u64 v[12:13], v[192:193], 1, s[8:9]
	s_waitcnt vmcnt(8)
	v_lshl_add_u64 v[72:73], v[194:195], 1, s[10:11]
	v_lshl_add_u64 v[74:75], v[214:215], 1, s[10:11]
	s_waitcnt vmcnt(6)
	v_lshl_add_u64 v[104:105], v[212:213], 1, s[10:11]
	;; [unrolled: 3-line block ×5, first 2 shown]
	v_lshl_add_u64 v[170:171], v[198:199], 1, s[10:11]
	global_load_dwordx4 v[12:15], v[12:13], off nt
	s_nop 0
	global_load_dwordx4 v[80:83], v[72:73], off
	s_nop 0
	global_load_dwordx4 v[72:75], v[74:75], off
	;; [unrolled: 2-line block ×10, first 2 shown]
	v_cmp_gt_u32_e64 s[4:5], s6, v196
	s_and_saveexec_b64 s[18:19], s[4:5]
	s_cbranch_execz .LBB19_16
; %bb.11:                               ;   in Loop: Header=BB19_9 Depth=2
	v_add_u32_e32 v8, 0x200, v192
	v_mov_b32_e32 v9, v193
	v_mov_b32_e32 v197, v193
	v_add_u32_e32 v50, 0x200, v214
	v_mov_b32_e32 v51, v193
	v_add_u32_e32 v64, 0x200, v212
	;; [unrolled: 2-line block ×9, first 2 shown]
	v_mov_b32_e32 v147, v193
	v_lshl_add_u64 v[8:9], v[8:9], 1, s[8:9]
	v_lshl_add_u64 v[48:49], v[196:197], 1, s[10:11]
	;; [unrolled: 1-line block ×11, first 2 shown]
	global_load_dwordx4 v[8:11], v[8:9], off nt
	s_nop 0
	global_load_dwordx4 v[52:55], v[48:49], off
	s_nop 0
	global_load_dwordx4 v[48:51], v[50:51], off
	;; [unrolled: 2-line block ×10, first 2 shown]
	v_add_u32_e32 v216, 0x400, v194
	v_cmp_gt_u32_e64 s[4:5], s6, v216
	s_and_saveexec_b64 s[20:21], s[4:5]
	s_cbranch_execz .LBB19_15
; %bb.12:                               ;   in Loop: Header=BB19_9 Depth=2
	v_add_u32_e32 v4, 0x400, v192
	v_mov_b32_e32 v5, v193
	v_mov_b32_e32 v217, v193
	v_add_u32_e32 v26, 0x400, v214
	v_mov_b32_e32 v27, v193
	v_add_u32_e32 v40, 0x400, v212
	;; [unrolled: 2-line block ×9, first 2 shown]
	v_mov_b32_e32 v115, v193
	v_lshl_add_u64 v[4:5], v[4:5], 1, s[8:9]
	v_lshl_add_u64 v[24:25], v[216:217], 1, s[10:11]
	;; [unrolled: 1-line block ×11, first 2 shown]
	global_load_dwordx4 v[4:7], v[4:5], off nt
	s_nop 0
	global_load_dwordx4 v[28:31], v[24:25], off
	s_nop 0
	global_load_dwordx4 v[24:27], v[26:27], off
	;; [unrolled: 2-line block ×10, first 2 shown]
	v_add_u32_e32 v216, 0x600, v194
	v_cmp_gt_u32_e64 s[4:5], s6, v216
	s_and_saveexec_b64 s[22:23], s[4:5]
	s_cbranch_execz .LBB19_14
; %bb.13:                               ;   in Loop: Header=BB19_9 Depth=2
	v_add_u32_e32 v192, 0x600, v192
	v_lshl_add_u64 v[0:1], v[192:193], 1, s[8:9]
	v_add_u32_e32 v192, 0x600, v214
	v_lshl_add_u64 v[18:19], v[192:193], 1, s[10:11]
	;; [unrolled: 2-line block ×8, first 2 shown]
	v_add_u32_e32 v192, 0x600, v200
	v_mov_b32_e32 v217, v193
	v_lshl_add_u64 v[160:161], v[192:193], 1, s[10:11]
	v_add_u32_e32 v192, 0x600, v198
	v_lshl_add_u64 v[16:17], v[216:217], 1, s[10:11]
	v_lshl_add_u64 v[162:163], v[192:193], 1, s[10:11]
	global_load_dwordx4 v[0:3], v[0:1], off nt
	s_nop 0
	global_load_dwordx4 v[20:23], v[16:17], off
	s_nop 0
	global_load_dwordx4 v[16:19], v[18:19], off
	;; [unrolled: 2-line block ×10, first 2 shown]
.LBB19_14:                              ;   in Loop: Header=BB19_9 Depth=2
	s_or_b64 exec, exec, s[22:23]
.LBB19_15:                              ;   in Loop: Header=BB19_9 Depth=2
	s_or_b64 exec, exec, s[20:21]
.LBB19_16:                              ;   in Loop: Header=BB19_9 Depth=2
	s_or_b64 exec, exec, s[18:19]
.LBB19_17:                              ;   in Loop: Header=BB19_9 Depth=2
	s_or_b64 exec, exec, s[16:17]
	s_and_saveexec_b64 s[4:5], vcc
	s_cbranch_execz .LBB19_8
; %bb.18:                               ;   in Loop: Header=BB19_9 Depth=2
	s_waitcnt vmcnt(9)
	;;#ASMSTART
	v_dot2c_f32_f16 v177, v80, v12
	;;#ASMEND
	s_waitcnt vmcnt(8)
	;;#ASMSTART
	v_dot2c_f32_f16 v223, v72, v12
	;;#ASMEND
	;; [unrolled: 4-line block ×10, first 2 shown]
	;;#ASMSTART
	v_dot2c_f32_f16 v177, v81, v13
	;;#ASMEND
	;;#ASMSTART
	v_dot2c_f32_f16 v223, v73, v13
	;;#ASMEND
	;; [unrolled: 3-line block ×9, first 2 shown]
	s_nop 0
	;;#ASMSTART
	v_dot2c_f32_f16 v187, v169, v13
	;;#ASMEND
	;;#ASMSTART
	v_dot2c_f32_f16 v177, v82, v14
	;;#ASMEND
	;; [unrolled: 3-line block ×10, first 2 shown]
	s_nop 0
	;;#ASMSTART
	v_dot2c_f32_f16 v187, v170, v14
	;;#ASMEND
	v_cmp_gt_u32_e32 vcc, s6, v196
	;;#ASMSTART
	v_dot2c_f32_f16 v177, v83, v15
	;;#ASMEND
	;;#ASMSTART
	v_dot2c_f32_f16 v223, v75, v15
	;;#ASMEND
	;; [unrolled: 3-line block ×10, first 2 shown]
	s_and_saveexec_b64 s[16:17], vcc
	s_cbranch_execz .LBB19_7
; %bb.19:                               ;   in Loop: Header=BB19_9 Depth=2
	;;#ASMSTART
	v_dot2c_f32_f16 v177, v52, v8
	;;#ASMEND
	;;#ASMSTART
	v_dot2c_f32_f16 v223, v48, v8
	;;#ASMEND
	;; [unrolled: 3-line block ×10, first 2 shown]
	s_nop 0
	;;#ASMSTART
	v_dot2c_f32_f16 v177, v53, v9
	;;#ASMEND
	;;#ASMSTART
	v_dot2c_f32_f16 v223, v49, v9
	;;#ASMEND
	;; [unrolled: 3-line block ×10, first 2 shown]
	v_add_u32_e32 v192, 0x400, v194
	;;#ASMSTART
	v_dot2c_f32_f16 v177, v54, v10
	;;#ASMEND
	;;#ASMSTART
	v_dot2c_f32_f16 v223, v50, v10
	;;#ASMEND
	;; [unrolled: 3-line block ×10, first 2 shown]
	v_cmp_gt_u32_e32 vcc, s6, v192
	;;#ASMSTART
	v_dot2c_f32_f16 v177, v55, v11
	;;#ASMEND
	;;#ASMSTART
	v_dot2c_f32_f16 v223, v51, v11
	;;#ASMEND
	;; [unrolled: 3-line block ×10, first 2 shown]
	s_and_saveexec_b64 s[18:19], vcc
	s_cbranch_execz .LBB19_6
; %bb.20:                               ;   in Loop: Header=BB19_9 Depth=2
	;;#ASMSTART
	v_dot2c_f32_f16 v177, v28, v4
	;;#ASMEND
	;;#ASMSTART
	v_dot2c_f32_f16 v223, v24, v4
	;;#ASMEND
	;; [unrolled: 3-line block ×10, first 2 shown]
	s_nop 0
	;;#ASMSTART
	v_dot2c_f32_f16 v177, v29, v5
	;;#ASMEND
	;;#ASMSTART
	v_dot2c_f32_f16 v223, v25, v5
	;;#ASMEND
	;; [unrolled: 3-line block ×10, first 2 shown]
	v_add_u32_e32 v192, 0x600, v194
	;;#ASMSTART
	v_dot2c_f32_f16 v177, v30, v6
	;;#ASMEND
	;;#ASMSTART
	v_dot2c_f32_f16 v223, v26, v6
	;;#ASMEND
	;; [unrolled: 3-line block ×10, first 2 shown]
	v_cmp_gt_u32_e32 vcc, s6, v192
	;;#ASMSTART
	v_dot2c_f32_f16 v177, v31, v7
	;;#ASMEND
	;;#ASMSTART
	v_dot2c_f32_f16 v223, v27, v7
	;;#ASMEND
	;;#ASMSTART
	v_dot2c_f32_f16 v222, v47, v7
	;;#ASMEND
	;;#ASMSTART
	v_dot2c_f32_f16 v221, v43, v7
	;;#ASMEND
	;;#ASMSTART
	v_dot2c_f32_f16 v220, v63, v7
	;;#ASMEND
	;;#ASMSTART
	v_dot2c_f32_f16 v219, v59, v7
	;;#ASMEND
	;;#ASMSTART
	v_dot2c_f32_f16 v218, v95, v7
	;;#ASMEND
	;;#ASMSTART
	v_dot2c_f32_f16 v191, v91, v7
	;;#ASMEND
	;;#ASMSTART
	v_dot2c_f32_f16 v189, v119, v7
	;;#ASMEND
	;;#ASMSTART
	v_dot2c_f32_f16 v187, v115, v7
	;;#ASMEND
	s_and_saveexec_b64 s[20:21], vcc
	s_cbranch_execz .LBB19_5
; %bb.21:                               ;   in Loop: Header=BB19_9 Depth=2
	;;#ASMSTART
	v_dot2c_f32_f16 v177, v20, v0
	;;#ASMEND
	;;#ASMSTART
	v_dot2c_f32_f16 v223, v16, v0
	;;#ASMEND
	;;#ASMSTART
	v_dot2c_f32_f16 v222, v36, v0
	;;#ASMEND
	;;#ASMSTART
	v_dot2c_f32_f16 v221, v32, v0
	;;#ASMEND
	;;#ASMSTART
	v_dot2c_f32_f16 v220, v84, v0
	;;#ASMEND
	;;#ASMSTART
	v_dot2c_f32_f16 v219, v76, v0
	;;#ASMEND
	;;#ASMSTART
	v_dot2c_f32_f16 v218, v132, v0
	;;#ASMEND
	;;#ASMSTART
	v_dot2c_f32_f16 v191, v128, v0
	;;#ASMEND
	;;#ASMSTART
	v_dot2c_f32_f16 v189, v164, v0
	;;#ASMEND
	;;#ASMSTART
	v_dot2c_f32_f16 v187, v160, v0
	;;#ASMEND
	s_nop 0
	;;#ASMSTART
	v_dot2c_f32_f16 v177, v21, v1
	;;#ASMEND
	;;#ASMSTART
	v_dot2c_f32_f16 v223, v17, v1
	;;#ASMEND
	;;#ASMSTART
	v_dot2c_f32_f16 v222, v37, v1
	;;#ASMEND
	;;#ASMSTART
	v_dot2c_f32_f16 v221, v33, v1
	;;#ASMEND
	;;#ASMSTART
	v_dot2c_f32_f16 v220, v85, v1
	;;#ASMEND
	;;#ASMSTART
	v_dot2c_f32_f16 v219, v77, v1
	;;#ASMEND
	;;#ASMSTART
	v_dot2c_f32_f16 v218, v133, v1
	;;#ASMEND
	;;#ASMSTART
	v_dot2c_f32_f16 v191, v129, v1
	;;#ASMEND
	;;#ASMSTART
	v_dot2c_f32_f16 v189, v165, v1
	;;#ASMEND
	;;#ASMSTART
	v_dot2c_f32_f16 v187, v161, v1
	;;#ASMEND
	s_nop 0
	;; [unrolled: 31-line block ×3, first 2 shown]
	;;#ASMSTART
	v_dot2c_f32_f16 v177, v23, v3
	;;#ASMEND
	;;#ASMSTART
	v_dot2c_f32_f16 v223, v19, v3
	;;#ASMEND
	;; [unrolled: 3-line block ×10, first 2 shown]
	s_branch .LBB19_5
.LBB19_22:                              ;   in Loop: Header=BB19_3 Depth=1
	v_mov_b32_e32 v177, v193
	v_mov_b32_e32 v223, v193
	;; [unrolled: 1-line block ×10, first 2 shown]
.LBB19_23:                              ;   in Loop: Header=BB19_3 Depth=1
	;;#ASMSTART
	s_nop 0
	v_add_f32 v177, v177, v177 row_shr:8 bound_ctrl:0 
	;;#ASMEND
	;;#ASMSTART
	s_nop 0
	v_add_f32 v223, v223, v223 row_shr:8 bound_ctrl:0 
	;;#ASMEND
	;;#ASMSTART
	s_nop 0
	v_add_f32 v222, v222, v222 row_shr:8 bound_ctrl:0 
	;;#ASMEND
	;;#ASMSTART
	s_nop 0
	v_add_f32 v221, v221, v221 row_shr:8 bound_ctrl:0 
	;;#ASMEND
	;;#ASMSTART
	s_nop 0
	v_add_f32 v220, v220, v220 row_shr:8 bound_ctrl:0 
	;;#ASMEND
	;;#ASMSTART
	s_nop 0
	v_add_f32 v219, v219, v219 row_shr:8 bound_ctrl:0 
	;;#ASMEND
	;;#ASMSTART
	s_nop 0
	v_add_f32 v218, v218, v218 row_shr:8 bound_ctrl:0 
	;;#ASMEND
	;;#ASMSTART
	s_nop 0
	v_add_f32 v191, v191, v191 row_shr:8 bound_ctrl:0 
	;;#ASMEND
	;;#ASMSTART
	s_nop 0
	v_add_f32 v189, v189, v189 row_shr:8 bound_ctrl:0 
	;;#ASMEND
	;;#ASMSTART
	s_nop 0
	v_add_f32 v187, v187, v187 row_shr:8 bound_ctrl:0 
	;;#ASMEND
	s_nop 0
	;;#ASMSTART
	s_nop 0
	v_add_f32 v177, v177, v177 row_shr:4 bound_ctrl:0 
	;;#ASMEND
	;;#ASMSTART
	s_nop 0
	v_add_f32 v223, v223, v223 row_shr:4 bound_ctrl:0 
	;;#ASMEND
	;;#ASMSTART
	s_nop 0
	v_add_f32 v222, v222, v222 row_shr:4 bound_ctrl:0 
	;;#ASMEND
	;;#ASMSTART
	s_nop 0
	v_add_f32 v221, v221, v221 row_shr:4 bound_ctrl:0 
	;;#ASMEND
	;;#ASMSTART
	s_nop 0
	v_add_f32 v220, v220, v220 row_shr:4 bound_ctrl:0 
	;;#ASMEND
	;;#ASMSTART
	s_nop 0
	v_add_f32 v219, v219, v219 row_shr:4 bound_ctrl:0 
	;;#ASMEND
	;;#ASMSTART
	s_nop 0
	v_add_f32 v218, v218, v218 row_shr:4 bound_ctrl:0 
	;;#ASMEND
	;;#ASMSTART
	s_nop 0
	v_add_f32 v191, v191, v191 row_shr:4 bound_ctrl:0 
	;;#ASMEND
	;;#ASMSTART
	s_nop 0
	v_add_f32 v189, v189, v189 row_shr:4 bound_ctrl:0 
	;;#ASMEND
	;;#ASMSTART
	s_nop 0
	v_add_f32 v187, v187, v187 row_shr:4 bound_ctrl:0 
	;;#ASMEND
	s_nop 0
	;; [unrolled: 41-line block ×3, first 2 shown]
	;;#ASMSTART
	s_nop 0
	v_add_f32 v177, v177, v177 wave_shr:1 bound_ctrl:0
	;;#ASMEND
	;;#ASMSTART
	s_nop 0
	v_add_f32 v223, v223, v223 wave_shr:1 bound_ctrl:0
	;;#ASMEND
	;; [unrolled: 4-line block ×10, first 2 shown]
	s_nop 0
	;;#ASMSTART
	s_nop 0
	v_add_f32 v177, v177, v177 row_bcast:15 bound_ctrl:0
	;;#ASMEND
	;;#ASMSTART
	s_nop 0
	v_add_f32 v223, v223, v223 row_bcast:15 bound_ctrl:0
	;;#ASMEND
	;; [unrolled: 4-line block ×10, first 2 shown]
	s_nop 0
	;;#ASMSTART
	s_nop 0
	v_add_f32 v177, v177, v177 row_bcast:31 bound_ctrl:0
	;;#ASMEND
	;;#ASMSTART
	s_nop 0
	v_add_f32 v223, v223, v223 row_bcast:31 bound_ctrl:0
	;;#ASMEND
	;; [unrolled: 4-line block ×10, first 2 shown]
	s_and_saveexec_b64 s[4:5], s[0:1]
	s_cbranch_execz .LBB19_2
; %bb.24:                               ;   in Loop: Header=BB19_3 Depth=1
	v_cvt_f16_f32_e32 v192, v177
	v_mov_b32_e32 v177, v193
	v_cvt_f16_f32_e32 v196, v223
	s_waitcnt lgkmcnt(0)
	v_lshl_add_u64 v[194:195], v[176:177], 1, s[12:13]
	v_cvt_f16_f32_e32 v177, v222
	global_store_short v[194:195], v192, off
	v_add_u32_e32 v192, s7, v176
	v_lshl_add_u64 v[194:195], v[192:193], 1, s[12:13]
	v_add_u32_e32 v192, s7, v192
	global_store_short v[194:195], v196, off
	v_lshl_add_u64 v[194:195], v[192:193], 1, s[12:13]
	v_cvt_f16_f32_e32 v196, v221
	global_store_short v[194:195], v177, off
	v_cvt_f16_f32_e32 v177, v220
	v_add_u32_e32 v192, s7, v192
	v_lshl_add_u64 v[194:195], v[192:193], 1, s[12:13]
	v_add_u32_e32 v192, s7, v192
	global_store_short v[194:195], v196, off
	v_lshl_add_u64 v[194:195], v[192:193], 1, s[12:13]
	v_cvt_f16_f32_e32 v196, v219
	global_store_short v[194:195], v177, off
	v_cvt_f16_f32_e32 v177, v218
	;; [unrolled: 8-line block ×3, first 2 shown]
	v_add_u32_e32 v192, s7, v192
	v_cvt_f16_f32_e32 v187, v187
	v_lshl_add_u64 v[194:195], v[192:193], 1, s[12:13]
	v_add_u32_e32 v192, s7, v192
	global_store_short v[194:195], v191, off
	v_lshl_add_u64 v[194:195], v[192:193], 1, s[12:13]
	v_add_u32_e32 v192, s7, v192
	global_store_short v[194:195], v177, off
	v_lshl_add_u64 v[194:195], v[192:193], 1, s[12:13]
	global_store_short v[194:195], v187, off
	s_branch .LBB19_2
.LBB19_25:
	s_endpgm
	.section	.rodata,"a",@progbits
	.p2align	6, 0x0
	.amdhsa_kernel _ZN5aiter32wv_splitk_small_fp16_bf16_kernelI6__halfLi64ELi1ELi1ELi8ELi4ELi10EEEviiPKT_S4_PS2_ii
		.amdhsa_group_segment_fixed_size 0
		.amdhsa_private_segment_fixed_size 0
		.amdhsa_kernarg_size 40
		.amdhsa_user_sgpr_count 2
		.amdhsa_user_sgpr_dispatch_ptr 0
		.amdhsa_user_sgpr_queue_ptr 0
		.amdhsa_user_sgpr_kernarg_segment_ptr 1
		.amdhsa_user_sgpr_dispatch_id 0
		.amdhsa_user_sgpr_kernarg_preload_length 0
		.amdhsa_user_sgpr_kernarg_preload_offset 0
		.amdhsa_user_sgpr_private_segment_size 0
		.amdhsa_uses_dynamic_stack 0
		.amdhsa_enable_private_segment 0
		.amdhsa_system_sgpr_workgroup_id_x 1
		.amdhsa_system_sgpr_workgroup_id_y 0
		.amdhsa_system_sgpr_workgroup_id_z 0
		.amdhsa_system_sgpr_workgroup_info 0
		.amdhsa_system_vgpr_workitem_id 1
		.amdhsa_next_free_vgpr 224
		.amdhsa_next_free_sgpr 27
		.amdhsa_accum_offset 224
		.amdhsa_reserve_vcc 1
		.amdhsa_float_round_mode_32 0
		.amdhsa_float_round_mode_16_64 0
		.amdhsa_float_denorm_mode_32 3
		.amdhsa_float_denorm_mode_16_64 3
		.amdhsa_dx10_clamp 1
		.amdhsa_ieee_mode 1
		.amdhsa_fp16_overflow 0
		.amdhsa_tg_split 0
		.amdhsa_exception_fp_ieee_invalid_op 0
		.amdhsa_exception_fp_denorm_src 0
		.amdhsa_exception_fp_ieee_div_zero 0
		.amdhsa_exception_fp_ieee_overflow 0
		.amdhsa_exception_fp_ieee_underflow 0
		.amdhsa_exception_fp_ieee_inexact 0
		.amdhsa_exception_int_div_zero 0
	.end_amdhsa_kernel
	.section	.text._ZN5aiter32wv_splitk_small_fp16_bf16_kernelI6__halfLi64ELi1ELi1ELi8ELi4ELi10EEEviiPKT_S4_PS2_ii,"axG",@progbits,_ZN5aiter32wv_splitk_small_fp16_bf16_kernelI6__halfLi64ELi1ELi1ELi8ELi4ELi10EEEviiPKT_S4_PS2_ii,comdat
.Lfunc_end19:
	.size	_ZN5aiter32wv_splitk_small_fp16_bf16_kernelI6__halfLi64ELi1ELi1ELi8ELi4ELi10EEEviiPKT_S4_PS2_ii, .Lfunc_end19-_ZN5aiter32wv_splitk_small_fp16_bf16_kernelI6__halfLi64ELi1ELi1ELi8ELi4ELi10EEEviiPKT_S4_PS2_ii
                                        ; -- End function
	.section	.AMDGPU.csdata,"",@progbits
; Kernel info:
; codeLenInByte = 4412
; NumSgprs: 33
; NumVgprs: 224
; NumAgprs: 0
; TotalNumVgprs: 224
; ScratchSize: 0
; MemoryBound: 1
; FloatMode: 240
; IeeeMode: 1
; LDSByteSize: 0 bytes/workgroup (compile time only)
; SGPRBlocks: 4
; VGPRBlocks: 27
; NumSGPRsForWavesPerEU: 33
; NumVGPRsForWavesPerEU: 224
; AccumOffset: 224
; Occupancy: 2
; WaveLimiterHint : 0
; COMPUTE_PGM_RSRC2:SCRATCH_EN: 0
; COMPUTE_PGM_RSRC2:USER_SGPR: 2
; COMPUTE_PGM_RSRC2:TRAP_HANDLER: 0
; COMPUTE_PGM_RSRC2:TGID_X_EN: 1
; COMPUTE_PGM_RSRC2:TGID_Y_EN: 0
; COMPUTE_PGM_RSRC2:TGID_Z_EN: 0
; COMPUTE_PGM_RSRC2:TIDIG_COMP_CNT: 1
; COMPUTE_PGM_RSRC3_GFX90A:ACCUM_OFFSET: 55
; COMPUTE_PGM_RSRC3_GFX90A:TG_SPLIT: 0
	.section	.text._ZN5aiter32wv_splitk_small_fp16_bf16_kernelI6__halfLi64ELi1ELi1ELi8ELi4ELi11EEEviiPKT_S4_PS2_ii,"axG",@progbits,_ZN5aiter32wv_splitk_small_fp16_bf16_kernelI6__halfLi64ELi1ELi1ELi8ELi4ELi11EEEviiPKT_S4_PS2_ii,comdat
	.protected	_ZN5aiter32wv_splitk_small_fp16_bf16_kernelI6__halfLi64ELi1ELi1ELi8ELi4ELi11EEEviiPKT_S4_PS2_ii ; -- Begin function _ZN5aiter32wv_splitk_small_fp16_bf16_kernelI6__halfLi64ELi1ELi1ELi8ELi4ELi11EEEviiPKT_S4_PS2_ii
	.globl	_ZN5aiter32wv_splitk_small_fp16_bf16_kernelI6__halfLi64ELi1ELi1ELi8ELi4ELi11EEEviiPKT_S4_PS2_ii
	.p2align	8
	.type	_ZN5aiter32wv_splitk_small_fp16_bf16_kernelI6__halfLi64ELi1ELi1ELi8ELi4ELi11EEEviiPKT_S4_PS2_ii,@function
_ZN5aiter32wv_splitk_small_fp16_bf16_kernelI6__halfLi64ELi1ELi1ELi8ELi4ELi11EEEviiPKT_S4_PS2_ii: ; @_ZN5aiter32wv_splitk_small_fp16_bf16_kernelI6__halfLi64ELi1ELi1ELi8ELi4ELi11EEEviiPKT_S4_PS2_ii
; %bb.0:
	s_load_dwordx2 s[4:5], s[0:1], 0x20
	s_load_dwordx2 s[6:7], s[0:1], 0x0
	v_bfe_u32 v1, v0, 10, 10
	s_waitcnt lgkmcnt(0)
	s_mul_i32 s2, s2, s4
	v_add_u32_e32 v192, s2, v1
	v_cmp_gt_u32_e32 vcc, s7, v192
	s_and_saveexec_b64 s[2:3], vcc
	s_cbranch_execz .LBB20_25
; %bb.1:
	v_and_b32_e32 v0, 0x3ff, v0
	v_lshlrev_b32_e32 v194, 3, v0
	s_load_dwordx4 s[8:11], s[0:1], 0x8
	s_load_dwordx2 s[12:13], s[0:1], 0x18
	v_mad_u64_u32 v[196:197], s[2:3], s6, v192, v[194:195]
	v_lshl_add_u32 v195, s6, 1, v194
	s_cmp_lg_u32 s6, 0
	v_mad_u64_u32 v[198:199], s[2:3], s6, 3, v[194:195]
	v_mad_u64_u32 v[200:201], s[2:3], s6, 5, v[194:195]
	;; [unrolled: 1-line block ×6, first 2 shown]
	s_cselect_b64 s[2:3], -1, 0
	v_cmp_eq_u32_e64 s[0:1], 63, v0
	s_mul_i32 s24, s5, s4
	v_cndmask_b32_e64 v0, 0, 1, s[2:3]
	s_mul_i32 s25, s24, s6
	v_lshl_add_u32 v197, s6, 2, v194
	v_lshl_add_u32 v199, s6, 3, v194
	v_add_u32_e32 v201, s6, v194
	s_mov_b64 s[14:15], 0
	v_cmp_ne_u32_e64 s[2:3], 1, v0
	v_mov_b32_e32 v211, 0
                                        ; implicit-def: $vgpr0_vgpr1_vgpr2_vgpr3
                                        ; implicit-def: $vgpr4_vgpr5_vgpr6_vgpr7
                                        ; implicit-def: $vgpr8_vgpr9_vgpr10_vgpr11
                                        ; implicit-def: $vgpr12_vgpr13_vgpr14_vgpr15
                                        ; implicit-def: $vgpr186_vgpr187
                                        ; implicit-def: $vgpr170_vgpr171
                                        ; implicit-def: $vgpr174_vgpr175
                                        ; implicit-def: $vgpr122_vgpr123
                                        ; implicit-def: $vgpr126_vgpr127
                                        ; implicit-def: $vgpr74_vgpr75
                                        ; implicit-def: $vgpr78_vgpr79
                                        ; implicit-def: $vgpr34_vgpr35
                                        ; implicit-def: $vgpr38_vgpr39
                                        ; implicit-def: $vgpr18_vgpr19
                                        ; implicit-def: $vgpr22_vgpr23
                                        ; implicit-def: $vgpr134_vgpr135
                                        ; implicit-def: $vgpr114_vgpr115
                                        ; implicit-def: $vgpr118_vgpr119
                                        ; implicit-def: $vgpr90_vgpr91
                                        ; implicit-def: $vgpr94_vgpr95
                                        ; implicit-def: $vgpr58_vgpr59
                                        ; implicit-def: $vgpr62_vgpr63
                                        ; implicit-def: $vgpr42_vgpr43
                                        ; implicit-def: $vgpr46_vgpr47
                                        ; implicit-def: $vgpr26_vgpr27
                                        ; implicit-def: $vgpr30_vgpr31
                                        ; implicit-def: $vgpr162_vgpr163
                                        ; implicit-def: $vgpr150_vgpr151
                                        ; implicit-def: $vgpr154_vgpr155
                                        ; implicit-def: $vgpr130_vgpr131
                                        ; implicit-def: $vgpr138_vgpr139
                                        ; implicit-def: $vgpr98_vgpr99
                                        ; implicit-def: $vgpr102_vgpr103
                                        ; implicit-def: $vgpr66_vgpr67
                                        ; implicit-def: $vgpr70_vgpr71
                                        ; implicit-def: $vgpr50_vgpr51
                                        ; implicit-def: $vgpr54_vgpr55
                                        ; implicit-def: $vgpr190_vgpr191
                                        ; implicit-def: $vgpr178_vgpr179
                                        ; implicit-def: $vgpr182_vgpr183
                                        ; implicit-def: $vgpr158_vgpr159
                                        ; implicit-def: $vgpr166_vgpr167
                                        ; implicit-def: $vgpr142_vgpr143
                                        ; implicit-def: $vgpr146_vgpr147
                                        ; implicit-def: $vgpr106_vgpr107
                                        ; implicit-def: $vgpr110_vgpr111
                                        ; implicit-def: $vgpr82_vgpr83
                                        ; implicit-def: $vgpr86_vgpr87
	s_branch .LBB20_3
.LBB20_2:                               ;   in Loop: Header=BB20_3 Depth=1
	s_or_b64 exec, exec, s[4:5]
	v_add_u32_e32 v192, s24, v192
	v_cmp_le_u32_e32 vcc, s7, v192
	s_or_b64 s[14:15], vcc, s[14:15]
	v_add_u32_e32 v196, s25, v196
	s_andn2_b64 exec, exec, s[14:15]
	s_cbranch_execz .LBB20_25
.LBB20_3:                               ; =>This Loop Header: Depth=1
                                        ;     Child Loop BB20_9 Depth 2
	s_and_b64 vcc, exec, s[2:3]
	s_mov_b32 s26, 0
	s_cbranch_vccnz .LBB20_22
; %bb.4:                                ;   in Loop: Header=BB20_3 Depth=1
	v_mov_b32_e32 v203, 0
	v_mov_b32_e32 v205, 0
	;; [unrolled: 1-line block ×11, first 2 shown]
	s_branch .LBB20_9
.LBB20_5:                               ;   in Loop: Header=BB20_9 Depth=2
	s_or_b64 exec, exec, s[20:21]
.LBB20_6:                               ;   in Loop: Header=BB20_9 Depth=2
	s_or_b64 exec, exec, s[18:19]
.LBB20_7:                               ;   in Loop: Header=BB20_9 Depth=2
	s_or_b64 exec, exec, s[16:17]
.LBB20_8:                               ;   in Loop: Header=BB20_9 Depth=2
	s_or_b64 exec, exec, s[4:5]
	s_addk_i32 s26, 0x800
	s_cmp_ge_u32 s26, s6
	s_cbranch_scc1 .LBB20_23
.LBB20_9:                               ;   Parent Loop BB20_3 Depth=1
                                        ; =>  This Inner Loop Header: Depth=2
	v_add_u32_e32 v212, s26, v194
	v_cmp_gt_u32_e32 vcc, s6, v212
	v_add_u32_e32 v214, 0x200, v212
	s_and_saveexec_b64 s[16:17], vcc
	s_cbranch_execz .LBB20_17
; %bb.10:                               ;   in Loop: Header=BB20_9 Depth=2
	v_add_u32_e32 v210, s26, v196
	v_mov_b32_e32 v213, v211
	v_add_u32_e32 v234, s26, v201
	v_mov_b32_e32 v235, v211
	;; [unrolled: 2-line block ×11, first 2 shown]
	s_waitcnt vmcnt(11) lgkmcnt(0)
	v_lshl_add_u64 v[12:13], v[210:211], 1, s[8:9]
	s_waitcnt vmcnt(9)
	v_lshl_add_u64 v[80:81], v[212:213], 1, s[10:11]
	v_lshl_add_u64 v[82:83], v[234:235], 1, s[10:11]
	s_waitcnt vmcnt(7)
	v_lshl_add_u64 v[104:105], v[232:233], 1, s[10:11]
	;; [unrolled: 3-line block ×6, first 2 shown]
	global_load_dwordx4 v[12:15], v[12:13], off nt
	s_nop 0
	global_load_dwordx4 v[84:87], v[80:81], off
	s_nop 0
	global_load_dwordx4 v[80:83], v[82:83], off
	;; [unrolled: 2-line block ×10, first 2 shown]
	v_cmp_gt_u32_e64 s[4:5], s6, v214
	global_load_dwordx4 v[188:191], v[188:189], off
	s_and_saveexec_b64 s[18:19], s[4:5]
	s_cbranch_execz .LBB20_16
; %bb.11:                               ;   in Loop: Header=BB20_9 Depth=2
	v_add_u32_e32 v8, 0x200, v210
	v_mov_b32_e32 v9, v211
	v_mov_b32_e32 v215, v211
	v_add_u32_e32 v50, 0x200, v234
	v_mov_b32_e32 v51, v211
	v_add_u32_e32 v64, 0x200, v232
	;; [unrolled: 2-line block ×10, first 2 shown]
	v_mov_b32_e32 v161, v211
	v_lshl_add_u64 v[8:9], v[8:9], 1, s[8:9]
	v_lshl_add_u64 v[48:49], v[214:215], 1, s[10:11]
	;; [unrolled: 1-line block ×12, first 2 shown]
	global_load_dwordx4 v[8:11], v[8:9], off nt
	s_nop 0
	global_load_dwordx4 v[52:55], v[48:49], off
	s_nop 0
	global_load_dwordx4 v[48:51], v[50:51], off
	;; [unrolled: 2-line block ×10, first 2 shown]
	v_add_u32_e32 v236, 0x400, v212
	global_load_dwordx4 v[160:163], v[160:161], off
	v_cmp_gt_u32_e64 s[4:5], s6, v236
	s_and_saveexec_b64 s[20:21], s[4:5]
	s_cbranch_execz .LBB20_15
; %bb.12:                               ;   in Loop: Header=BB20_9 Depth=2
	v_add_u32_e32 v4, 0x400, v210
	v_mov_b32_e32 v5, v211
	v_mov_b32_e32 v237, v211
	v_add_u32_e32 v26, 0x400, v234
	v_mov_b32_e32 v27, v211
	v_add_u32_e32 v40, 0x400, v232
	v_mov_b32_e32 v41, v211
	v_add_u32_e32 v42, 0x400, v230
	v_mov_b32_e32 v43, v211
	v_add_u32_e32 v56, 0x400, v228
	v_mov_b32_e32 v57, v211
	v_add_u32_e32 v58, 0x400, v226
	v_mov_b32_e32 v59, v211
	v_add_u32_e32 v88, 0x400, v224
	v_mov_b32_e32 v89, v211
	v_add_u32_e32 v90, 0x400, v222
	v_mov_b32_e32 v91, v211
	v_add_u32_e32 v112, 0x400, v220
	v_mov_b32_e32 v113, v211
	v_add_u32_e32 v114, 0x400, v218
	v_mov_b32_e32 v115, v211
	v_add_u32_e32 v132, 0x400, v216
	v_mov_b32_e32 v133, v211
	v_lshl_add_u64 v[4:5], v[4:5], 1, s[8:9]
	v_lshl_add_u64 v[24:25], v[236:237], 1, s[10:11]
	;; [unrolled: 1-line block ×12, first 2 shown]
	global_load_dwordx4 v[4:7], v[4:5], off nt
	s_nop 0
	global_load_dwordx4 v[28:31], v[24:25], off
	s_nop 0
	global_load_dwordx4 v[24:27], v[26:27], off
	;; [unrolled: 2-line block ×10, first 2 shown]
	v_add_u32_e32 v236, 0x600, v212
	global_load_dwordx4 v[132:135], v[132:133], off
	v_cmp_gt_u32_e64 s[4:5], s6, v236
	s_and_saveexec_b64 s[22:23], s[4:5]
	s_cbranch_execz .LBB20_14
; %bb.13:                               ;   in Loop: Header=BB20_9 Depth=2
	v_add_u32_e32 v210, 0x600, v210
	v_lshl_add_u64 v[0:1], v[210:211], 1, s[8:9]
	v_add_u32_e32 v210, 0x600, v234
	v_lshl_add_u64 v[18:19], v[210:211], 1, s[10:11]
	;; [unrolled: 2-line block ×9, first 2 shown]
	v_add_u32_e32 v210, 0x600, v218
	v_mov_b32_e32 v237, v211
	v_lshl_add_u64 v[170:171], v[210:211], 1, s[10:11]
	v_add_u32_e32 v210, 0x600, v216
	v_lshl_add_u64 v[16:17], v[236:237], 1, s[10:11]
	v_lshl_add_u64 v[184:185], v[210:211], 1, s[10:11]
	global_load_dwordx4 v[0:3], v[0:1], off nt
	s_nop 0
	global_load_dwordx4 v[20:23], v[16:17], off
	s_nop 0
	global_load_dwordx4 v[16:19], v[18:19], off
	;; [unrolled: 2-line block ×11, first 2 shown]
.LBB20_14:                              ;   in Loop: Header=BB20_9 Depth=2
	s_or_b64 exec, exec, s[22:23]
.LBB20_15:                              ;   in Loop: Header=BB20_9 Depth=2
	s_or_b64 exec, exec, s[20:21]
.LBB20_16:                              ;   in Loop: Header=BB20_9 Depth=2
	s_or_b64 exec, exec, s[18:19]
.LBB20_17:                              ;   in Loop: Header=BB20_9 Depth=2
	s_or_b64 exec, exec, s[16:17]
	s_and_saveexec_b64 s[4:5], vcc
	s_cbranch_execz .LBB20_8
; %bb.18:                               ;   in Loop: Header=BB20_9 Depth=2
	s_waitcnt vmcnt(10)
	;;#ASMSTART
	v_dot2c_f32_f16 v193, v84, v12
	;;#ASMEND
	s_waitcnt vmcnt(9)
	;;#ASMSTART
	v_dot2c_f32_f16 v243, v80, v12
	;;#ASMEND
	;; [unrolled: 4-line block ×11, first 2 shown]
	;;#ASMSTART
	v_dot2c_f32_f16 v193, v85, v13
	;;#ASMEND
	;;#ASMSTART
	v_dot2c_f32_f16 v243, v81, v13
	;;#ASMEND
	;; [unrolled: 3-line block ×10, first 2 shown]
	s_nop 0
	;;#ASMSTART
	v_dot2c_f32_f16 v203, v189, v13
	;;#ASMEND
	;;#ASMSTART
	v_dot2c_f32_f16 v193, v86, v14
	;;#ASMEND
	;; [unrolled: 3-line block ×11, first 2 shown]
	s_nop 0
	;;#ASMSTART
	v_dot2c_f32_f16 v203, v190, v14
	;;#ASMEND
	v_cmp_gt_u32_e32 vcc, s6, v214
	;;#ASMSTART
	v_dot2c_f32_f16 v193, v87, v15
	;;#ASMEND
	;;#ASMSTART
	v_dot2c_f32_f16 v243, v83, v15
	;;#ASMEND
	;; [unrolled: 3-line block ×11, first 2 shown]
	s_and_saveexec_b64 s[16:17], vcc
	s_cbranch_execz .LBB20_7
; %bb.19:                               ;   in Loop: Header=BB20_9 Depth=2
	;;#ASMSTART
	v_dot2c_f32_f16 v193, v52, v8
	;;#ASMEND
	;;#ASMSTART
	v_dot2c_f32_f16 v243, v48, v8
	;;#ASMEND
	;; [unrolled: 3-line block ×11, first 2 shown]
	s_nop 0
	;;#ASMSTART
	v_dot2c_f32_f16 v193, v53, v9
	;;#ASMEND
	;;#ASMSTART
	v_dot2c_f32_f16 v243, v49, v9
	;;#ASMEND
	;; [unrolled: 3-line block ×11, first 2 shown]
	v_add_u32_e32 v210, 0x400, v212
	;;#ASMSTART
	v_dot2c_f32_f16 v193, v54, v10
	;;#ASMEND
	;;#ASMSTART
	v_dot2c_f32_f16 v243, v50, v10
	;;#ASMEND
	;; [unrolled: 3-line block ×11, first 2 shown]
	v_cmp_gt_u32_e32 vcc, s6, v210
	;;#ASMSTART
	v_dot2c_f32_f16 v193, v55, v11
	;;#ASMEND
	;;#ASMSTART
	v_dot2c_f32_f16 v243, v51, v11
	;;#ASMEND
	;; [unrolled: 3-line block ×11, first 2 shown]
	s_and_saveexec_b64 s[18:19], vcc
	s_cbranch_execz .LBB20_6
; %bb.20:                               ;   in Loop: Header=BB20_9 Depth=2
	;;#ASMSTART
	v_dot2c_f32_f16 v193, v28, v4
	;;#ASMEND
	;;#ASMSTART
	v_dot2c_f32_f16 v243, v24, v4
	;;#ASMEND
	;; [unrolled: 3-line block ×11, first 2 shown]
	s_nop 0
	;;#ASMSTART
	v_dot2c_f32_f16 v193, v29, v5
	;;#ASMEND
	;;#ASMSTART
	v_dot2c_f32_f16 v243, v25, v5
	;;#ASMEND
	;; [unrolled: 3-line block ×11, first 2 shown]
	v_add_u32_e32 v210, 0x600, v212
	;;#ASMSTART
	v_dot2c_f32_f16 v193, v30, v6
	;;#ASMEND
	;;#ASMSTART
	v_dot2c_f32_f16 v243, v26, v6
	;;#ASMEND
	;; [unrolled: 3-line block ×11, first 2 shown]
	v_cmp_gt_u32_e32 vcc, s6, v210
	;;#ASMSTART
	v_dot2c_f32_f16 v193, v31, v7
	;;#ASMEND
	;;#ASMSTART
	v_dot2c_f32_f16 v243, v27, v7
	;;#ASMEND
	;; [unrolled: 3-line block ×11, first 2 shown]
	s_and_saveexec_b64 s[20:21], vcc
	s_cbranch_execz .LBB20_5
; %bb.21:                               ;   in Loop: Header=BB20_9 Depth=2
	;;#ASMSTART
	v_dot2c_f32_f16 v193, v20, v0
	;;#ASMEND
	;;#ASMSTART
	v_dot2c_f32_f16 v243, v16, v0
	;;#ASMEND
	;;#ASMSTART
	v_dot2c_f32_f16 v242, v36, v0
	;;#ASMEND
	;;#ASMSTART
	v_dot2c_f32_f16 v241, v32, v0
	;;#ASMEND
	;;#ASMSTART
	v_dot2c_f32_f16 v240, v76, v0
	;;#ASMEND
	;;#ASMSTART
	v_dot2c_f32_f16 v239, v72, v0
	;;#ASMEND
	;;#ASMSTART
	v_dot2c_f32_f16 v238, v124, v0
	;;#ASMEND
	;;#ASMSTART
	v_dot2c_f32_f16 v209, v120, v0
	;;#ASMEND
	;;#ASMSTART
	v_dot2c_f32_f16 v207, v172, v0
	;;#ASMEND
	;;#ASMSTART
	v_dot2c_f32_f16 v205, v168, v0
	;;#ASMEND
	;;#ASMSTART
	v_dot2c_f32_f16 v203, v184, v0
	;;#ASMEND
	s_nop 0
	;;#ASMSTART
	v_dot2c_f32_f16 v193, v21, v1
	;;#ASMEND
	;;#ASMSTART
	v_dot2c_f32_f16 v243, v17, v1
	;;#ASMEND
	;;#ASMSTART
	v_dot2c_f32_f16 v242, v37, v1
	;;#ASMEND
	;;#ASMSTART
	v_dot2c_f32_f16 v241, v33, v1
	;;#ASMEND
	;;#ASMSTART
	v_dot2c_f32_f16 v240, v77, v1
	;;#ASMEND
	;;#ASMSTART
	v_dot2c_f32_f16 v239, v73, v1
	;;#ASMEND
	;;#ASMSTART
	v_dot2c_f32_f16 v238, v125, v1
	;;#ASMEND
	;;#ASMSTART
	v_dot2c_f32_f16 v209, v121, v1
	;;#ASMEND
	;;#ASMSTART
	v_dot2c_f32_f16 v207, v173, v1
	;;#ASMEND
	;;#ASMSTART
	v_dot2c_f32_f16 v205, v169, v1
	;;#ASMEND
	;;#ASMSTART
	v_dot2c_f32_f16 v203, v185, v1
	;;#ASMEND
	s_nop 0
	;; [unrolled: 34-line block ×3, first 2 shown]
	;;#ASMSTART
	v_dot2c_f32_f16 v193, v23, v3
	;;#ASMEND
	;;#ASMSTART
	v_dot2c_f32_f16 v243, v19, v3
	;;#ASMEND
	;; [unrolled: 3-line block ×11, first 2 shown]
	s_branch .LBB20_5
.LBB20_22:                              ;   in Loop: Header=BB20_3 Depth=1
	v_mov_b32_e32 v193, v211
	v_mov_b32_e32 v243, v211
	;; [unrolled: 1-line block ×11, first 2 shown]
.LBB20_23:                              ;   in Loop: Header=BB20_3 Depth=1
	;;#ASMSTART
	s_nop 0
	v_add_f32 v193, v193, v193 row_shr:8 bound_ctrl:0 
	;;#ASMEND
	;;#ASMSTART
	s_nop 0
	v_add_f32 v243, v243, v243 row_shr:8 bound_ctrl:0 
	;;#ASMEND
	;;#ASMSTART
	s_nop 0
	v_add_f32 v242, v242, v242 row_shr:8 bound_ctrl:0 
	;;#ASMEND
	;;#ASMSTART
	s_nop 0
	v_add_f32 v241, v241, v241 row_shr:8 bound_ctrl:0 
	;;#ASMEND
	;;#ASMSTART
	s_nop 0
	v_add_f32 v240, v240, v240 row_shr:8 bound_ctrl:0 
	;;#ASMEND
	;;#ASMSTART
	s_nop 0
	v_add_f32 v239, v239, v239 row_shr:8 bound_ctrl:0 
	;;#ASMEND
	;;#ASMSTART
	s_nop 0
	v_add_f32 v238, v238, v238 row_shr:8 bound_ctrl:0 
	;;#ASMEND
	;;#ASMSTART
	s_nop 0
	v_add_f32 v209, v209, v209 row_shr:8 bound_ctrl:0 
	;;#ASMEND
	;;#ASMSTART
	s_nop 0
	v_add_f32 v207, v207, v207 row_shr:8 bound_ctrl:0 
	;;#ASMEND
	;;#ASMSTART
	s_nop 0
	v_add_f32 v205, v205, v205 row_shr:8 bound_ctrl:0 
	;;#ASMEND
	;;#ASMSTART
	s_nop 0
	v_add_f32 v203, v203, v203 row_shr:8 bound_ctrl:0 
	;;#ASMEND
	s_nop 0
	;;#ASMSTART
	s_nop 0
	v_add_f32 v193, v193, v193 row_shr:4 bound_ctrl:0 
	;;#ASMEND
	;;#ASMSTART
	s_nop 0
	v_add_f32 v243, v243, v243 row_shr:4 bound_ctrl:0 
	;;#ASMEND
	;;#ASMSTART
	s_nop 0
	v_add_f32 v242, v242, v242 row_shr:4 bound_ctrl:0 
	;;#ASMEND
	;;#ASMSTART
	s_nop 0
	v_add_f32 v241, v241, v241 row_shr:4 bound_ctrl:0 
	;;#ASMEND
	;;#ASMSTART
	s_nop 0
	v_add_f32 v240, v240, v240 row_shr:4 bound_ctrl:0 
	;;#ASMEND
	;;#ASMSTART
	s_nop 0
	v_add_f32 v239, v239, v239 row_shr:4 bound_ctrl:0 
	;;#ASMEND
	;;#ASMSTART
	s_nop 0
	v_add_f32 v238, v238, v238 row_shr:4 bound_ctrl:0 
	;;#ASMEND
	;;#ASMSTART
	s_nop 0
	v_add_f32 v209, v209, v209 row_shr:4 bound_ctrl:0 
	;;#ASMEND
	;;#ASMSTART
	s_nop 0
	v_add_f32 v207, v207, v207 row_shr:4 bound_ctrl:0 
	;;#ASMEND
	;;#ASMSTART
	s_nop 0
	v_add_f32 v205, v205, v205 row_shr:4 bound_ctrl:0 
	;;#ASMEND
	;;#ASMSTART
	s_nop 0
	v_add_f32 v203, v203, v203 row_shr:4 bound_ctrl:0 
	;;#ASMEND
	s_nop 0
	;; [unrolled: 45-line block ×3, first 2 shown]
	;;#ASMSTART
	s_nop 0
	v_add_f32 v193, v193, v193 wave_shr:1 bound_ctrl:0
	;;#ASMEND
	;;#ASMSTART
	s_nop 0
	v_add_f32 v243, v243, v243 wave_shr:1 bound_ctrl:0
	;;#ASMEND
	;; [unrolled: 4-line block ×11, first 2 shown]
	s_nop 0
	;;#ASMSTART
	s_nop 0
	v_add_f32 v193, v193, v193 row_bcast:15 bound_ctrl:0
	;;#ASMEND
	;;#ASMSTART
	s_nop 0
	v_add_f32 v243, v243, v243 row_bcast:15 bound_ctrl:0
	;;#ASMEND
	;; [unrolled: 4-line block ×11, first 2 shown]
	s_nop 0
	;;#ASMSTART
	s_nop 0
	v_add_f32 v193, v193, v193 row_bcast:31 bound_ctrl:0
	;;#ASMEND
	;;#ASMSTART
	s_nop 0
	v_add_f32 v243, v243, v243 row_bcast:31 bound_ctrl:0
	;;#ASMEND
	;; [unrolled: 4-line block ×11, first 2 shown]
	s_and_saveexec_b64 s[4:5], s[0:1]
	s_cbranch_execz .LBB20_2
; %bb.24:                               ;   in Loop: Header=BB20_3 Depth=1
	v_cvt_f16_f32_e32 v210, v193
	v_mov_b32_e32 v193, v211
	v_cvt_f16_f32_e32 v214, v243
	s_waitcnt lgkmcnt(0)
	v_lshl_add_u64 v[212:213], v[192:193], 1, s[12:13]
	v_cvt_f16_f32_e32 v193, v242
	global_store_short v[212:213], v210, off
	v_add_u32_e32 v210, s7, v192
	v_lshl_add_u64 v[212:213], v[210:211], 1, s[12:13]
	v_add_u32_e32 v210, s7, v210
	global_store_short v[212:213], v214, off
	v_lshl_add_u64 v[212:213], v[210:211], 1, s[12:13]
	global_store_short v[212:213], v193, off
	v_cvt_f16_f32_e32 v193, v241
	v_add_u32_e32 v210, s7, v210
	v_lshl_add_u64 v[212:213], v[210:211], 1, s[12:13]
	v_cvt_f16_f32_e32 v214, v240
	global_store_short v[212:213], v193, off
	v_cvt_f16_f32_e32 v193, v239
	v_add_u32_e32 v210, s7, v210
	v_lshl_add_u64 v[212:213], v[210:211], 1, s[12:13]
	v_add_u32_e32 v210, s7, v210
	global_store_short v[212:213], v214, off
	v_lshl_add_u64 v[212:213], v[210:211], 1, s[12:13]
	v_cvt_f16_f32_e32 v214, v238
	global_store_short v[212:213], v193, off
	v_cvt_f16_f32_e32 v193, v209
	v_add_u32_e32 v210, s7, v210
	v_lshl_add_u64 v[212:213], v[210:211], 1, s[12:13]
	v_add_u32_e32 v210, s7, v210
	global_store_short v[212:213], v214, off
	v_lshl_add_u64 v[212:213], v[210:211], 1, s[12:13]
	v_cvt_f16_f32_e32 v207, v207
	global_store_short v[212:213], v193, off
	v_cvt_f16_f32_e32 v193, v205
	v_add_u32_e32 v210, s7, v210
	v_cvt_f16_f32_e32 v203, v203
	v_lshl_add_u64 v[212:213], v[210:211], 1, s[12:13]
	v_add_u32_e32 v210, s7, v210
	global_store_short v[212:213], v207, off
	v_lshl_add_u64 v[212:213], v[210:211], 1, s[12:13]
	v_add_u32_e32 v210, s7, v210
	global_store_short v[212:213], v193, off
	v_lshl_add_u64 v[212:213], v[210:211], 1, s[12:13]
	global_store_short v[212:213], v203, off
	s_branch .LBB20_2
.LBB20_25:
	s_endpgm
	.section	.rodata,"a",@progbits
	.p2align	6, 0x0
	.amdhsa_kernel _ZN5aiter32wv_splitk_small_fp16_bf16_kernelI6__halfLi64ELi1ELi1ELi8ELi4ELi11EEEviiPKT_S4_PS2_ii
		.amdhsa_group_segment_fixed_size 0
		.amdhsa_private_segment_fixed_size 0
		.amdhsa_kernarg_size 40
		.amdhsa_user_sgpr_count 2
		.amdhsa_user_sgpr_dispatch_ptr 0
		.amdhsa_user_sgpr_queue_ptr 0
		.amdhsa_user_sgpr_kernarg_segment_ptr 1
		.amdhsa_user_sgpr_dispatch_id 0
		.amdhsa_user_sgpr_kernarg_preload_length 0
		.amdhsa_user_sgpr_kernarg_preload_offset 0
		.amdhsa_user_sgpr_private_segment_size 0
		.amdhsa_uses_dynamic_stack 0
		.amdhsa_enable_private_segment 0
		.amdhsa_system_sgpr_workgroup_id_x 1
		.amdhsa_system_sgpr_workgroup_id_y 0
		.amdhsa_system_sgpr_workgroup_id_z 0
		.amdhsa_system_sgpr_workgroup_info 0
		.amdhsa_system_vgpr_workitem_id 1
		.amdhsa_next_free_vgpr 244
		.amdhsa_next_free_sgpr 27
		.amdhsa_accum_offset 244
		.amdhsa_reserve_vcc 1
		.amdhsa_float_round_mode_32 0
		.amdhsa_float_round_mode_16_64 0
		.amdhsa_float_denorm_mode_32 3
		.amdhsa_float_denorm_mode_16_64 3
		.amdhsa_dx10_clamp 1
		.amdhsa_ieee_mode 1
		.amdhsa_fp16_overflow 0
		.amdhsa_tg_split 0
		.amdhsa_exception_fp_ieee_invalid_op 0
		.amdhsa_exception_fp_denorm_src 0
		.amdhsa_exception_fp_ieee_div_zero 0
		.amdhsa_exception_fp_ieee_overflow 0
		.amdhsa_exception_fp_ieee_underflow 0
		.amdhsa_exception_fp_ieee_inexact 0
		.amdhsa_exception_int_div_zero 0
	.end_amdhsa_kernel
	.section	.text._ZN5aiter32wv_splitk_small_fp16_bf16_kernelI6__halfLi64ELi1ELi1ELi8ELi4ELi11EEEviiPKT_S4_PS2_ii,"axG",@progbits,_ZN5aiter32wv_splitk_small_fp16_bf16_kernelI6__halfLi64ELi1ELi1ELi8ELi4ELi11EEEviiPKT_S4_PS2_ii,comdat
.Lfunc_end20:
	.size	_ZN5aiter32wv_splitk_small_fp16_bf16_kernelI6__halfLi64ELi1ELi1ELi8ELi4ELi11EEEviiPKT_S4_PS2_ii, .Lfunc_end20-_ZN5aiter32wv_splitk_small_fp16_bf16_kernelI6__halfLi64ELi1ELi1ELi8ELi4ELi11EEEviiPKT_S4_PS2_ii
                                        ; -- End function
	.section	.AMDGPU.csdata,"",@progbits
; Kernel info:
; codeLenInByte = 4792
; NumSgprs: 33
; NumVgprs: 244
; NumAgprs: 0
; TotalNumVgprs: 244
; ScratchSize: 0
; MemoryBound: 1
; FloatMode: 240
; IeeeMode: 1
; LDSByteSize: 0 bytes/workgroup (compile time only)
; SGPRBlocks: 4
; VGPRBlocks: 30
; NumSGPRsForWavesPerEU: 33
; NumVGPRsForWavesPerEU: 244
; AccumOffset: 244
; Occupancy: 2
; WaveLimiterHint : 0
; COMPUTE_PGM_RSRC2:SCRATCH_EN: 0
; COMPUTE_PGM_RSRC2:USER_SGPR: 2
; COMPUTE_PGM_RSRC2:TRAP_HANDLER: 0
; COMPUTE_PGM_RSRC2:TGID_X_EN: 1
; COMPUTE_PGM_RSRC2:TGID_Y_EN: 0
; COMPUTE_PGM_RSRC2:TGID_Z_EN: 0
; COMPUTE_PGM_RSRC2:TIDIG_COMP_CNT: 1
; COMPUTE_PGM_RSRC3_GFX90A:ACCUM_OFFSET: 60
; COMPUTE_PGM_RSRC3_GFX90A:TG_SPLIT: 0
	.section	.text._ZN5aiter32wv_splitk_small_fp16_bf16_kernelI6__halfLi64ELi1ELi1ELi8ELi4ELi12EEEviiPKT_S4_PS2_ii,"axG",@progbits,_ZN5aiter32wv_splitk_small_fp16_bf16_kernelI6__halfLi64ELi1ELi1ELi8ELi4ELi12EEEviiPKT_S4_PS2_ii,comdat
	.protected	_ZN5aiter32wv_splitk_small_fp16_bf16_kernelI6__halfLi64ELi1ELi1ELi8ELi4ELi12EEEviiPKT_S4_PS2_ii ; -- Begin function _ZN5aiter32wv_splitk_small_fp16_bf16_kernelI6__halfLi64ELi1ELi1ELi8ELi4ELi12EEEviiPKT_S4_PS2_ii
	.globl	_ZN5aiter32wv_splitk_small_fp16_bf16_kernelI6__halfLi64ELi1ELi1ELi8ELi4ELi12EEEviiPKT_S4_PS2_ii
	.p2align	8
	.type	_ZN5aiter32wv_splitk_small_fp16_bf16_kernelI6__halfLi64ELi1ELi1ELi8ELi4ELi12EEEviiPKT_S4_PS2_ii,@function
_ZN5aiter32wv_splitk_small_fp16_bf16_kernelI6__halfLi64ELi1ELi1ELi8ELi4ELi12EEEviiPKT_S4_PS2_ii: ; @_ZN5aiter32wv_splitk_small_fp16_bf16_kernelI6__halfLi64ELi1ELi1ELi8ELi4ELi12EEEviiPKT_S4_PS2_ii
; %bb.0:
	s_load_dwordx2 s[4:5], s[0:1], 0x20
	s_load_dwordx2 s[6:7], s[0:1], 0x0
	v_bfe_u32 v1, v0, 10, 10
	s_waitcnt lgkmcnt(0)
	s_mul_i32 s2, s2, s4
	v_add_u32_e32 v208, s2, v1
	v_cmp_gt_u32_e32 vcc, s7, v208
	s_and_saveexec_b64 s[2:3], vcc
	s_cbranch_execz .LBB21_25
; %bb.1:
	v_and_b32_e32 v0, 0x3ff, v0
	s_load_dwordx4 s[8:11], s[0:1], 0x8
	s_load_dwordx2 s[12:13], s[0:1], 0x18
	v_lshlrev_b32_e32 v210, 3, v0
	s_cmp_lg_u32 s6, 0
	v_mad_u64_u32 v[212:213], s[2:3], s6, v208, v[210:211]
	v_mad_u64_u32 v[214:215], s[2:3], s6, 3, v[210:211]
	;; [unrolled: 1-line block ×8, first 2 shown]
	s_cselect_b64 s[2:3], -1, 0
	v_cmp_eq_u32_e64 s[0:1], 63, v0
	s_mul_i32 s24, s5, s4
	v_cndmask_b32_e64 v0, 0, 1, s[2:3]
	s_mul_i32 s25, s24, s6
	v_lshl_add_u32 v23, s6, 1, v210
	v_lshl_add_u32 v209, s6, 2, v210
	;; [unrolled: 1-line block ×3, first 2 shown]
	v_add_u32_e32 v228, s6, v210
	s_mov_b64 s[14:15], 0
	v_cmp_ne_u32_e64 s[2:3], 1, v0
	v_mov_b32_e32 v235, 0
                                        ; implicit-def: $vgpr0_vgpr1_vgpr2_vgpr3
                                        ; implicit-def: $vgpr4_vgpr5_vgpr6_vgpr7
                                        ; implicit-def: $vgpr8_vgpr9_vgpr10_vgpr11
                                        ; implicit-def: $vgpr12_vgpr13_vgpr14_vgpr15
                                        ; implicit-def: $vgpr194_vgpr195
                                        ; implicit-def: $vgpr198_vgpr199
                                        ; implicit-def: $vgpr162_vgpr163
                                        ; implicit-def: $vgpr166_vgpr167
                                        ; implicit-def: $vgpr118_vgpr119
                                        ; implicit-def: $vgpr126_vgpr127
                                        ; implicit-def: $vgpr66_vgpr67
                                        ; implicit-def: $vgpr70_vgpr71
                                        ; implicit-def: $vgpr34_vgpr35
                                        ; implicit-def: $vgpr38_vgpr39
                                        ; implicit-def: $agpr2_agpr3
                                        ; implicit-def: $agpr6_agpr7
                                        ; implicit-def: $vgpr138_vgpr139
                                        ; implicit-def: $vgpr142_vgpr143
                                        ; implicit-def: $vgpr106_vgpr107
                                        ; implicit-def: $vgpr110_vgpr111
                                        ; implicit-def: $vgpr82_vgpr83
                                        ; implicit-def: $vgpr86_vgpr87
                                        ; implicit-def: $vgpr58_vgpr59
                                        ; implicit-def: $vgpr62_vgpr63
                                        ; implicit-def: $vgpr42_vgpr43
                                        ; implicit-def: $vgpr46_vgpr47
                                        ; implicit-def: $vgpr26_vgpr27
                                        ; implicit-def: $vgpr30_vgpr31
                                        ; implicit-def: $vgpr178_vgpr179
                                        ; implicit-def: $vgpr182_vgpr183
                                        ; implicit-def: $vgpr154_vgpr155
                                        ; implicit-def: $vgpr158_vgpr159
                                        ; implicit-def: $vgpr130_vgpr131
                                        ; implicit-def: $vgpr134_vgpr135
                                        ; implicit-def: $vgpr98_vgpr99
                                        ; implicit-def: $vgpr102_vgpr103
                                        ; implicit-def: $vgpr74_vgpr75
                                        ; implicit-def: $vgpr78_vgpr79
                                        ; implicit-def: $vgpr50_vgpr51
                                        ; implicit-def: $vgpr54_vgpr55
                                        ; implicit-def: $vgpr202_vgpr203
                                        ; implicit-def: $vgpr206_vgpr207
                                        ; implicit-def: $vgpr186_vgpr187
                                        ; implicit-def: $vgpr190_vgpr191
                                        ; implicit-def: $vgpr170_vgpr171
                                        ; implicit-def: $vgpr174_vgpr175
                                        ; implicit-def: $vgpr146_vgpr147
                                        ; implicit-def: $vgpr150_vgpr151
                                        ; implicit-def: $vgpr114_vgpr115
                                        ; implicit-def: $vgpr122_vgpr123
                                        ; implicit-def: $vgpr90_vgpr91
                                        ; implicit-def: $vgpr94_vgpr95
	s_branch .LBB21_3
.LBB21_2:                               ;   in Loop: Header=BB21_3 Depth=1
	s_or_b64 exec, exec, s[4:5]
	v_add_u32_e32 v208, s24, v208
	v_cmp_le_u32_e32 vcc, s7, v208
	s_or_b64 s[14:15], vcc, s[14:15]
	v_add_u32_e32 v212, s25, v212
	s_andn2_b64 exec, exec, s[14:15]
	s_cbranch_execz .LBB21_25
.LBB21_3:                               ; =>This Loop Header: Depth=1
                                        ;     Child Loop BB21_9 Depth 2
	s_and_b64 vcc, exec, s[2:3]
	s_mov_b32 s26, 0
	s_cbranch_vccnz .LBB21_22
; %bb.4:                                ;   in Loop: Header=BB21_3 Depth=1
	v_mov_b32_e32 v219, 0
	v_mov_b32_e32 v221, 0
	;; [unrolled: 1-line block ×12, first 2 shown]
	s_branch .LBB21_9
.LBB21_5:                               ;   in Loop: Header=BB21_9 Depth=2
	s_or_b64 exec, exec, s[20:21]
.LBB21_6:                               ;   in Loop: Header=BB21_9 Depth=2
	s_or_b64 exec, exec, s[18:19]
.LBB21_7:                               ;   in Loop: Header=BB21_9 Depth=2
	s_or_b64 exec, exec, s[16:17]
.LBB21_8:                               ;   in Loop: Header=BB21_9 Depth=2
	s_or_b64 exec, exec, s[4:5]
	s_addk_i32 s26, 0x800
	s_cmp_ge_u32 s26, s6
	s_cbranch_scc1 .LBB21_23
.LBB21_9:                               ;   Parent Loop BB21_3 Depth=1
                                        ; =>  This Inner Loop Header: Depth=2
	v_add_u32_e32 v230, s26, v210
	v_cmp_gt_u32_e32 vcc, s6, v230
	v_add_u32_e32 v232, 0x200, v230
	s_and_saveexec_b64 s[16:17], vcc
	s_cbranch_execz .LBB21_17
; %bb.10:                               ;   in Loop: Header=BB21_9 Depth=2
	v_add_u32_e32 v234, s26, v212
	v_mov_b32_e32 v231, v235
	s_waitcnt vmcnt(12) lgkmcnt(0)
	v_lshl_add_u64 v[12:13], v[234:235], 1, s[8:9]
	v_lshl_add_u64 v[16:17], v[230:231], 1, s[10:11]
	v_add_u32_e32 v254, s26, v228
	v_mov_b32_e32 v255, v235
	v_add_u32_e32 v252, s26, v23
	v_mov_b32_e32 v253, v235
	global_load_dwordx4 v[12:15], v[12:13], off nt
	v_lshl_add_u64 v[18:19], v[254:255], 1, s[10:11]
	global_load_dwordx4 v[92:95], v[16:17], off
	global_load_dwordx4 v[88:91], v[18:19], off
	v_lshl_add_u64 v[16:17], v[252:253], 1, s[10:11]
	v_add_u32_e32 v250, s26, v214
	v_mov_b32_e32 v251, v235
	v_add_u32_e32 v248, s26, v209
	v_mov_b32_e32 v249, v235
	v_lshl_add_u64 v[18:19], v[250:251], 1, s[10:11]
	global_load_dwordx4 v[120:123], v[16:17], off
	global_load_dwordx4 v[112:115], v[18:19], off
	v_lshl_add_u64 v[16:17], v[248:249], 1, s[10:11]
	v_add_u32_e32 v246, s26, v216
	v_mov_b32_e32 v247, v235
	v_add_u32_e32 v244, s26, v218
	v_mov_b32_e32 v245, v235
	v_lshl_add_u64 v[18:19], v[246:247], 1, s[10:11]
	global_load_dwordx4 v[148:151], v[16:17], off
	global_load_dwordx4 v[144:147], v[18:19], off
	v_lshl_add_u64 v[16:17], v[244:245], 1, s[10:11]
	v_add_u32_e32 v242, s26, v220
	v_mov_b32_e32 v243, v235
	v_add_u32_e32 v240, s26, v229
	v_mov_b32_e32 v241, v235
	v_lshl_add_u64 v[18:19], v[242:243], 1, s[10:11]
	global_load_dwordx4 v[172:175], v[16:17], off
	global_load_dwordx4 v[168:171], v[18:19], off
	v_lshl_add_u64 v[16:17], v[240:241], 1, s[10:11]
	v_add_u32_e32 v238, s26, v222
	v_mov_b32_e32 v239, v235
	v_lshl_add_u64 v[18:19], v[238:239], 1, s[10:11]
	global_load_dwordx4 v[188:191], v[16:17], off
	global_load_dwordx4 v[184:187], v[18:19], off
	v_add_u32_e32 v236, s26, v224
	v_mov_b32_e32 v237, v235
	v_add_u32_e32 v16, s26, v226
	v_mov_b32_e32 v17, v235
	v_lshl_add_u64 v[18:19], v[236:237], 1, s[10:11]
	s_waitcnt vmcnt(11)
	v_lshl_add_u64 v[200:201], v[16:17], 1, s[10:11]
	global_load_dwordx4 v[204:207], v[18:19], off
	s_nop 0
	global_load_dwordx4 v[200:203], v[200:201], off
	v_cmp_gt_u32_e64 s[4:5], s6, v232
	s_and_saveexec_b64 s[18:19], s[4:5]
	s_cbranch_execz .LBB21_16
; %bb.11:                               ;   in Loop: Header=BB21_9 Depth=2
	v_add_u32_e32 v8, 0x200, v234
	v_mov_b32_e32 v9, v235
	v_mov_b32_e32 v233, v235
	v_add_u32_e32 v48, 0x200, v254
	v_mov_b32_e32 v49, v235
	v_lshl_add_u64 v[8:9], v[8:9], 1, s[8:9]
	v_lshl_add_u64 v[18:19], v[232:233], 1, s[10:11]
	;; [unrolled: 1-line block ×3, first 2 shown]
	global_load_dwordx4 v[8:11], v[8:9], off nt
	s_nop 0
	global_load_dwordx4 v[52:55], v[18:19], off
	s_nop 0
	global_load_dwordx4 v[48:51], v[48:49], off
	v_add_u32_e32 v18, 0x200, v252
	v_mov_b32_e32 v19, v235
	v_add_u32_e32 v72, 0x200, v250
	v_mov_b32_e32 v73, v235
	v_lshl_add_u64 v[18:19], v[18:19], 1, s[10:11]
	v_lshl_add_u64 v[72:73], v[72:73], 1, s[10:11]
	global_load_dwordx4 v[76:79], v[18:19], off
	s_nop 0
	global_load_dwordx4 v[72:75], v[72:73], off
	v_add_u32_e32 v18, 0x200, v248
	v_mov_b32_e32 v19, v235
	v_add_u32_e32 v96, 0x200, v246
	v_mov_b32_e32 v97, v235
	v_lshl_add_u64 v[18:19], v[18:19], 1, s[10:11]
	v_lshl_add_u64 v[96:97], v[96:97], 1, s[10:11]
	;; [unrolled: 9-line block ×5, first 2 shown]
	global_load_dwordx4 v[180:183], v[18:19], off
	s_nop 0
	global_load_dwordx4 v[176:179], v[176:177], off
	v_mov_b32_e32 v237, v228
	v_add_u32_e32 v228, 0x400, v230
	v_cmp_gt_u32_e64 s[4:5], s6, v228
	s_and_saveexec_b64 s[20:21], s[4:5]
	s_cbranch_execz .LBB21_15
; %bb.12:                               ;   in Loop: Header=BB21_9 Depth=2
	v_mov_b32_e32 v231, v229
	v_add_u32_e32 v4, 0x400, v234
	v_mov_b32_e32 v5, v235
	v_mov_b32_e32 v229, v235
	v_add_u32_e32 v24, 0x400, v254
	v_mov_b32_e32 v25, v235
	v_lshl_add_u64 v[4:5], v[4:5], 1, s[8:9]
	v_lshl_add_u64 v[18:19], v[228:229], 1, s[10:11]
	;; [unrolled: 1-line block ×3, first 2 shown]
	global_load_dwordx4 v[4:7], v[4:5], off nt
	s_nop 0
	global_load_dwordx4 v[28:31], v[18:19], off
	s_nop 0
	global_load_dwordx4 v[24:27], v[24:25], off
	v_add_u32_e32 v18, 0x400, v252
	v_mov_b32_e32 v19, v235
	v_add_u32_e32 v40, 0x400, v250
	v_mov_b32_e32 v41, v235
	v_lshl_add_u64 v[18:19], v[18:19], 1, s[10:11]
	v_lshl_add_u64 v[40:41], v[40:41], 1, s[10:11]
	global_load_dwordx4 v[44:47], v[18:19], off
	s_nop 0
	global_load_dwordx4 v[40:43], v[40:41], off
	v_add_u32_e32 v18, 0x400, v248
	v_mov_b32_e32 v19, v235
	v_add_u32_e32 v56, 0x400, v246
	v_mov_b32_e32 v57, v235
	v_lshl_add_u64 v[18:19], v[18:19], 1, s[10:11]
	v_lshl_add_u64 v[56:57], v[56:57], 1, s[10:11]
	;; [unrolled: 9-line block ×5, first 2 shown]
	global_load_dwordx4 v[140:143], v[18:19], off
	s_nop 0
	global_load_dwordx4 v[136:139], v[136:137], off
	v_add_u32_e32 v18, 0x600, v230
	v_cmp_gt_u32_e64 s[4:5], s6, v18
	s_and_saveexec_b64 s[22:23], s[4:5]
	s_cbranch_execz .LBB21_14
; %bb.13:                               ;   in Loop: Header=BB21_9 Depth=2
	v_add_u32_e32 v234, 0x600, v234
	v_lshl_add_u64 v[0:1], v[234:235], 1, s[8:9]
	v_mov_b32_e32 v19, v235
	v_add_u32_e32 v234, 0x600, v254
	v_lshl_add_u64 v[18:19], v[18:19], 1, s[10:11]
	v_lshl_add_u64 v[32:33], v[234:235], 1, s[10:11]
	v_add_u32_e32 v234, 0x600, v252
	global_load_dwordx4 v[0:3], v[0:1], off nt
	s_nop 0
	global_load_dwordx4 a[4:7], v[18:19], off
	global_load_dwordx4 a[0:3], v[32:33], off
	v_lshl_add_u64 v[18:19], v[234:235], 1, s[10:11]
	v_add_u32_e32 v234, 0x600, v250
	v_lshl_add_u64 v[32:33], v[234:235], 1, s[10:11]
	v_add_u32_e32 v234, 0x600, v248
	global_load_dwordx4 v[36:39], v[18:19], off
	s_nop 0
	global_load_dwordx4 v[32:35], v[32:33], off
	v_lshl_add_u64 v[18:19], v[234:235], 1, s[10:11]
	v_add_u32_e32 v234, 0x600, v246
	v_lshl_add_u64 v[64:65], v[234:235], 1, s[10:11]
	v_add_u32_e32 v234, 0x600, v244
	global_load_dwordx4 v[68:71], v[18:19], off
	s_nop 0
	;; [unrolled: 7-line block ×4, first 2 shown]
	global_load_dwordx4 v[160:163], v[160:161], off
	v_lshl_add_u64 v[18:19], v[234:235], 1, s[10:11]
	v_add_u32_e32 v234, 0x600, v16
	v_lshl_add_u64 v[16:17], v[234:235], 1, s[10:11]
	global_load_dwordx4 v[196:199], v[18:19], off
	global_load_dwordx4 v[192:195], v[16:17], off
.LBB21_14:                              ;   in Loop: Header=BB21_9 Depth=2
	s_or_b64 exec, exec, s[22:23]
	v_mov_b32_e32 v229, v231
.LBB21_15:                              ;   in Loop: Header=BB21_9 Depth=2
	s_or_b64 exec, exec, s[20:21]
	v_mov_b32_e32 v228, v237
.LBB21_16:                              ;   in Loop: Header=BB21_9 Depth=2
	s_or_b64 exec, exec, s[18:19]
.LBB21_17:                              ;   in Loop: Header=BB21_9 Depth=2
	s_or_b64 exec, exec, s[16:17]
	s_and_saveexec_b64 s[4:5], vcc
	s_cbranch_execz .LBB21_8
; %bb.18:                               ;   in Loop: Header=BB21_9 Depth=2
	s_waitcnt vmcnt(11)
	;;#ASMSTART
	v_dot2c_f32_f16 v22, v92, v12
	;;#ASMEND
	s_waitcnt vmcnt(10)
	;;#ASMSTART
	v_dot2c_f32_f16 v21, v88, v12
	;;#ASMEND
	;; [unrolled: 4-line block ×12, first 2 shown]
	v_cmp_gt_u32_e32 vcc, s6, v232
	;;#ASMSTART
	v_dot2c_f32_f16 v22, v93, v13
	;;#ASMEND
	;;#ASMSTART
	v_dot2c_f32_f16 v21, v89, v13
	;;#ASMEND
	;; [unrolled: 3-line block ×12, first 2 shown]
	s_nop 0
	;;#ASMSTART
	v_dot2c_f32_f16 v22, v94, v14
	;;#ASMEND
	;;#ASMSTART
	v_dot2c_f32_f16 v21, v90, v14
	;;#ASMEND
	;; [unrolled: 3-line block ×12, first 2 shown]
	s_nop 0
	;;#ASMSTART
	v_dot2c_f32_f16 v22, v95, v15
	;;#ASMEND
	;;#ASMSTART
	v_dot2c_f32_f16 v21, v91, v15
	;;#ASMEND
	;; [unrolled: 3-line block ×12, first 2 shown]
	s_and_saveexec_b64 s[16:17], vcc
	s_cbranch_execz .LBB21_7
; %bb.19:                               ;   in Loop: Header=BB21_9 Depth=2
	;;#ASMSTART
	v_dot2c_f32_f16 v22, v52, v8
	;;#ASMEND
	;;#ASMSTART
	v_dot2c_f32_f16 v21, v48, v8
	;;#ASMEND
	;; [unrolled: 3-line block ×12, first 2 shown]
	v_add_u32_e32 v16, 0x400, v230
	;;#ASMSTART
	v_dot2c_f32_f16 v22, v53, v9
	;;#ASMEND
	;;#ASMSTART
	v_dot2c_f32_f16 v21, v49, v9
	;;#ASMEND
	;; [unrolled: 3-line block ×12, first 2 shown]
	v_cmp_gt_u32_e32 vcc, s6, v16
	;;#ASMSTART
	v_dot2c_f32_f16 v22, v54, v10
	;;#ASMEND
	;;#ASMSTART
	v_dot2c_f32_f16 v21, v50, v10
	;;#ASMEND
	;; [unrolled: 3-line block ×12, first 2 shown]
	s_nop 0
	;;#ASMSTART
	v_dot2c_f32_f16 v22, v55, v11
	;;#ASMEND
	;;#ASMSTART
	v_dot2c_f32_f16 v21, v51, v11
	;;#ASMEND
	;;#ASMSTART
	v_dot2c_f32_f16 v20, v79, v11
	;;#ASMEND
	;;#ASMSTART
	v_dot2c_f32_f16 v217, v75, v11
	;;#ASMEND
	;;#ASMSTART
	v_dot2c_f32_f16 v215, v103, v11
	;;#ASMEND
	;;#ASMSTART
	v_dot2c_f32_f16 v213, v99, v11
	;;#ASMEND
	;;#ASMSTART
	v_dot2c_f32_f16 v211, v135, v11
	;;#ASMEND
	;;#ASMSTART
	v_dot2c_f32_f16 v227, v131, v11
	;;#ASMEND
	;;#ASMSTART
	v_dot2c_f32_f16 v225, v159, v11
	;;#ASMEND
	;;#ASMSTART
	v_dot2c_f32_f16 v223, v155, v11
	;;#ASMEND
	;;#ASMSTART
	v_dot2c_f32_f16 v221, v183, v11
	;;#ASMEND
	;;#ASMSTART
	v_dot2c_f32_f16 v219, v179, v11
	;;#ASMEND
	s_and_saveexec_b64 s[18:19], vcc
	s_cbranch_execz .LBB21_6
; %bb.20:                               ;   in Loop: Header=BB21_9 Depth=2
	;;#ASMSTART
	v_dot2c_f32_f16 v22, v28, v4
	;;#ASMEND
	;;#ASMSTART
	v_dot2c_f32_f16 v21, v24, v4
	;;#ASMEND
	;; [unrolled: 3-line block ×12, first 2 shown]
	v_add_u32_e32 v16, 0x600, v230
	;;#ASMSTART
	v_dot2c_f32_f16 v22, v29, v5
	;;#ASMEND
	;;#ASMSTART
	v_dot2c_f32_f16 v21, v25, v5
	;;#ASMEND
	;; [unrolled: 3-line block ×12, first 2 shown]
	v_cmp_gt_u32_e32 vcc, s6, v16
	;;#ASMSTART
	v_dot2c_f32_f16 v22, v30, v6
	;;#ASMEND
	;;#ASMSTART
	v_dot2c_f32_f16 v21, v26, v6
	;;#ASMEND
	;; [unrolled: 3-line block ×12, first 2 shown]
	s_nop 0
	;;#ASMSTART
	v_dot2c_f32_f16 v22, v31, v7
	;;#ASMEND
	;;#ASMSTART
	v_dot2c_f32_f16 v21, v27, v7
	;;#ASMEND
	;; [unrolled: 3-line block ×12, first 2 shown]
	s_and_saveexec_b64 s[20:21], vcc
	s_cbranch_execz .LBB21_5
; %bb.21:                               ;   in Loop: Header=BB21_9 Depth=2
	v_accvgpr_read_b32 v19, a7
	v_accvgpr_read_b32 v16, a4
	;;#ASMSTART
	v_dot2c_f32_f16 v22, v16, v0
	;;#ASMEND
	v_accvgpr_read_b32 v17, a5
	;;#ASMSTART
	v_dot2c_f32_f16 v22, v17, v1
	;;#ASMEND
	;; [unrolled: 4-line block ×3, first 2 shown]
	;;#ASMSTART
	v_dot2c_f32_f16 v20, v36, v0
	;;#ASMEND
	;;#ASMSTART
	v_dot2c_f32_f16 v217, v32, v0
	;;#ASMEND
	;; [unrolled: 3-line block ×10, first 2 shown]
	s_nop 0
	;;#ASMSTART
	v_dot2c_f32_f16 v22, v19, v3
	;;#ASMEND
	v_accvgpr_read_b32 v19, a3
	v_accvgpr_read_b32 v16, a0
	;;#ASMSTART
	v_dot2c_f32_f16 v21, v16, v0
	;;#ASMEND
	v_accvgpr_read_b32 v17, a1
	;;#ASMSTART
	v_dot2c_f32_f16 v21, v17, v1
	;;#ASMEND
	;;#ASMSTART
	v_dot2c_f32_f16 v20, v37, v1
	;;#ASMEND
	;;#ASMSTART
	v_dot2c_f32_f16 v217, v33, v1
	;;#ASMEND
	;;#ASMSTART
	v_dot2c_f32_f16 v215, v69, v1
	;;#ASMEND
	;;#ASMSTART
	v_dot2c_f32_f16 v213, v65, v1
	;;#ASMEND
	;;#ASMSTART
	v_dot2c_f32_f16 v211, v125, v1
	;;#ASMEND
	;;#ASMSTART
	v_dot2c_f32_f16 v227, v117, v1
	;;#ASMEND
	;;#ASMSTART
	v_dot2c_f32_f16 v225, v165, v1
	;;#ASMEND
	;;#ASMSTART
	v_dot2c_f32_f16 v223, v161, v1
	;;#ASMEND
	;;#ASMSTART
	v_dot2c_f32_f16 v221, v197, v1
	;;#ASMEND
	;;#ASMSTART
	v_dot2c_f32_f16 v219, v193, v1
	;;#ASMEND
	v_accvgpr_read_b32 v18, a2
	;;#ASMSTART
	v_dot2c_f32_f16 v21, v18, v2
	;;#ASMEND
	;;#ASMSTART
	v_dot2c_f32_f16 v20, v38, v2
	;;#ASMEND
	;; [unrolled: 3-line block ×11, first 2 shown]
	s_nop 0
	;;#ASMSTART
	v_dot2c_f32_f16 v21, v19, v3
	;;#ASMEND
	;;#ASMSTART
	v_dot2c_f32_f16 v20, v39, v3
	;;#ASMEND
	;; [unrolled: 3-line block ×11, first 2 shown]
	s_branch .LBB21_5
.LBB21_22:                              ;   in Loop: Header=BB21_3 Depth=1
	v_mov_b32_e32 v22, v235
	v_mov_b32_e32 v21, v235
	;; [unrolled: 1-line block ×12, first 2 shown]
.LBB21_23:                              ;   in Loop: Header=BB21_3 Depth=1
	;;#ASMSTART
	s_nop 0
	v_add_f32 v22, v22, v22 row_shr:8 bound_ctrl:0 
	;;#ASMEND
	;;#ASMSTART
	s_nop 0
	v_add_f32 v21, v21, v21 row_shr:8 bound_ctrl:0 
	;;#ASMEND
	;;#ASMSTART
	s_nop 0
	v_add_f32 v20, v20, v20 row_shr:8 bound_ctrl:0 
	;;#ASMEND
	;;#ASMSTART
	s_nop 0
	v_add_f32 v217, v217, v217 row_shr:8 bound_ctrl:0 
	;;#ASMEND
	;;#ASMSTART
	s_nop 0
	v_add_f32 v215, v215, v215 row_shr:8 bound_ctrl:0 
	;;#ASMEND
	;;#ASMSTART
	s_nop 0
	v_add_f32 v213, v213, v213 row_shr:8 bound_ctrl:0 
	;;#ASMEND
	;;#ASMSTART
	s_nop 0
	v_add_f32 v211, v211, v211 row_shr:8 bound_ctrl:0 
	;;#ASMEND
	;;#ASMSTART
	s_nop 0
	v_add_f32 v227, v227, v227 row_shr:8 bound_ctrl:0 
	;;#ASMEND
	;;#ASMSTART
	s_nop 0
	v_add_f32 v225, v225, v225 row_shr:8 bound_ctrl:0 
	;;#ASMEND
	;;#ASMSTART
	s_nop 0
	v_add_f32 v223, v223, v223 row_shr:8 bound_ctrl:0 
	;;#ASMEND
	;;#ASMSTART
	s_nop 0
	v_add_f32 v221, v221, v221 row_shr:8 bound_ctrl:0 
	;;#ASMEND
	;;#ASMSTART
	s_nop 0
	v_add_f32 v219, v219, v219 row_shr:8 bound_ctrl:0 
	;;#ASMEND
	s_nop 0
	;;#ASMSTART
	s_nop 0
	v_add_f32 v22, v22, v22 row_shr:4 bound_ctrl:0 
	;;#ASMEND
	;;#ASMSTART
	s_nop 0
	v_add_f32 v21, v21, v21 row_shr:4 bound_ctrl:0 
	;;#ASMEND
	;;#ASMSTART
	s_nop 0
	v_add_f32 v20, v20, v20 row_shr:4 bound_ctrl:0 
	;;#ASMEND
	;;#ASMSTART
	s_nop 0
	v_add_f32 v217, v217, v217 row_shr:4 bound_ctrl:0 
	;;#ASMEND
	;;#ASMSTART
	s_nop 0
	v_add_f32 v215, v215, v215 row_shr:4 bound_ctrl:0 
	;;#ASMEND
	;;#ASMSTART
	s_nop 0
	v_add_f32 v213, v213, v213 row_shr:4 bound_ctrl:0 
	;;#ASMEND
	;;#ASMSTART
	s_nop 0
	v_add_f32 v211, v211, v211 row_shr:4 bound_ctrl:0 
	;;#ASMEND
	;;#ASMSTART
	s_nop 0
	v_add_f32 v227, v227, v227 row_shr:4 bound_ctrl:0 
	;;#ASMEND
	;;#ASMSTART
	s_nop 0
	v_add_f32 v225, v225, v225 row_shr:4 bound_ctrl:0 
	;;#ASMEND
	;;#ASMSTART
	s_nop 0
	v_add_f32 v223, v223, v223 row_shr:4 bound_ctrl:0 
	;;#ASMEND
	;;#ASMSTART
	s_nop 0
	v_add_f32 v221, v221, v221 row_shr:4 bound_ctrl:0 
	;;#ASMEND
	;;#ASMSTART
	s_nop 0
	v_add_f32 v219, v219, v219 row_shr:4 bound_ctrl:0 
	;;#ASMEND
	s_nop 0
	;; [unrolled: 49-line block ×3, first 2 shown]
	;;#ASMSTART
	s_nop 0
	v_add_f32 v22, v22, v22 wave_shr:1 bound_ctrl:0
	;;#ASMEND
	;;#ASMSTART
	s_nop 0
	v_add_f32 v21, v21, v21 wave_shr:1 bound_ctrl:0
	;;#ASMEND
	;; [unrolled: 4-line block ×12, first 2 shown]
	s_nop 0
	;;#ASMSTART
	s_nop 0
	v_add_f32 v22, v22, v22 row_bcast:15 bound_ctrl:0
	;;#ASMEND
	;;#ASMSTART
	s_nop 0
	v_add_f32 v21, v21, v21 row_bcast:15 bound_ctrl:0
	;;#ASMEND
	;;#ASMSTART
	s_nop 0
	v_add_f32 v20, v20, v20 row_bcast:15 bound_ctrl:0
	;;#ASMEND
	;;#ASMSTART
	s_nop 0
	v_add_f32 v217, v217, v217 row_bcast:15 bound_ctrl:0
	;;#ASMEND
	;;#ASMSTART
	s_nop 0
	v_add_f32 v215, v215, v215 row_bcast:15 bound_ctrl:0
	;;#ASMEND
	;;#ASMSTART
	s_nop 0
	v_add_f32 v213, v213, v213 row_bcast:15 bound_ctrl:0
	;;#ASMEND
	;;#ASMSTART
	s_nop 0
	v_add_f32 v211, v211, v211 row_bcast:15 bound_ctrl:0
	;;#ASMEND
	;;#ASMSTART
	s_nop 0
	v_add_f32 v227, v227, v227 row_bcast:15 bound_ctrl:0
	;;#ASMEND
	;;#ASMSTART
	s_nop 0
	v_add_f32 v225, v225, v225 row_bcast:15 bound_ctrl:0
	;;#ASMEND
	;;#ASMSTART
	s_nop 0
	v_add_f32 v223, v223, v223 row_bcast:15 bound_ctrl:0
	;;#ASMEND
	;;#ASMSTART
	s_nop 0
	v_add_f32 v221, v221, v221 row_bcast:15 bound_ctrl:0
	;;#ASMEND
	;;#ASMSTART
	s_nop 0
	v_add_f32 v219, v219, v219 row_bcast:15 bound_ctrl:0
	;;#ASMEND
	s_nop 0
	;;#ASMSTART
	s_nop 0
	v_add_f32 v22, v22, v22 row_bcast:31 bound_ctrl:0
	;;#ASMEND
	;;#ASMSTART
	s_nop 0
	v_add_f32 v21, v21, v21 row_bcast:31 bound_ctrl:0
	;;#ASMEND
	;; [unrolled: 4-line block ×12, first 2 shown]
	s_and_saveexec_b64 s[4:5], s[0:1]
	s_cbranch_execz .LBB21_2
; %bb.24:                               ;   in Loop: Header=BB21_3 Depth=1
	v_cvt_f16_f32_e32 v18, v22
	v_cvt_f16_f32_e32 v19, v21
	v_mov_b32_e32 v22, v209
	v_mov_b32_e32 v209, v235
	s_waitcnt lgkmcnt(0)
	v_lshl_add_u64 v[16:17], v[208:209], 1, s[12:13]
	v_add_u32_e32 v234, s7, v208
	global_store_short v[16:17], v18, off
	v_lshl_add_u64 v[16:17], v[234:235], 1, s[12:13]
	v_cvt_f16_f32_e32 v18, v20
	global_store_short v[16:17], v19, off
	v_cvt_f16_f32_e32 v19, v217
	v_add_u32_e32 v234, s7, v234
	v_lshl_add_u64 v[16:17], v[234:235], 1, s[12:13]
	v_add_u32_e32 v234, s7, v234
	global_store_short v[16:17], v18, off
	v_lshl_add_u64 v[16:17], v[234:235], 1, s[12:13]
	v_cvt_f16_f32_e32 v18, v215
	global_store_short v[16:17], v19, off
	v_cvt_f16_f32_e32 v19, v213
	v_add_u32_e32 v234, s7, v234
	;; [unrolled: 8-line block ×5, first 2 shown]
	v_lshl_add_u64 v[16:17], v[234:235], 1, s[12:13]
	v_add_u32_e32 v234, s7, v234
	v_mov_b32_e32 v209, v22
	global_store_short v[16:17], v18, off
	v_lshl_add_u64 v[16:17], v[234:235], 1, s[12:13]
	global_store_short v[16:17], v19, off
	s_branch .LBB21_2
.LBB21_25:
	s_endpgm
	.section	.rodata,"a",@progbits
	.p2align	6, 0x0
	.amdhsa_kernel _ZN5aiter32wv_splitk_small_fp16_bf16_kernelI6__halfLi64ELi1ELi1ELi8ELi4ELi12EEEviiPKT_S4_PS2_ii
		.amdhsa_group_segment_fixed_size 0
		.amdhsa_private_segment_fixed_size 0
		.amdhsa_kernarg_size 40
		.amdhsa_user_sgpr_count 2
		.amdhsa_user_sgpr_dispatch_ptr 0
		.amdhsa_user_sgpr_queue_ptr 0
		.amdhsa_user_sgpr_kernarg_segment_ptr 1
		.amdhsa_user_sgpr_dispatch_id 0
		.amdhsa_user_sgpr_kernarg_preload_length 0
		.amdhsa_user_sgpr_kernarg_preload_offset 0
		.amdhsa_user_sgpr_private_segment_size 0
		.amdhsa_uses_dynamic_stack 0
		.amdhsa_enable_private_segment 0
		.amdhsa_system_sgpr_workgroup_id_x 1
		.amdhsa_system_sgpr_workgroup_id_y 0
		.amdhsa_system_sgpr_workgroup_id_z 0
		.amdhsa_system_sgpr_workgroup_info 0
		.amdhsa_system_vgpr_workitem_id 1
		.amdhsa_next_free_vgpr 264
		.amdhsa_next_free_sgpr 27
		.amdhsa_accum_offset 256
		.amdhsa_reserve_vcc 1
		.amdhsa_float_round_mode_32 0
		.amdhsa_float_round_mode_16_64 0
		.amdhsa_float_denorm_mode_32 3
		.amdhsa_float_denorm_mode_16_64 3
		.amdhsa_dx10_clamp 1
		.amdhsa_ieee_mode 1
		.amdhsa_fp16_overflow 0
		.amdhsa_tg_split 0
		.amdhsa_exception_fp_ieee_invalid_op 0
		.amdhsa_exception_fp_denorm_src 0
		.amdhsa_exception_fp_ieee_div_zero 0
		.amdhsa_exception_fp_ieee_overflow 0
		.amdhsa_exception_fp_ieee_underflow 0
		.amdhsa_exception_fp_ieee_inexact 0
		.amdhsa_exception_int_div_zero 0
	.end_amdhsa_kernel
	.section	.text._ZN5aiter32wv_splitk_small_fp16_bf16_kernelI6__halfLi64ELi1ELi1ELi8ELi4ELi12EEEviiPKT_S4_PS2_ii,"axG",@progbits,_ZN5aiter32wv_splitk_small_fp16_bf16_kernelI6__halfLi64ELi1ELi1ELi8ELi4ELi12EEEviiPKT_S4_PS2_ii,comdat
.Lfunc_end21:
	.size	_ZN5aiter32wv_splitk_small_fp16_bf16_kernelI6__halfLi64ELi1ELi1ELi8ELi4ELi12EEEviiPKT_S4_PS2_ii, .Lfunc_end21-_ZN5aiter32wv_splitk_small_fp16_bf16_kernelI6__halfLi64ELi1ELi1ELi8ELi4ELi12EEEviiPKT_S4_PS2_ii
                                        ; -- End function
	.section	.AMDGPU.csdata,"",@progbits
; Kernel info:
; codeLenInByte = 5144
; NumSgprs: 33
; NumVgprs: 256
; NumAgprs: 8
; TotalNumVgprs: 264
; ScratchSize: 0
; MemoryBound: 1
; FloatMode: 240
; IeeeMode: 1
; LDSByteSize: 0 bytes/workgroup (compile time only)
; SGPRBlocks: 4
; VGPRBlocks: 32
; NumSGPRsForWavesPerEU: 33
; NumVGPRsForWavesPerEU: 264
; AccumOffset: 256
; Occupancy: 1
; WaveLimiterHint : 0
; COMPUTE_PGM_RSRC2:SCRATCH_EN: 0
; COMPUTE_PGM_RSRC2:USER_SGPR: 2
; COMPUTE_PGM_RSRC2:TRAP_HANDLER: 0
; COMPUTE_PGM_RSRC2:TGID_X_EN: 1
; COMPUTE_PGM_RSRC2:TGID_Y_EN: 0
; COMPUTE_PGM_RSRC2:TGID_Z_EN: 0
; COMPUTE_PGM_RSRC2:TIDIG_COMP_CNT: 1
; COMPUTE_PGM_RSRC3_GFX90A:ACCUM_OFFSET: 63
; COMPUTE_PGM_RSRC3_GFX90A:TG_SPLIT: 0
	.section	.text._ZN5aiter32wv_splitk_small_fp16_bf16_kernelI6__halfLi64ELi1ELi1ELi8ELi4ELi13EEEviiPKT_S4_PS2_ii,"axG",@progbits,_ZN5aiter32wv_splitk_small_fp16_bf16_kernelI6__halfLi64ELi1ELi1ELi8ELi4ELi13EEEviiPKT_S4_PS2_ii,comdat
	.protected	_ZN5aiter32wv_splitk_small_fp16_bf16_kernelI6__halfLi64ELi1ELi1ELi8ELi4ELi13EEEviiPKT_S4_PS2_ii ; -- Begin function _ZN5aiter32wv_splitk_small_fp16_bf16_kernelI6__halfLi64ELi1ELi1ELi8ELi4ELi13EEEviiPKT_S4_PS2_ii
	.globl	_ZN5aiter32wv_splitk_small_fp16_bf16_kernelI6__halfLi64ELi1ELi1ELi8ELi4ELi13EEEviiPKT_S4_PS2_ii
	.p2align	8
	.type	_ZN5aiter32wv_splitk_small_fp16_bf16_kernelI6__halfLi64ELi1ELi1ELi8ELi4ELi13EEEviiPKT_S4_PS2_ii,@function
_ZN5aiter32wv_splitk_small_fp16_bf16_kernelI6__halfLi64ELi1ELi1ELi8ELi4ELi13EEEviiPKT_S4_PS2_ii: ; @_ZN5aiter32wv_splitk_small_fp16_bf16_kernelI6__halfLi64ELi1ELi1ELi8ELi4ELi13EEEviiPKT_S4_PS2_ii
; %bb.0:
	s_load_dwordx2 s[4:5], s[0:1], 0x20
	s_load_dwordx2 s[6:7], s[0:1], 0x0
	v_bfe_u32 v1, v0, 10, 10
	s_waitcnt lgkmcnt(0)
	s_mul_i32 s2, s2, s4
	v_add_u32_e32 v224, s2, v1
	v_cmp_gt_u32_e32 vcc, s7, v224
	s_and_saveexec_b64 s[2:3], vcc
	s_cbranch_execz .LBB22_25
; %bb.1:
	v_and_b32_e32 v0, 0x3ff, v0
	s_load_dwordx4 s[8:11], s[0:1], 0x8
	s_load_dwordx2 s[12:13], s[0:1], 0x18
	v_lshlrev_b32_e32 v226, 3, v0
	s_cmp_lg_u32 s6, 0
	v_mad_u64_u32 v[228:229], s[2:3], s6, v224, v[226:227]
	v_mad_u64_u32 v[230:231], s[2:3], s6, 3, v[226:227]
	;; [unrolled: 1-line block ×9, first 2 shown]
	s_cselect_b64 s[2:3], -1, 0
	v_cmp_eq_u32_e64 s[0:1], 63, v0
	s_mul_i32 s24, s5, s4
	v_cndmask_b32_e64 v0, 0, 1, s[2:3]
	s_mul_i32 s25, s24, s6
	v_lshl_add_u32 v115, s6, 1, v226
	v_lshl_add_u32 v225, s6, 2, v226
	;; [unrolled: 1-line block ×3, first 2 shown]
	v_add_u32_e32 v246, s6, v226
	s_mov_b64 s[14:15], 0
	v_cmp_ne_u32_e64 s[2:3], 1, v0
	v_mov_b32_e32 v253, 0
                                        ; implicit-def: $vgpr0_vgpr1_vgpr2_vgpr3
                                        ; implicit-def: $vgpr4_vgpr5_vgpr6_vgpr7
                                        ; implicit-def: $vgpr8_vgpr9_vgpr10_vgpr11
                                        ; implicit-def: $vgpr12_vgpr13_vgpr14_vgpr15
                                        ; implicit-def: $vgpr218_vgpr219
                                        ; implicit-def: $vgpr202_vgpr203
                                        ; implicit-def: $vgpr206_vgpr207
                                        ; implicit-def: $vgpr166_vgpr167
                                        ; implicit-def: $vgpr170_vgpr171
                                        ; implicit-def: $agpr26_agpr27
                                        ; implicit-def: $vgpr118_vgpr119
                                        ; implicit-def: $agpr18_agpr19
                                        ; implicit-def: $agpr22_agpr23
                                        ; implicit-def: $agpr10_agpr11
                                        ; implicit-def: $agpr14_agpr15
                                        ; implicit-def: $agpr2_agpr3
                                        ; implicit-def: $agpr6_agpr7
                                        ; implicit-def: $vgpr150_vgpr151
                                        ; implicit-def: $vgpr138_vgpr139
                                        ; implicit-def: $vgpr142_vgpr143
                                        ; implicit-def: $vgpr106_vgpr107
                                        ; implicit-def: $vgpr110_vgpr111
                                        ; implicit-def: $vgpr82_vgpr83
                                        ; implicit-def: $vgpr86_vgpr87
                                        ; implicit-def: $vgpr58_vgpr59
                                        ; implicit-def: $vgpr62_vgpr63
                                        ; implicit-def: $vgpr42_vgpr43
                                        ; implicit-def: $vgpr46_vgpr47
                                        ; implicit-def: $vgpr26_vgpr27
                                        ; implicit-def: $vgpr30_vgpr31
                                        ; implicit-def: $vgpr190_vgpr191
                                        ; implicit-def: $vgpr182_vgpr183
                                        ; implicit-def: $vgpr186_vgpr187
                                        ; implicit-def: $vgpr158_vgpr159
                                        ; implicit-def: $vgpr162_vgpr163
                                        ; implicit-def: $vgpr130_vgpr131
                                        ; implicit-def: $vgpr134_vgpr135
                                        ; implicit-def: $vgpr98_vgpr99
                                        ; implicit-def: $vgpr102_vgpr103
                                        ; implicit-def: $vgpr74_vgpr75
                                        ; implicit-def: $vgpr78_vgpr79
                                        ; implicit-def: $vgpr50_vgpr51
                                        ; implicit-def: $vgpr54_vgpr55
                                        ; implicit-def: $vgpr222_vgpr223
                                        ; implicit-def: $vgpr210_vgpr211
                                        ; implicit-def: $vgpr214_vgpr215
                                        ; implicit-def: $vgpr194_vgpr195
                                        ; implicit-def: $vgpr198_vgpr199
                                        ; implicit-def: $vgpr174_vgpr175
                                        ; implicit-def: $vgpr178_vgpr179
                                        ; implicit-def: $vgpr146_vgpr147
                                        ; implicit-def: $vgpr154_vgpr155
                                        ; implicit-def: $vgpr122_vgpr123
                                        ; implicit-def: $vgpr126_vgpr127
                                        ; implicit-def: $vgpr90_vgpr91
                                        ; implicit-def: $vgpr94_vgpr95
	s_branch .LBB22_3
.LBB22_2:                               ;   in Loop: Header=BB22_3 Depth=1
	s_or_b64 exec, exec, s[4:5]
	v_add_u32_e32 v224, s24, v224
	v_cmp_le_u32_e32 vcc, s7, v224
	s_or_b64 s[14:15], vcc, s[14:15]
	v_add_u32_e32 v228, s25, v228
	s_andn2_b64 exec, exec, s[14:15]
	s_cbranch_execz .LBB22_25
.LBB22_3:                               ; =>This Loop Header: Depth=1
                                        ;     Child Loop BB22_9 Depth 2
	s_and_b64 vcc, exec, s[2:3]
	s_mov_b32 s26, 0
	s_cbranch_vccnz .LBB22_22
; %bb.4:                                ;   in Loop: Header=BB22_3 Depth=1
	v_mov_b32_e32 v235, 0
	v_mov_b32_e32 v237, 0
	;; [unrolled: 1-line block ×13, first 2 shown]
	s_branch .LBB22_9
.LBB22_5:                               ;   in Loop: Header=BB22_9 Depth=2
	s_or_b64 exec, exec, s[20:21]
.LBB22_6:                               ;   in Loop: Header=BB22_9 Depth=2
	s_or_b64 exec, exec, s[18:19]
.LBB22_7:                               ;   in Loop: Header=BB22_9 Depth=2
	s_or_b64 exec, exec, s[16:17]
.LBB22_8:                               ;   in Loop: Header=BB22_9 Depth=2
	s_or_b64 exec, exec, s[4:5]
	s_addk_i32 s26, 0x800
	s_cmp_ge_u32 s26, s6
	s_cbranch_scc1 .LBB22_23
.LBB22_9:                               ;   Parent Loop BB22_3 Depth=1
                                        ; =>  This Inner Loop Header: Depth=2
	v_add_u32_e32 v248, s26, v226
	v_cmp_gt_u32_e32 vcc, s6, v248
	v_add_u32_e32 v250, 0x200, v248
	s_and_saveexec_b64 s[16:17], vcc
	s_cbranch_execz .LBB22_17
; %bb.10:                               ;   in Loop: Header=BB22_9 Depth=2
	v_add_u32_e32 v252, s26, v228
	v_mov_b32_e32 v249, v253
	v_add_u32_e32 v66, s26, v246
	v_mov_b32_e32 v67, v253
	s_waitcnt vmcnt(13) lgkmcnt(0)
	v_lshl_add_u64 v[12:13], v[252:253], 1, s[8:9]
	v_lshl_add_u64 v[16:17], v[248:249], 1, s[10:11]
	;; [unrolled: 1-line block ×3, first 2 shown]
	v_add_u32_e32 v64, s26, v115
	v_mov_b32_e32 v65, v253
	v_add_u32_e32 v38, s26, v230
	v_mov_b32_e32 v39, v253
	global_load_dwordx4 v[12:15], v[12:13], off nt
	s_nop 0
	global_load_dwordx4 v[92:95], v[16:17], off
	global_load_dwordx4 v[88:91], v[18:19], off
	v_lshl_add_u64 v[16:17], v[64:65], 1, s[10:11]
	v_lshl_add_u64 v[18:19], v[38:39], 1, s[10:11]
	v_add_u32_e32 v36, s26, v225
	v_mov_b32_e32 v37, v253
	v_add_u32_e32 v34, s26, v232
	v_mov_b32_e32 v35, v253
	global_load_dwordx4 v[124:127], v[16:17], off
	global_load_dwordx4 v[120:123], v[18:19], off
	v_lshl_add_u64 v[16:17], v[36:37], 1, s[10:11]
	v_lshl_add_u64 v[18:19], v[34:35], 1, s[10:11]
	v_add_u32_e32 v32, s26, v234
	v_mov_b32_e32 v33, v253
	v_add_u32_e32 v22, s26, v236
	v_mov_b32_e32 v23, v253
	global_load_dwordx4 v[152:155], v[16:17], off
	global_load_dwordx4 v[144:147], v[18:19], off
	v_lshl_add_u64 v[16:17], v[32:33], 1, s[10:11]
	v_lshl_add_u64 v[18:19], v[22:23], 1, s[10:11]
	v_add_u32_e32 v20, s26, v247
	v_mov_b32_e32 v21, v253
	global_load_dwordx4 v[176:179], v[16:17], off
	global_load_dwordx4 v[172:175], v[18:19], off
	v_lshl_add_u64 v[16:17], v[20:21], 1, s[10:11]
	v_add_u32_e32 v18, s26, v238
	v_mov_b32_e32 v19, v253
	v_lshl_add_u64 v[68:69], v[18:19], 1, s[10:11]
	global_load_dwordx4 v[196:199], v[16:17], off
	global_load_dwordx4 v[192:195], v[68:69], off
	v_add_u32_e32 v16, s26, v240
	v_mov_b32_e32 v17, v253
	v_lshl_add_u64 v[68:69], v[16:17], 1, s[10:11]
	v_add_u32_e32 v254, s26, v242
	v_mov_b32_e32 v255, v253
	v_lshl_add_u64 v[70:71], v[254:255], 1, s[10:11]
	global_load_dwordx4 v[212:215], v[68:69], off
	global_load_dwordx4 v[208:211], v[70:71], off
	v_add_u32_e32 v68, s26, v244
	v_mov_b32_e32 v69, v253
	v_lshl_add_u64 v[70:71], v[68:69], 1, s[10:11]
	global_load_dwordx4 v[220:223], v[70:71], off
	v_cmp_gt_u32_e64 s[4:5], s6, v250
	s_and_saveexec_b64 s[18:19], s[4:5]
	s_cbranch_execz .LBB22_16
; %bb.11:                               ;   in Loop: Header=BB22_9 Depth=2
	v_add_u32_e32 v8, 0x200, v252
	v_mov_b32_e32 v9, v253
	v_mov_b32_e32 v251, v253
	s_waitcnt vmcnt(25)
	v_add_u32_e32 v50, 0x200, v66
	v_mov_b32_e32 v51, v253
	v_add_u32_e32 v70, 0x200, v64
	v_mov_b32_e32 v71, v253
	s_waitcnt vmcnt(23)
	v_add_u32_e32 v72, 0x200, v38
	v_mov_b32_e32 v73, v253
	v_lshl_add_u64 v[8:9], v[8:9], 1, s[8:9]
	v_lshl_add_u64 v[48:49], v[250:251], 1, s[10:11]
	;; [unrolled: 1-line block ×5, first 2 shown]
	global_load_dwordx4 v[8:11], v[8:9], off nt
	s_nop 0
	global_load_dwordx4 v[52:55], v[48:49], off
	s_nop 0
	global_load_dwordx4 v[48:51], v[50:51], off
	;; [unrolled: 2-line block ×4, first 2 shown]
	v_add_u32_e32 v70, 0x200, v36
	v_mov_b32_e32 v71, v253
	s_waitcnt vmcnt(26)
	v_add_u32_e32 v96, 0x200, v34
	v_mov_b32_e32 v97, v253
	v_lshl_add_u64 v[70:71], v[70:71], 1, s[10:11]
	v_lshl_add_u64 v[96:97], v[96:97], 1, s[10:11]
	global_load_dwordx4 v[100:103], v[70:71], off
	s_nop 0
	global_load_dwordx4 v[96:99], v[96:97], off
	v_add_u32_e32 v70, 0x200, v32
	v_mov_b32_e32 v71, v253
	s_waitcnt vmcnt(26)
	v_add_u32_e32 v128, 0x200, v22
	v_mov_b32_e32 v129, v253
	v_lshl_add_u64 v[70:71], v[70:71], 1, s[10:11]
	v_lshl_add_u64 v[128:129], v[128:129], 1, s[10:11]
	global_load_dwordx4 v[132:135], v[70:71], off
	s_nop 0
	global_load_dwordx4 v[128:131], v[128:129], off
	;; [unrolled: 10-line block ×4, first 2 shown]
	v_add_u32_e32 v70, 0x200, v68
	v_mov_b32_e32 v71, v253
	v_lshl_add_u64 v[70:71], v[70:71], 1, s[10:11]
	global_load_dwordx4 v[188:191], v[70:71], off
	v_mov_b32_e32 v249, v246
	v_add_u32_e32 v246, 0x400, v248
	v_cmp_gt_u32_e64 s[4:5], s6, v246
	s_and_saveexec_b64 s[20:21], s[4:5]
	s_cbranch_execz .LBB22_15
; %bb.12:                               ;   in Loop: Header=BB22_9 Depth=2
	v_mov_b32_e32 v69, v247
	v_add_u32_e32 v4, 0x400, v252
	v_mov_b32_e32 v5, v253
	v_mov_b32_e32 v247, v253
	v_add_u32_e32 v26, 0x400, v66
	v_mov_b32_e32 v27, v253
	v_add_u32_e32 v40, 0x400, v64
	;; [unrolled: 2-line block ×7, first 2 shown]
	v_mov_b32_e32 v81, v253
	v_lshl_add_u64 v[4:5], v[4:5], 1, s[8:9]
	v_lshl_add_u64 v[24:25], v[246:247], 1, s[10:11]
	;; [unrolled: 1-line block ×9, first 2 shown]
	global_load_dwordx4 v[4:7], v[4:5], off nt
	s_nop 0
	global_load_dwordx4 v[28:31], v[24:25], off
	s_nop 0
	global_load_dwordx4 v[24:27], v[26:27], off
	;; [unrolled: 2-line block ×8, first 2 shown]
	v_add_u32_e32 v70, 0x400, v20
	v_mov_b32_e32 v71, v253
	v_add_u32_e32 v104, 0x400, v18
	v_mov_b32_e32 v105, v253
	v_lshl_add_u64 v[70:71], v[70:71], 1, s[10:11]
	v_lshl_add_u64 v[104:105], v[104:105], 1, s[10:11]
	global_load_dwordx4 v[108:111], v[70:71], off
	s_nop 0
	global_load_dwordx4 v[104:107], v[104:105], off
	v_add_u32_e32 v70, 0x400, v16
	v_mov_b32_e32 v71, v253
	v_add_u32_e32 v136, 0x400, v254
	v_mov_b32_e32 v137, v253
	v_lshl_add_u64 v[70:71], v[70:71], 1, s[10:11]
	v_lshl_add_u64 v[136:137], v[136:137], 1, s[10:11]
	global_load_dwordx4 v[140:143], v[70:71], off
	s_nop 0
	global_load_dwordx4 v[136:139], v[136:137], off
	v_add_u32_e32 v70, 0x400, v68
	v_mov_b32_e32 v71, v253
	v_lshl_add_u64 v[70:71], v[70:71], 1, s[10:11]
	global_load_dwordx4 v[148:151], v[70:71], off
	v_add_u32_e32 v70, 0x600, v248
	v_cmp_gt_u32_e64 s[4:5], s6, v70
	s_and_saveexec_b64 s[22:23], s[4:5]
	s_cbranch_execz .LBB22_14
; %bb.13:                               ;   in Loop: Header=BB22_9 Depth=2
	v_add_u32_e32 v252, 0x600, v252
	v_lshl_add_u64 v[0:1], v[252:253], 1, s[8:9]
	v_add_u32_e32 v252, 0x600, v66
	v_lshl_add_u64 v[66:67], v[252:253], 1, s[10:11]
	;; [unrolled: 2-line block ×9, first 2 shown]
	v_add_u32_e32 v252, 0x600, v18
	v_mov_b32_e32 v71, v253
	v_lshl_add_u64 v[18:19], v[252:253], 1, s[10:11]
	v_add_u32_e32 v252, 0x600, v16
	v_lshl_add_u64 v[70:71], v[70:71], 1, s[10:11]
	v_lshl_add_u64 v[16:17], v[252:253], 1, s[10:11]
	v_add_u32_e32 v252, 0x600, v254
	global_load_dwordx4 v[0:3], v[0:1], off nt
	s_nop 0
	global_load_dwordx4 a[4:7], v[70:71], off
	global_load_dwordx4 a[0:3], v[66:67], off
	;; [unrolled: 1-line block ×10, first 2 shown]
	v_lshl_add_u64 v[18:19], v[252:253], 1, s[10:11]
	v_add_u32_e32 v252, 0x600, v68
	global_load_dwordx4 v[204:207], v[16:17], off
	global_load_dwordx4 v[200:203], v[18:19], off
	v_lshl_add_u64 v[16:17], v[252:253], 1, s[10:11]
	global_load_dwordx4 v[216:219], v[16:17], off
.LBB22_14:                              ;   in Loop: Header=BB22_9 Depth=2
	s_or_b64 exec, exec, s[22:23]
	v_mov_b32_e32 v247, v69
.LBB22_15:                              ;   in Loop: Header=BB22_9 Depth=2
	s_or_b64 exec, exec, s[20:21]
	v_mov_b32_e32 v246, v249
.LBB22_16:                              ;   in Loop: Header=BB22_9 Depth=2
	s_or_b64 exec, exec, s[18:19]
.LBB22_17:                              ;   in Loop: Header=BB22_9 Depth=2
	s_or_b64 exec, exec, s[16:17]
	s_and_saveexec_b64 s[4:5], vcc
	s_cbranch_execz .LBB22_8
; %bb.18:                               ;   in Loop: Header=BB22_9 Depth=2
	s_waitcnt vmcnt(12)
	;;#ASMSTART
	v_dot2c_f32_f16 v114, v92, v12
	;;#ASMEND
	s_waitcnt vmcnt(11)
	;;#ASMSTART
	v_dot2c_f32_f16 v113, v88, v12
	;;#ASMEND
	;; [unrolled: 4-line block ×13, first 2 shown]
	v_cmp_gt_u32_e32 vcc, s6, v250
	;;#ASMSTART
	v_dot2c_f32_f16 v114, v93, v13
	;;#ASMEND
	;;#ASMSTART
	v_dot2c_f32_f16 v113, v89, v13
	;;#ASMEND
	;; [unrolled: 3-line block ×13, first 2 shown]
	s_nop 0
	;;#ASMSTART
	v_dot2c_f32_f16 v114, v94, v14
	;;#ASMEND
	;;#ASMSTART
	v_dot2c_f32_f16 v113, v90, v14
	;;#ASMEND
	;; [unrolled: 3-line block ×13, first 2 shown]
	s_nop 0
	;;#ASMSTART
	v_dot2c_f32_f16 v114, v95, v15
	;;#ASMEND
	;;#ASMSTART
	v_dot2c_f32_f16 v113, v91, v15
	;;#ASMEND
	;;#ASMSTART
	v_dot2c_f32_f16 v112, v127, v15
	;;#ASMEND
	;;#ASMSTART
	v_dot2c_f32_f16 v233, v123, v15
	;;#ASMEND
	;;#ASMSTART
	v_dot2c_f32_f16 v231, v155, v15
	;;#ASMEND
	;;#ASMSTART
	v_dot2c_f32_f16 v229, v147, v15
	;;#ASMEND
	;;#ASMSTART
	v_dot2c_f32_f16 v227, v179, v15
	;;#ASMEND
	;;#ASMSTART
	v_dot2c_f32_f16 v245, v175, v15
	;;#ASMEND
	;;#ASMSTART
	v_dot2c_f32_f16 v243, v199, v15
	;;#ASMEND
	;;#ASMSTART
	v_dot2c_f32_f16 v241, v195, v15
	;;#ASMEND
	;;#ASMSTART
	v_dot2c_f32_f16 v239, v215, v15
	;;#ASMEND
	;;#ASMSTART
	v_dot2c_f32_f16 v237, v211, v15
	;;#ASMEND
	;;#ASMSTART
	v_dot2c_f32_f16 v235, v223, v15
	;;#ASMEND
	s_and_saveexec_b64 s[16:17], vcc
	s_cbranch_execz .LBB22_7
; %bb.19:                               ;   in Loop: Header=BB22_9 Depth=2
	;;#ASMSTART
	v_dot2c_f32_f16 v114, v52, v8
	;;#ASMEND
	;;#ASMSTART
	v_dot2c_f32_f16 v113, v48, v8
	;;#ASMEND
	;; [unrolled: 3-line block ×13, first 2 shown]
	v_add_u32_e32 v16, 0x400, v248
	;;#ASMSTART
	v_dot2c_f32_f16 v114, v53, v9
	;;#ASMEND
	;;#ASMSTART
	v_dot2c_f32_f16 v113, v49, v9
	;;#ASMEND
	;; [unrolled: 3-line block ×13, first 2 shown]
	v_cmp_gt_u32_e32 vcc, s6, v16
	;;#ASMSTART
	v_dot2c_f32_f16 v114, v54, v10
	;;#ASMEND
	;;#ASMSTART
	v_dot2c_f32_f16 v113, v50, v10
	;;#ASMEND
	;; [unrolled: 3-line block ×13, first 2 shown]
	s_nop 0
	;;#ASMSTART
	v_dot2c_f32_f16 v114, v55, v11
	;;#ASMEND
	;;#ASMSTART
	v_dot2c_f32_f16 v113, v51, v11
	;;#ASMEND
	;; [unrolled: 3-line block ×13, first 2 shown]
	s_and_saveexec_b64 s[18:19], vcc
	s_cbranch_execz .LBB22_6
; %bb.20:                               ;   in Loop: Header=BB22_9 Depth=2
	;;#ASMSTART
	v_dot2c_f32_f16 v114, v28, v4
	;;#ASMEND
	;;#ASMSTART
	v_dot2c_f32_f16 v113, v24, v4
	;;#ASMEND
	;; [unrolled: 3-line block ×13, first 2 shown]
	v_add_u32_e32 v16, 0x600, v248
	;;#ASMSTART
	v_dot2c_f32_f16 v114, v29, v5
	;;#ASMEND
	;;#ASMSTART
	v_dot2c_f32_f16 v113, v25, v5
	;;#ASMEND
	;; [unrolled: 3-line block ×13, first 2 shown]
	v_cmp_gt_u32_e32 vcc, s6, v16
	;;#ASMSTART
	v_dot2c_f32_f16 v114, v30, v6
	;;#ASMEND
	;;#ASMSTART
	v_dot2c_f32_f16 v113, v26, v6
	;;#ASMEND
	;;#ASMSTART
	v_dot2c_f32_f16 v112, v46, v6
	;;#ASMEND
	;;#ASMSTART
	v_dot2c_f32_f16 v233, v42, v6
	;;#ASMEND
	;;#ASMSTART
	v_dot2c_f32_f16 v231, v62, v6
	;;#ASMEND
	;;#ASMSTART
	v_dot2c_f32_f16 v229, v58, v6
	;;#ASMEND
	;;#ASMSTART
	v_dot2c_f32_f16 v227, v86, v6
	;;#ASMEND
	;;#ASMSTART
	v_dot2c_f32_f16 v245, v82, v6
	;;#ASMEND
	;;#ASMSTART
	v_dot2c_f32_f16 v243, v110, v6
	;;#ASMEND
	;;#ASMSTART
	v_dot2c_f32_f16 v241, v106, v6
	;;#ASMEND
	;;#ASMSTART
	v_dot2c_f32_f16 v239, v142, v6
	;;#ASMEND
	;;#ASMSTART
	v_dot2c_f32_f16 v237, v138, v6
	;;#ASMEND
	;;#ASMSTART
	v_dot2c_f32_f16 v235, v150, v6
	;;#ASMEND
	s_nop 0
	;;#ASMSTART
	v_dot2c_f32_f16 v114, v31, v7
	;;#ASMEND
	;;#ASMSTART
	v_dot2c_f32_f16 v113, v27, v7
	;;#ASMEND
	;; [unrolled: 3-line block ×13, first 2 shown]
	s_and_saveexec_b64 s[20:21], vcc
	s_cbranch_execz .LBB22_5
; %bb.21:                               ;   in Loop: Header=BB22_9 Depth=2
	v_accvgpr_read_b32 v19, a7
	v_accvgpr_read_b32 v16, a4
	;;#ASMSTART
	v_dot2c_f32_f16 v114, v16, v0
	;;#ASMEND
	v_accvgpr_read_b32 v17, a5
	;;#ASMSTART
	v_dot2c_f32_f16 v114, v17, v1
	;;#ASMEND
	v_accvgpr_read_b32 v18, a6
	;;#ASMSTART
	v_dot2c_f32_f16 v114, v18, v2
	;;#ASMEND
	;;#ASMSTART
	v_dot2c_f32_f16 v227, v116, v0
	;;#ASMEND
	;;#ASMSTART
	v_dot2c_f32_f16 v243, v168, v0
	;;#ASMEND
	;;#ASMSTART
	v_dot2c_f32_f16 v241, v164, v0
	;;#ASMEND
	;;#ASMSTART
	v_dot2c_f32_f16 v239, v204, v0
	;;#ASMEND
	;;#ASMSTART
	v_dot2c_f32_f16 v237, v200, v0
	;;#ASMEND
	;;#ASMSTART
	v_dot2c_f32_f16 v235, v216, v0
	;;#ASMEND
	s_nop 0
	;;#ASMSTART
	v_dot2c_f32_f16 v114, v19, v3
	;;#ASMEND
	v_accvgpr_read_b32 v19, a3
	v_accvgpr_read_b32 v16, a0
	;;#ASMSTART
	v_dot2c_f32_f16 v113, v16, v0
	;;#ASMEND
	v_accvgpr_read_b32 v17, a1
	;;#ASMSTART
	v_dot2c_f32_f16 v113, v17, v1
	;;#ASMEND
	v_accvgpr_read_b32 v18, a2
	;;#ASMSTART
	v_dot2c_f32_f16 v113, v18, v2
	;;#ASMEND
	;;#ASMSTART
	v_dot2c_f32_f16 v227, v117, v1
	;;#ASMEND
	;;#ASMSTART
	v_dot2c_f32_f16 v243, v169, v1
	;;#ASMEND
	;;#ASMSTART
	v_dot2c_f32_f16 v241, v165, v1
	;;#ASMEND
	;;#ASMSTART
	v_dot2c_f32_f16 v239, v205, v1
	;;#ASMEND
	;;#ASMSTART
	v_dot2c_f32_f16 v237, v201, v1
	;;#ASMEND
	;;#ASMSTART
	v_dot2c_f32_f16 v235, v217, v1
	;;#ASMEND
	s_nop 0
	;;#ASMSTART
	v_dot2c_f32_f16 v113, v19, v3
	;;#ASMEND
	;; [unrolled: 35-line block ×4, first 2 shown]
	v_accvgpr_read_b32 v16, a20
	;;#ASMSTART
	v_dot2c_f32_f16 v231, v16, v0
	;;#ASMEND
	v_accvgpr_read_b32 v17, a21
	;;#ASMSTART
	v_dot2c_f32_f16 v231, v17, v1
	;;#ASMEND
	v_accvgpr_read_b32 v18, a22
	v_accvgpr_read_b32 v19, a23
	;;#ASMSTART
	v_dot2c_f32_f16 v231, v18, v2
	;;#ASMEND
	s_nop 0
	;;#ASMSTART
	v_dot2c_f32_f16 v231, v19, v3
	;;#ASMEND
	v_accvgpr_read_b32 v16, a16
	;;#ASMSTART
	v_dot2c_f32_f16 v229, v16, v0
	;;#ASMEND
	v_accvgpr_read_b32 v17, a17
	;; [unrolled: 4-line block ×3, first 2 shown]
	v_accvgpr_read_b32 v19, a19
	;;#ASMSTART
	v_dot2c_f32_f16 v229, v18, v2
	;;#ASMEND
	s_nop 0
	;;#ASMSTART
	v_dot2c_f32_f16 v229, v19, v3
	;;#ASMEND
	v_accvgpr_read_b32 v16, a24
	;;#ASMSTART
	v_dot2c_f32_f16 v245, v16, v0
	;;#ASMEND
	v_accvgpr_read_b32 v17, a25
	;; [unrolled: 4-line block ×4, first 2 shown]
	;;#ASMSTART
	v_dot2c_f32_f16 v245, v19, v3
	;;#ASMEND
	s_branch .LBB22_5
.LBB22_22:                              ;   in Loop: Header=BB22_3 Depth=1
	v_mov_b32_e32 v114, v253
	v_mov_b32_e32 v113, v253
	;; [unrolled: 1-line block ×13, first 2 shown]
.LBB22_23:                              ;   in Loop: Header=BB22_3 Depth=1
	;;#ASMSTART
	s_nop 0
	v_add_f32 v114, v114, v114 row_shr:8 bound_ctrl:0 
	;;#ASMEND
	;;#ASMSTART
	s_nop 0
	v_add_f32 v113, v113, v113 row_shr:8 bound_ctrl:0 
	;;#ASMEND
	;;#ASMSTART
	s_nop 0
	v_add_f32 v112, v112, v112 row_shr:8 bound_ctrl:0 
	;;#ASMEND
	;;#ASMSTART
	s_nop 0
	v_add_f32 v233, v233, v233 row_shr:8 bound_ctrl:0 
	;;#ASMEND
	;;#ASMSTART
	s_nop 0
	v_add_f32 v231, v231, v231 row_shr:8 bound_ctrl:0 
	;;#ASMEND
	;;#ASMSTART
	s_nop 0
	v_add_f32 v229, v229, v229 row_shr:8 bound_ctrl:0 
	;;#ASMEND
	;;#ASMSTART
	s_nop 0
	v_add_f32 v227, v227, v227 row_shr:8 bound_ctrl:0 
	;;#ASMEND
	;;#ASMSTART
	s_nop 0
	v_add_f32 v245, v245, v245 row_shr:8 bound_ctrl:0 
	;;#ASMEND
	;;#ASMSTART
	s_nop 0
	v_add_f32 v243, v243, v243 row_shr:8 bound_ctrl:0 
	;;#ASMEND
	;;#ASMSTART
	s_nop 0
	v_add_f32 v241, v241, v241 row_shr:8 bound_ctrl:0 
	;;#ASMEND
	;;#ASMSTART
	s_nop 0
	v_add_f32 v239, v239, v239 row_shr:8 bound_ctrl:0 
	;;#ASMEND
	;;#ASMSTART
	s_nop 0
	v_add_f32 v237, v237, v237 row_shr:8 bound_ctrl:0 
	;;#ASMEND
	;;#ASMSTART
	s_nop 0
	v_add_f32 v235, v235, v235 row_shr:8 bound_ctrl:0 
	;;#ASMEND
	s_nop 0
	;;#ASMSTART
	s_nop 0
	v_add_f32 v114, v114, v114 row_shr:4 bound_ctrl:0 
	;;#ASMEND
	;;#ASMSTART
	s_nop 0
	v_add_f32 v113, v113, v113 row_shr:4 bound_ctrl:0 
	;;#ASMEND
	;;#ASMSTART
	s_nop 0
	v_add_f32 v112, v112, v112 row_shr:4 bound_ctrl:0 
	;;#ASMEND
	;;#ASMSTART
	s_nop 0
	v_add_f32 v233, v233, v233 row_shr:4 bound_ctrl:0 
	;;#ASMEND
	;;#ASMSTART
	s_nop 0
	v_add_f32 v231, v231, v231 row_shr:4 bound_ctrl:0 
	;;#ASMEND
	;;#ASMSTART
	s_nop 0
	v_add_f32 v229, v229, v229 row_shr:4 bound_ctrl:0 
	;;#ASMEND
	;;#ASMSTART
	s_nop 0
	v_add_f32 v227, v227, v227 row_shr:4 bound_ctrl:0 
	;;#ASMEND
	;;#ASMSTART
	s_nop 0
	v_add_f32 v245, v245, v245 row_shr:4 bound_ctrl:0 
	;;#ASMEND
	;;#ASMSTART
	s_nop 0
	v_add_f32 v243, v243, v243 row_shr:4 bound_ctrl:0 
	;;#ASMEND
	;;#ASMSTART
	s_nop 0
	v_add_f32 v241, v241, v241 row_shr:4 bound_ctrl:0 
	;;#ASMEND
	;;#ASMSTART
	s_nop 0
	v_add_f32 v239, v239, v239 row_shr:4 bound_ctrl:0 
	;;#ASMEND
	;;#ASMSTART
	s_nop 0
	v_add_f32 v237, v237, v237 row_shr:4 bound_ctrl:0 
	;;#ASMEND
	;;#ASMSTART
	s_nop 0
	v_add_f32 v235, v235, v235 row_shr:4 bound_ctrl:0 
	;;#ASMEND
	s_nop 0
	;; [unrolled: 53-line block ×3, first 2 shown]
	;;#ASMSTART
	s_nop 0
	v_add_f32 v114, v114, v114 wave_shr:1 bound_ctrl:0
	;;#ASMEND
	;;#ASMSTART
	s_nop 0
	v_add_f32 v113, v113, v113 wave_shr:1 bound_ctrl:0
	;;#ASMEND
	;; [unrolled: 4-line block ×13, first 2 shown]
	s_nop 0
	;;#ASMSTART
	s_nop 0
	v_add_f32 v114, v114, v114 row_bcast:15 bound_ctrl:0
	;;#ASMEND
	;;#ASMSTART
	s_nop 0
	v_add_f32 v113, v113, v113 row_bcast:15 bound_ctrl:0
	;;#ASMEND
	;; [unrolled: 4-line block ×13, first 2 shown]
	s_nop 0
	;;#ASMSTART
	s_nop 0
	v_add_f32 v114, v114, v114 row_bcast:31 bound_ctrl:0
	;;#ASMEND
	;;#ASMSTART
	s_nop 0
	v_add_f32 v113, v113, v113 row_bcast:31 bound_ctrl:0
	;;#ASMEND
	;;#ASMSTART
	s_nop 0
	v_add_f32 v112, v112, v112 row_bcast:31 bound_ctrl:0
	;;#ASMEND
	;;#ASMSTART
	s_nop 0
	v_add_f32 v233, v233, v233 row_bcast:31 bound_ctrl:0
	;;#ASMEND
	;;#ASMSTART
	s_nop 0
	v_add_f32 v231, v231, v231 row_bcast:31 bound_ctrl:0
	;;#ASMEND
	;;#ASMSTART
	s_nop 0
	v_add_f32 v229, v229, v229 row_bcast:31 bound_ctrl:0
	;;#ASMEND
	;;#ASMSTART
	s_nop 0
	v_add_f32 v227, v227, v227 row_bcast:31 bound_ctrl:0
	;;#ASMEND
	;;#ASMSTART
	s_nop 0
	v_add_f32 v245, v245, v245 row_bcast:31 bound_ctrl:0
	;;#ASMEND
	;;#ASMSTART
	s_nop 0
	v_add_f32 v243, v243, v243 row_bcast:31 bound_ctrl:0
	;;#ASMEND
	;;#ASMSTART
	s_nop 0
	v_add_f32 v241, v241, v241 row_bcast:31 bound_ctrl:0
	;;#ASMEND
	;;#ASMSTART
	s_nop 0
	v_add_f32 v239, v239, v239 row_bcast:31 bound_ctrl:0
	;;#ASMEND
	;;#ASMSTART
	s_nop 0
	v_add_f32 v237, v237, v237 row_bcast:31 bound_ctrl:0
	;;#ASMEND
	;;#ASMSTART
	s_nop 0
	v_add_f32 v235, v235, v235 row_bcast:31 bound_ctrl:0
	;;#ASMEND
	s_and_saveexec_b64 s[4:5], s[0:1]
	s_cbranch_execz .LBB22_2
; %bb.24:                               ;   in Loop: Header=BB22_3 Depth=1
	v_cvt_f16_f32_e32 v18, v114
	v_mov_b32_e32 v20, v225
	v_mov_b32_e32 v225, v253
	v_cvt_f16_f32_e32 v19, v113
	s_waitcnt lgkmcnt(0)
	v_lshl_add_u64 v[16:17], v[224:225], 1, s[12:13]
	global_store_short v[16:17], v18, off
	v_cvt_f16_f32_e32 v18, v112
	v_add_u32_e32 v252, s7, v224
	v_lshl_add_u64 v[16:17], v[252:253], 1, s[12:13]
	v_add_u32_e32 v252, s7, v252
	global_store_short v[16:17], v19, off
	v_lshl_add_u64 v[16:17], v[252:253], 1, s[12:13]
	global_store_short v[16:17], v18, off
	v_cvt_f16_f32_e32 v18, v233
	v_cvt_f16_f32_e32 v19, v231
	v_add_u32_e32 v252, s7, v252
	v_lshl_add_u64 v[16:17], v[252:253], 1, s[12:13]
	v_add_u32_e32 v252, s7, v252
	global_store_short v[16:17], v18, off
	v_lshl_add_u64 v[16:17], v[252:253], 1, s[12:13]
	v_cvt_f16_f32_e32 v18, v229
	global_store_short v[16:17], v19, off
	v_cvt_f16_f32_e32 v19, v227
	v_add_u32_e32 v252, s7, v252
	v_lshl_add_u64 v[16:17], v[252:253], 1, s[12:13]
	v_add_u32_e32 v252, s7, v252
	global_store_short v[16:17], v18, off
	v_lshl_add_u64 v[16:17], v[252:253], 1, s[12:13]
	v_cvt_f16_f32_e32 v18, v245
	global_store_short v[16:17], v19, off
	;; [unrolled: 8-line block ×4, first 2 shown]
	v_cvt_f16_f32_e32 v19, v235
	v_add_u32_e32 v252, s7, v252
	v_lshl_add_u64 v[16:17], v[252:253], 1, s[12:13]
	v_add_u32_e32 v252, s7, v252
	v_mov_b32_e32 v225, v20
	global_store_short v[16:17], v18, off
	v_lshl_add_u64 v[16:17], v[252:253], 1, s[12:13]
	global_store_short v[16:17], v19, off
	s_branch .LBB22_2
.LBB22_25:
	s_endpgm
	.section	.rodata,"a",@progbits
	.p2align	6, 0x0
	.amdhsa_kernel _ZN5aiter32wv_splitk_small_fp16_bf16_kernelI6__halfLi64ELi1ELi1ELi8ELi4ELi13EEEviiPKT_S4_PS2_ii
		.amdhsa_group_segment_fixed_size 0
		.amdhsa_private_segment_fixed_size 0
		.amdhsa_kernarg_size 40
		.amdhsa_user_sgpr_count 2
		.amdhsa_user_sgpr_dispatch_ptr 0
		.amdhsa_user_sgpr_queue_ptr 0
		.amdhsa_user_sgpr_kernarg_segment_ptr 1
		.amdhsa_user_sgpr_dispatch_id 0
		.amdhsa_user_sgpr_kernarg_preload_length 0
		.amdhsa_user_sgpr_kernarg_preload_offset 0
		.amdhsa_user_sgpr_private_segment_size 0
		.amdhsa_uses_dynamic_stack 0
		.amdhsa_enable_private_segment 0
		.amdhsa_system_sgpr_workgroup_id_x 1
		.amdhsa_system_sgpr_workgroup_id_y 0
		.amdhsa_system_sgpr_workgroup_id_z 0
		.amdhsa_system_sgpr_workgroup_info 0
		.amdhsa_system_vgpr_workitem_id 1
		.amdhsa_next_free_vgpr 284
		.amdhsa_next_free_sgpr 27
		.amdhsa_accum_offset 256
		.amdhsa_reserve_vcc 1
		.amdhsa_float_round_mode_32 0
		.amdhsa_float_round_mode_16_64 0
		.amdhsa_float_denorm_mode_32 3
		.amdhsa_float_denorm_mode_16_64 3
		.amdhsa_dx10_clamp 1
		.amdhsa_ieee_mode 1
		.amdhsa_fp16_overflow 0
		.amdhsa_tg_split 0
		.amdhsa_exception_fp_ieee_invalid_op 0
		.amdhsa_exception_fp_denorm_src 0
		.amdhsa_exception_fp_ieee_div_zero 0
		.amdhsa_exception_fp_ieee_overflow 0
		.amdhsa_exception_fp_ieee_underflow 0
		.amdhsa_exception_fp_ieee_inexact 0
		.amdhsa_exception_int_div_zero 0
	.end_amdhsa_kernel
	.section	.text._ZN5aiter32wv_splitk_small_fp16_bf16_kernelI6__halfLi64ELi1ELi1ELi8ELi4ELi13EEEviiPKT_S4_PS2_ii,"axG",@progbits,_ZN5aiter32wv_splitk_small_fp16_bf16_kernelI6__halfLi64ELi1ELi1ELi8ELi4ELi13EEEviiPKT_S4_PS2_ii,comdat
.Lfunc_end22:
	.size	_ZN5aiter32wv_splitk_small_fp16_bf16_kernelI6__halfLi64ELi1ELi1ELi8ELi4ELi13EEEviiPKT_S4_PS2_ii, .Lfunc_end22-_ZN5aiter32wv_splitk_small_fp16_bf16_kernelI6__halfLi64ELi1ELi1ELi8ELi4ELi13EEEviiPKT_S4_PS2_ii
                                        ; -- End function
	.section	.AMDGPU.csdata,"",@progbits
; Kernel info:
; codeLenInByte = 5712
; NumSgprs: 33
; NumVgprs: 256
; NumAgprs: 28
; TotalNumVgprs: 284
; ScratchSize: 0
; MemoryBound: 1
; FloatMode: 240
; IeeeMode: 1
; LDSByteSize: 0 bytes/workgroup (compile time only)
; SGPRBlocks: 4
; VGPRBlocks: 35
; NumSGPRsForWavesPerEU: 33
; NumVGPRsForWavesPerEU: 284
; AccumOffset: 256
; Occupancy: 1
; WaveLimiterHint : 0
; COMPUTE_PGM_RSRC2:SCRATCH_EN: 0
; COMPUTE_PGM_RSRC2:USER_SGPR: 2
; COMPUTE_PGM_RSRC2:TRAP_HANDLER: 0
; COMPUTE_PGM_RSRC2:TGID_X_EN: 1
; COMPUTE_PGM_RSRC2:TGID_Y_EN: 0
; COMPUTE_PGM_RSRC2:TGID_Z_EN: 0
; COMPUTE_PGM_RSRC2:TIDIG_COMP_CNT: 1
; COMPUTE_PGM_RSRC3_GFX90A:ACCUM_OFFSET: 63
; COMPUTE_PGM_RSRC3_GFX90A:TG_SPLIT: 0
	.section	.text._ZN5aiter32wv_splitk_small_fp16_bf16_kernelI6__halfLi64ELi1ELi1ELi8ELi4ELi14EEEviiPKT_S4_PS2_ii,"axG",@progbits,_ZN5aiter32wv_splitk_small_fp16_bf16_kernelI6__halfLi64ELi1ELi1ELi8ELi4ELi14EEEviiPKT_S4_PS2_ii,comdat
	.protected	_ZN5aiter32wv_splitk_small_fp16_bf16_kernelI6__halfLi64ELi1ELi1ELi8ELi4ELi14EEEviiPKT_S4_PS2_ii ; -- Begin function _ZN5aiter32wv_splitk_small_fp16_bf16_kernelI6__halfLi64ELi1ELi1ELi8ELi4ELi14EEEviiPKT_S4_PS2_ii
	.globl	_ZN5aiter32wv_splitk_small_fp16_bf16_kernelI6__halfLi64ELi1ELi1ELi8ELi4ELi14EEEviiPKT_S4_PS2_ii
	.p2align	8
	.type	_ZN5aiter32wv_splitk_small_fp16_bf16_kernelI6__halfLi64ELi1ELi1ELi8ELi4ELi14EEEviiPKT_S4_PS2_ii,@function
_ZN5aiter32wv_splitk_small_fp16_bf16_kernelI6__halfLi64ELi1ELi1ELi8ELi4ELi14EEEviiPKT_S4_PS2_ii: ; @_ZN5aiter32wv_splitk_small_fp16_bf16_kernelI6__halfLi64ELi1ELi1ELi8ELi4ELi14EEEviiPKT_S4_PS2_ii
; %bb.0:
	s_load_dwordx2 s[4:5], s[0:1], 0x20
	s_load_dwordx2 s[6:7], s[0:1], 0x0
	v_bfe_u32 v1, v0, 10, 10
	s_waitcnt lgkmcnt(0)
	s_mul_i32 s2, s2, s4
	v_add_u32_e32 v32, s2, v1
	v_cmp_gt_u32_e32 vcc, s7, v32
	s_and_saveexec_b64 s[2:3], vcc
	s_cbranch_execz .LBB23_25
; %bb.1:
	v_and_b32_e32 v0, 0x3ff, v0
	s_load_dwordx4 s[8:11], s[0:1], 0x8
	s_load_dwordx2 s[12:13], s[0:1], 0x18
	v_lshlrev_b32_e32 v242, 3, v0
	s_cmp_lg_u32 s6, 0
	v_cmp_eq_u32_e64 s[0:1], 63, v0
	v_mad_u64_u32 v[244:245], s[2:3], s6, v32, v[242:243]
	v_mad_u64_u32 v[246:247], s[2:3], s6, 3, v[242:243]
	;; [unrolled: 1-line block ×5, first 2 shown]
	v_lshl_add_u32 v0, s6, 3, v242
	v_mad_u64_u32 v[254:255], s[2:3], s6, 9, v[242:243]
	v_mad_u64_u32 v[16:17], s[2:3], s6, 10, v[242:243]
	v_mad_u64_u32 v[18:19], s[2:3], s6, 11, v[242:243]
	v_mad_u64_u32 v[20:21], s[2:3], s6, 12, v[242:243]
	v_mad_u64_u32 v[22:23], s[2:3], s6, 13, v[242:243]
	v_accvgpr_write_b32 a0, v0
	v_add_u32_e32 v0, s6, v242
	s_cselect_b64 s[2:3], -1, 0
	s_mul_i32 s24, s5, s4
	v_accvgpr_write_b32 a1, v0
	v_cndmask_b32_e64 v0, 0, 1, s[2:3]
	s_mul_i32 s25, s24, s6
	v_lshl_add_u32 v241, s6, 1, v242
	v_lshl_add_u32 v240, s6, 2, v242
	s_mov_b64 s[14:15], 0
	v_cmp_ne_u32_e64 s[2:3], 1, v0
	v_mov_b32_e32 v39, 0
                                        ; implicit-def: $vgpr0_vgpr1_vgpr2_vgpr3
                                        ; implicit-def: $vgpr4_vgpr5_vgpr6_vgpr7
                                        ; implicit-def: $vgpr8_vgpr9_vgpr10_vgpr11
                                        ; implicit-def: $vgpr12_vgpr13_vgpr14_vgpr15
                                        ; implicit-def: $vgpr226_vgpr227
                                        ; implicit-def: $vgpr230_vgpr231
                                        ; implicit-def: $agpr44_agpr45
                                        ; implicit-def: $agpr48_agpr49
                                        ; implicit-def: $agpr36_agpr37
                                        ; implicit-def: $agpr40_agpr41
                                        ; implicit-def: $agpr28_agpr29
                                        ; implicit-def: $agpr32_agpr33
                                        ; implicit-def: $agpr20_agpr21
                                        ; implicit-def: $agpr24_agpr25
                                        ; implicit-def: $agpr12_agpr13
                                        ; implicit-def: $agpr16_agpr17
                                        ; implicit-def: $agpr4_agpr5
                                        ; implicit-def: $agpr8_agpr9
                                        ; implicit-def: $vgpr170_vgpr171
                                        ; implicit-def: $vgpr174_vgpr175
                                        ; implicit-def: $vgpr138_vgpr139
                                        ; implicit-def: $vgpr142_vgpr143
                                        ; implicit-def: $vgpr110_vgpr111
                                        ; implicit-def: $vgpr118_vgpr119
                                        ; implicit-def: $vgpr82_vgpr83
                                        ; implicit-def: $vgpr86_vgpr87
                                        ; implicit-def: $vgpr58_vgpr59
                                        ; implicit-def: $vgpr62_vgpr63
                                        ; implicit-def: $vgpr42_vgpr43
                                        ; implicit-def: $vgpr46_vgpr47
                                        ; implicit-def: $vgpr26_vgpr27
                                        ; implicit-def: $vgpr30_vgpr31
                                        ; implicit-def: $vgpr210_vgpr211
                                        ; implicit-def: $vgpr214_vgpr215
                                        ; implicit-def: $vgpr186_vgpr187
                                        ; implicit-def: $vgpr190_vgpr191
                                        ; implicit-def: $vgpr162_vgpr163
                                        ; implicit-def: $vgpr166_vgpr167
                                        ; implicit-def: $vgpr130_vgpr131
                                        ; implicit-def: $vgpr134_vgpr135
                                        ; implicit-def: $vgpr98_vgpr99
                                        ; implicit-def: $vgpr102_vgpr103
                                        ; implicit-def: $vgpr74_vgpr75
                                        ; implicit-def: $vgpr78_vgpr79
                                        ; implicit-def: $vgpr50_vgpr51
                                        ; implicit-def: $vgpr54_vgpr55
                                        ; implicit-def: $vgpr234_vgpr235
                                        ; implicit-def: $vgpr238_vgpr239
                                        ; implicit-def: $vgpr218_vgpr219
                                        ; implicit-def: $vgpr222_vgpr223
                                        ; implicit-def: $vgpr202_vgpr203
                                        ; implicit-def: $vgpr206_vgpr207
                                        ; implicit-def: $vgpr178_vgpr179
                                        ; implicit-def: $vgpr182_vgpr183
                                        ; implicit-def: $vgpr146_vgpr147
                                        ; implicit-def: $vgpr154_vgpr155
                                        ; implicit-def: $vgpr122_vgpr123
                                        ; implicit-def: $vgpr126_vgpr127
                                        ; implicit-def: $vgpr90_vgpr91
                                        ; implicit-def: $vgpr94_vgpr95
	s_branch .LBB23_3
.LBB23_2:                               ;   in Loop: Header=BB23_3 Depth=1
	s_or_b64 exec, exec, s[4:5]
	v_add_u32_e32 v32, s24, v32
	v_cmp_le_u32_e32 vcc, s7, v32
	s_or_b64 s[14:15], vcc, s[14:15]
	v_add_u32_e32 v244, s25, v244
	s_andn2_b64 exec, exec, s[14:15]
	s_cbranch_execz .LBB23_25
.LBB23_3:                               ; =>This Loop Header: Depth=1
                                        ;     Child Loop BB23_9 Depth 2
	s_and_b64 vcc, exec, s[2:3]
	s_mov_b32 s26, 0
	s_cbranch_vccnz .LBB23_22
; %bb.4:                                ;   in Loop: Header=BB23_3 Depth=1
	v_mov_b32_e32 v19, 0
	v_mov_b32_e32 v21, 0
	;; [unrolled: 1-line block ×14, first 2 shown]
	s_branch .LBB23_9
.LBB23_5:                               ;   in Loop: Header=BB23_9 Depth=2
	s_or_b64 exec, exec, s[20:21]
.LBB23_6:                               ;   in Loop: Header=BB23_9 Depth=2
	s_or_b64 exec, exec, s[18:19]
.LBB23_7:                               ;   in Loop: Header=BB23_9 Depth=2
	s_or_b64 exec, exec, s[16:17]
.LBB23_8:                               ;   in Loop: Header=BB23_9 Depth=2
	s_or_b64 exec, exec, s[4:5]
	s_addk_i32 s26, 0x800
	s_cmp_ge_u32 s26, s6
	s_cbranch_scc1 .LBB23_23
.LBB23_9:                               ;   Parent Loop BB23_3 Depth=1
                                        ; =>  This Inner Loop Header: Depth=2
	v_add_u32_e32 v34, s26, v242
	v_cmp_gt_u32_e32 vcc, s6, v34
	v_add_u32_e32 v36, 0x200, v34
	s_and_saveexec_b64 s[16:17], vcc
	s_cbranch_execz .LBB23_17
; %bb.10:                               ;   in Loop: Header=BB23_9 Depth=2
	v_mov_b32_e32 v35, v39
	s_waitcnt lgkmcnt(0)
	v_lshl_add_u64 v[64:65], v[34:35], 1, s[10:11]
	v_accvgpr_read_b32 v35, a1
	v_add_u32_e32 v38, s26, v244
	v_add_u32_e32 v158, s26, v35
	v_mov_b32_e32 v159, v39
	s_waitcnt vmcnt(14)
	v_lshl_add_u64 v[12:13], v[38:39], 1, s[8:9]
	v_lshl_add_u64 v[66:67], v[158:159], 1, s[10:11]
	v_add_u32_e32 v156, s26, v241
	v_mov_b32_e32 v157, v39
	v_add_u32_e32 v150, s26, v246
	v_mov_b32_e32 v151, v39
	global_load_dwordx4 v[12:15], v[12:13], off nt
	s_nop 0
	global_load_dwordx4 v[92:95], v[64:65], off
	global_load_dwordx4 v[88:91], v[66:67], off
	v_lshl_add_u64 v[64:65], v[156:157], 1, s[10:11]
	v_lshl_add_u64 v[66:67], v[150:151], 1, s[10:11]
	v_add_u32_e32 v148, s26, v240
	v_mov_b32_e32 v149, v39
	v_add_u32_e32 v114, s26, v248
	v_mov_b32_e32 v115, v39
	global_load_dwordx4 v[124:127], v[64:65], off
	global_load_dwordx4 v[120:123], v[66:67], off
	v_lshl_add_u64 v[64:65], v[148:149], 1, s[10:11]
	v_lshl_add_u64 v[66:67], v[114:115], 1, s[10:11]
	v_add_u32_e32 v112, s26, v250
	v_mov_b32_e32 v113, v39
	v_add_u32_e32 v106, s26, v252
	v_mov_b32_e32 v107, v39
	v_accvgpr_read_b32 v35, a0
	global_load_dwordx4 v[152:155], v[64:65], off
	global_load_dwordx4 v[144:147], v[66:67], off
	v_lshl_add_u64 v[64:65], v[112:113], 1, s[10:11]
	v_lshl_add_u64 v[66:67], v[106:107], 1, s[10:11]
	v_add_u32_e32 v104, s26, v35
	v_mov_b32_e32 v105, v39
	v_add_u32_e32 v70, s26, v254
	v_mov_b32_e32 v71, v39
	global_load_dwordx4 v[180:183], v[64:65], off
	global_load_dwordx4 v[176:179], v[66:67], off
	v_lshl_add_u64 v[64:65], v[104:105], 1, s[10:11]
	v_lshl_add_u64 v[66:67], v[70:71], 1, s[10:11]
	v_add_u32_e32 v68, s26, v16
	v_mov_b32_e32 v69, v39
	global_load_dwordx4 v[204:207], v[64:65], off
	global_load_dwordx4 v[200:203], v[66:67], off
	v_lshl_add_u64 v[64:65], v[68:69], 1, s[10:11]
	v_add_u32_e32 v66, s26, v18
	v_mov_b32_e32 v67, v39
	v_lshl_add_u64 v[192:193], v[66:67], 1, s[10:11]
	global_load_dwordx4 v[220:223], v[64:65], off
	global_load_dwordx4 v[216:219], v[192:193], off
	v_add_u32_e32 v64, s26, v20
	v_mov_b32_e32 v65, v39
	v_lshl_add_u64 v[194:195], v[64:65], 1, s[10:11]
	v_add_u32_e32 v192, s26, v22
	v_mov_b32_e32 v193, v39
	v_lshl_add_u64 v[198:199], v[192:193], 1, s[10:11]
	global_load_dwordx4 v[236:239], v[194:195], off
	global_load_dwordx4 v[232:235], v[198:199], off
	v_cmp_gt_u32_e64 s[4:5], s6, v36
	s_and_saveexec_b64 s[18:19], s[4:5]
	s_cbranch_execz .LBB23_16
; %bb.11:                               ;   in Loop: Header=BB23_9 Depth=2
	v_add_u32_e32 v8, 0x200, v38
	v_mov_b32_e32 v9, v39
	v_mov_b32_e32 v37, v39
	s_waitcnt vmcnt(27)
	v_add_u32_e32 v50, 0x200, v158
	v_mov_b32_e32 v51, v39
	s_waitcnt vmcnt(25)
	v_add_u32_e32 v72, 0x200, v156
	v_mov_b32_e32 v73, v39
	v_add_u32_e32 v74, 0x200, v150
	v_mov_b32_e32 v75, v39
	s_waitcnt vmcnt(23)
	v_add_u32_e32 v96, 0x200, v148
	v_mov_b32_e32 v97, v39
	;; [unrolled: 5-line block ×5, first 2 shown]
	v_add_u32_e32 v186, 0x200, v66
	v_mov_b32_e32 v187, v39
	v_add_u32_e32 v194, 0x200, v64
	v_mov_b32_e32 v195, v39
	v_lshl_add_u64 v[8:9], v[8:9], 1, s[8:9]
	v_lshl_add_u64 v[48:49], v[36:37], 1, s[10:11]
	;; [unrolled: 1-line block ×14, first 2 shown]
	v_add_u32_e32 v198, 0x200, v192
	v_mov_b32_e32 v199, v39
	global_load_dwordx4 v[8:11], v[8:9], off nt
	s_nop 0
	global_load_dwordx4 v[52:55], v[48:49], off
	s_nop 0
	global_load_dwordx4 v[48:51], v[50:51], off
	;; [unrolled: 2-line block ×12, first 2 shown]
	v_lshl_add_u64 v[198:199], v[198:199], 1, s[10:11]
	global_load_dwordx4 v[212:215], v[194:195], off
	global_load_dwordx4 v[208:211], v[198:199], off
	v_mov_b32_e32 v193, v240
	v_add_u32_e32 v240, 0x400, v34
	v_cmp_gt_u32_e64 s[4:5], s6, v240
	s_and_saveexec_b64 s[20:21], s[4:5]
	s_cbranch_execz .LBB23_15
; %bb.12:                               ;   in Loop: Header=BB23_9 Depth=2
	v_mov_b32_e32 v35, v241
	v_add_u32_e32 v4, 0x400, v38
	v_mov_b32_e32 v5, v39
	v_mov_b32_e32 v241, v39
	v_add_u32_e32 v26, 0x400, v158
	v_mov_b32_e32 v27, v39
	v_add_u32_e32 v40, 0x400, v156
	;; [unrolled: 2-line block ×11, first 2 shown]
	v_mov_b32_e32 v139, v39
	s_waitcnt vmcnt(30)
	v_add_u32_e32 v168, 0x400, v64
	v_mov_b32_e32 v169, v39
	v_add_u32_e32 v170, 0x400, v192
	v_mov_b32_e32 v171, v39
	v_lshl_add_u64 v[4:5], v[4:5], 1, s[8:9]
	v_lshl_add_u64 v[24:25], v[240:241], 1, s[10:11]
	;; [unrolled: 1-line block ×15, first 2 shown]
	global_load_dwordx4 v[4:7], v[4:5], off nt
	s_nop 0
	global_load_dwordx4 v[28:31], v[24:25], off
	s_nop 0
	global_load_dwordx4 v[24:27], v[26:27], off
	;; [unrolled: 2-line block ×14, first 2 shown]
	v_add_u32_e32 v194, 0x600, v34
	v_cmp_gt_u32_e64 s[4:5], s6, v194
	s_and_saveexec_b64 s[22:23], s[4:5]
	s_cbranch_execz .LBB23_14
; %bb.13:                               ;   in Loop: Header=BB23_9 Depth=2
	v_add_u32_e32 v38, 0x600, v38
	v_lshl_add_u64 v[0:1], v[38:39], 1, s[8:9]
	v_add_u32_e32 v38, 0x600, v158
	v_lshl_add_u64 v[158:159], v[38:39], 1, s[10:11]
	;; [unrolled: 2-line block ×11, first 2 shown]
	v_add_u32_e32 v38, 0x600, v66
	v_mov_b32_e32 v195, v39
	v_lshl_add_u64 v[66:67], v[38:39], 1, s[10:11]
	v_add_u32_e32 v38, 0x600, v64
	v_lshl_add_u64 v[194:195], v[194:195], 1, s[10:11]
	v_lshl_add_u64 v[64:65], v[38:39], 1, s[10:11]
	v_add_u32_e32 v38, 0x600, v192
	global_load_dwordx4 v[0:3], v[0:1], off nt
	s_nop 0
	global_load_dwordx4 a[6:9], v[194:195], off
	global_load_dwordx4 a[2:5], v[158:159], off
	;; [unrolled: 1-line block ×12, first 2 shown]
	v_lshl_add_u64 v[66:67], v[38:39], 1, s[10:11]
	global_load_dwordx4 v[228:231], v[64:65], off
	global_load_dwordx4 v[224:227], v[66:67], off
.LBB23_14:                              ;   in Loop: Header=BB23_9 Depth=2
	s_or_b64 exec, exec, s[22:23]
	v_mov_b32_e32 v241, v35
.LBB23_15:                              ;   in Loop: Header=BB23_9 Depth=2
	s_or_b64 exec, exec, s[20:21]
	v_mov_b32_e32 v240, v193
.LBB23_16:                              ;   in Loop: Header=BB23_9 Depth=2
	s_or_b64 exec, exec, s[18:19]
.LBB23_17:                              ;   in Loop: Header=BB23_9 Depth=2
	s_or_b64 exec, exec, s[16:17]
	s_and_saveexec_b64 s[4:5], vcc
	s_cbranch_execz .LBB23_8
; %bb.18:                               ;   in Loop: Header=BB23_9 Depth=2
	s_waitcnt vmcnt(13)
	;;#ASMSTART
	v_dot2c_f32_f16 v33, v92, v12
	;;#ASMEND
	s_waitcnt vmcnt(12)
	;;#ASMSTART
	v_dot2c_f32_f16 v197, v88, v12
	;;#ASMEND
	s_waitcnt vmcnt(11)
	;;#ASMSTART
	v_dot2c_f32_f16 v196, v124, v12
	;;#ASMEND
	s_waitcnt vmcnt(10)
	;;#ASMSTART
	v_dot2c_f32_f16 v17, v120, v12
	;;#ASMEND
	s_waitcnt vmcnt(9)
	;;#ASMSTART
	v_dot2c_f32_f16 v247, v152, v12
	;;#ASMEND
	s_waitcnt vmcnt(8)
	;;#ASMSTART
	v_dot2c_f32_f16 v245, v144, v12
	;;#ASMEND
	s_waitcnt vmcnt(7)
	;;#ASMSTART
	v_dot2c_f32_f16 v243, v180, v12
	;;#ASMEND
	s_waitcnt vmcnt(6)
	;;#ASMSTART
	v_dot2c_f32_f16 v255, v176, v12
	;;#ASMEND
	s_waitcnt vmcnt(5)
	;;#ASMSTART
	v_dot2c_f32_f16 v253, v204, v12
	;;#ASMEND
	s_waitcnt vmcnt(4)
	;;#ASMSTART
	v_dot2c_f32_f16 v251, v200, v12
	;;#ASMEND
	s_waitcnt vmcnt(3)
	;;#ASMSTART
	v_dot2c_f32_f16 v249, v220, v12
	;;#ASMEND
	s_waitcnt vmcnt(2)
	;;#ASMSTART
	v_dot2c_f32_f16 v23, v216, v12
	;;#ASMEND
	s_waitcnt vmcnt(1)
	;;#ASMSTART
	v_dot2c_f32_f16 v21, v236, v12
	;;#ASMEND
	s_waitcnt vmcnt(0)
	;;#ASMSTART
	v_dot2c_f32_f16 v19, v232, v12
	;;#ASMEND
	v_cmp_gt_u32_e32 vcc, s6, v36
	;;#ASMSTART
	v_dot2c_f32_f16 v33, v93, v13
	;;#ASMEND
	;;#ASMSTART
	v_dot2c_f32_f16 v197, v89, v13
	;;#ASMEND
	;;#ASMSTART
	v_dot2c_f32_f16 v196, v125, v13
	;;#ASMEND
	;;#ASMSTART
	v_dot2c_f32_f16 v17, v121, v13
	;;#ASMEND
	;;#ASMSTART
	v_dot2c_f32_f16 v247, v153, v13
	;;#ASMEND
	;;#ASMSTART
	v_dot2c_f32_f16 v245, v145, v13
	;;#ASMEND
	;;#ASMSTART
	v_dot2c_f32_f16 v243, v181, v13
	;;#ASMEND
	;;#ASMSTART
	v_dot2c_f32_f16 v255, v177, v13
	;;#ASMEND
	;;#ASMSTART
	v_dot2c_f32_f16 v253, v205, v13
	;;#ASMEND
	;;#ASMSTART
	v_dot2c_f32_f16 v251, v201, v13
	;;#ASMEND
	;;#ASMSTART
	v_dot2c_f32_f16 v249, v221, v13
	;;#ASMEND
	;;#ASMSTART
	v_dot2c_f32_f16 v23, v217, v13
	;;#ASMEND
	;;#ASMSTART
	v_dot2c_f32_f16 v21, v237, v13
	;;#ASMEND
	;;#ASMSTART
	v_dot2c_f32_f16 v19, v233, v13
	;;#ASMEND
	s_nop 0
	;;#ASMSTART
	v_dot2c_f32_f16 v33, v94, v14
	;;#ASMEND
	;;#ASMSTART
	v_dot2c_f32_f16 v197, v90, v14
	;;#ASMEND
	;; [unrolled: 3-line block ×14, first 2 shown]
	s_nop 0
	;;#ASMSTART
	v_dot2c_f32_f16 v33, v95, v15
	;;#ASMEND
	;;#ASMSTART
	v_dot2c_f32_f16 v197, v91, v15
	;;#ASMEND
	;;#ASMSTART
	v_dot2c_f32_f16 v196, v127, v15
	;;#ASMEND
	;;#ASMSTART
	v_dot2c_f32_f16 v17, v123, v15
	;;#ASMEND
	;;#ASMSTART
	v_dot2c_f32_f16 v247, v155, v15
	;;#ASMEND
	;;#ASMSTART
	v_dot2c_f32_f16 v245, v147, v15
	;;#ASMEND
	;;#ASMSTART
	v_dot2c_f32_f16 v243, v183, v15
	;;#ASMEND
	;;#ASMSTART
	v_dot2c_f32_f16 v255, v179, v15
	;;#ASMEND
	;;#ASMSTART
	v_dot2c_f32_f16 v253, v207, v15
	;;#ASMEND
	;;#ASMSTART
	v_dot2c_f32_f16 v251, v203, v15
	;;#ASMEND
	;;#ASMSTART
	v_dot2c_f32_f16 v249, v223, v15
	;;#ASMEND
	;;#ASMSTART
	v_dot2c_f32_f16 v23, v219, v15
	;;#ASMEND
	;;#ASMSTART
	v_dot2c_f32_f16 v21, v239, v15
	;;#ASMEND
	;;#ASMSTART
	v_dot2c_f32_f16 v19, v235, v15
	;;#ASMEND
	s_and_saveexec_b64 s[16:17], vcc
	s_cbranch_execz .LBB23_7
; %bb.19:                               ;   in Loop: Header=BB23_9 Depth=2
	;;#ASMSTART
	v_dot2c_f32_f16 v33, v52, v8
	;;#ASMEND
	;;#ASMSTART
	v_dot2c_f32_f16 v197, v48, v8
	;;#ASMEND
	;; [unrolled: 3-line block ×14, first 2 shown]
	v_add_u32_e32 v35, 0x400, v34
	;;#ASMSTART
	v_dot2c_f32_f16 v33, v53, v9
	;;#ASMEND
	;;#ASMSTART
	v_dot2c_f32_f16 v197, v49, v9
	;;#ASMEND
	;; [unrolled: 3-line block ×14, first 2 shown]
	v_cmp_gt_u32_e32 vcc, s6, v35
	;;#ASMSTART
	v_dot2c_f32_f16 v33, v54, v10
	;;#ASMEND
	;;#ASMSTART
	v_dot2c_f32_f16 v197, v50, v10
	;;#ASMEND
	;; [unrolled: 3-line block ×14, first 2 shown]
	s_nop 0
	;;#ASMSTART
	v_dot2c_f32_f16 v33, v55, v11
	;;#ASMEND
	;;#ASMSTART
	v_dot2c_f32_f16 v197, v51, v11
	;;#ASMEND
	;;#ASMSTART
	v_dot2c_f32_f16 v196, v79, v11
	;;#ASMEND
	;;#ASMSTART
	v_dot2c_f32_f16 v17, v75, v11
	;;#ASMEND
	;;#ASMSTART
	v_dot2c_f32_f16 v247, v103, v11
	;;#ASMEND
	;;#ASMSTART
	v_dot2c_f32_f16 v245, v99, v11
	;;#ASMEND
	;;#ASMSTART
	v_dot2c_f32_f16 v243, v135, v11
	;;#ASMEND
	;;#ASMSTART
	v_dot2c_f32_f16 v255, v131, v11
	;;#ASMEND
	;;#ASMSTART
	v_dot2c_f32_f16 v253, v167, v11
	;;#ASMEND
	;;#ASMSTART
	v_dot2c_f32_f16 v251, v163, v11
	;;#ASMEND
	;;#ASMSTART
	v_dot2c_f32_f16 v249, v191, v11
	;;#ASMEND
	;;#ASMSTART
	v_dot2c_f32_f16 v23, v187, v11
	;;#ASMEND
	;;#ASMSTART
	v_dot2c_f32_f16 v21, v215, v11
	;;#ASMEND
	;;#ASMSTART
	v_dot2c_f32_f16 v19, v211, v11
	;;#ASMEND
	s_and_saveexec_b64 s[18:19], vcc
	s_cbranch_execz .LBB23_6
; %bb.20:                               ;   in Loop: Header=BB23_9 Depth=2
	;;#ASMSTART
	v_dot2c_f32_f16 v33, v28, v4
	;;#ASMEND
	;;#ASMSTART
	v_dot2c_f32_f16 v197, v24, v4
	;;#ASMEND
	;; [unrolled: 3-line block ×14, first 2 shown]
	v_add_u32_e32 v34, 0x600, v34
	;;#ASMSTART
	v_dot2c_f32_f16 v33, v29, v5
	;;#ASMEND
	;;#ASMSTART
	v_dot2c_f32_f16 v197, v25, v5
	;;#ASMEND
	;; [unrolled: 3-line block ×14, first 2 shown]
	v_cmp_gt_u32_e32 vcc, s6, v34
	;;#ASMSTART
	v_dot2c_f32_f16 v33, v30, v6
	;;#ASMEND
	;;#ASMSTART
	v_dot2c_f32_f16 v197, v26, v6
	;;#ASMEND
	;; [unrolled: 3-line block ×14, first 2 shown]
	s_nop 0
	;;#ASMSTART
	v_dot2c_f32_f16 v33, v31, v7
	;;#ASMEND
	;;#ASMSTART
	v_dot2c_f32_f16 v197, v27, v7
	;;#ASMEND
	;; [unrolled: 3-line block ×14, first 2 shown]
	s_and_saveexec_b64 s[20:21], vcc
	s_cbranch_execz .LBB23_5
; %bb.21:                               ;   in Loop: Header=BB23_9 Depth=2
	v_accvgpr_read_b32 v37, a9
	v_accvgpr_read_b32 v34, a6
	;;#ASMSTART
	v_dot2c_f32_f16 v33, v34, v0
	;;#ASMEND
	v_accvgpr_read_b32 v35, a7
	;;#ASMSTART
	v_dot2c_f32_f16 v33, v35, v1
	;;#ASMEND
	v_accvgpr_read_b32 v36, a8
	;;#ASMSTART
	v_dot2c_f32_f16 v33, v36, v2
	;;#ASMEND
	;;#ASMSTART
	v_dot2c_f32_f16 v21, v228, v0
	;;#ASMEND
	;;#ASMSTART
	v_dot2c_f32_f16 v19, v224, v0
	;;#ASMEND
	s_nop 0
	;;#ASMSTART
	v_dot2c_f32_f16 v33, v37, v3
	;;#ASMEND
	v_accvgpr_read_b32 v37, a5
	v_accvgpr_read_b32 v34, a2
	;;#ASMSTART
	v_dot2c_f32_f16 v197, v34, v0
	;;#ASMEND
	v_accvgpr_read_b32 v35, a3
	;;#ASMSTART
	v_dot2c_f32_f16 v197, v35, v1
	;;#ASMEND
	v_accvgpr_read_b32 v36, a4
	;;#ASMSTART
	v_dot2c_f32_f16 v197, v36, v2
	;;#ASMEND
	;;#ASMSTART
	v_dot2c_f32_f16 v21, v229, v1
	;;#ASMEND
	;;#ASMSTART
	v_dot2c_f32_f16 v19, v225, v1
	;;#ASMEND
	s_nop 0
	;;#ASMSTART
	v_dot2c_f32_f16 v197, v37, v3
	;;#ASMEND
	;; [unrolled: 23-line block ×4, first 2 shown]
	v_accvgpr_read_b32 v37, a25
	v_accvgpr_read_b32 v34, a22
	;;#ASMSTART
	v_dot2c_f32_f16 v247, v34, v0
	;;#ASMEND
	v_accvgpr_read_b32 v35, a23
	;;#ASMSTART
	v_dot2c_f32_f16 v247, v35, v1
	;;#ASMEND
	v_accvgpr_read_b32 v36, a24
	;;#ASMSTART
	v_dot2c_f32_f16 v247, v36, v2
	;;#ASMEND
	s_nop 0
	;;#ASMSTART
	v_dot2c_f32_f16 v247, v37, v3
	;;#ASMEND
	v_accvgpr_read_b32 v37, a21
	v_accvgpr_read_b32 v34, a18
	;;#ASMSTART
	v_dot2c_f32_f16 v245, v34, v0
	;;#ASMEND
	v_accvgpr_read_b32 v35, a19
	;;#ASMSTART
	v_dot2c_f32_f16 v245, v35, v1
	;;#ASMEND
	v_accvgpr_read_b32 v36, a20
	;;#ASMSTART
	v_dot2c_f32_f16 v245, v36, v2
	;;#ASMEND
	s_nop 0
	;;#ASMSTART
	v_dot2c_f32_f16 v245, v37, v3
	;;#ASMEND
	;; [unrolled: 17-line block ×4, first 2 shown]
	v_accvgpr_read_b32 v34, a38
	;;#ASMSTART
	v_dot2c_f32_f16 v253, v34, v0
	;;#ASMEND
	v_accvgpr_read_b32 v35, a39
	;;#ASMSTART
	v_dot2c_f32_f16 v253, v35, v1
	;;#ASMEND
	v_accvgpr_read_b32 v36, a40
	v_accvgpr_read_b32 v37, a41
	;;#ASMSTART
	v_dot2c_f32_f16 v253, v36, v2
	;;#ASMEND
	s_nop 0
	;;#ASMSTART
	v_dot2c_f32_f16 v253, v37, v3
	;;#ASMEND
	v_accvgpr_read_b32 v34, a34
	;;#ASMSTART
	v_dot2c_f32_f16 v251, v34, v0
	;;#ASMEND
	v_accvgpr_read_b32 v35, a35
	;;#ASMSTART
	v_dot2c_f32_f16 v251, v35, v1
	;;#ASMEND
	v_accvgpr_read_b32 v36, a36
	v_accvgpr_read_b32 v37, a37
	;;#ASMSTART
	v_dot2c_f32_f16 v251, v36, v2
	;;#ASMEND
	s_nop 0
	;;#ASMSTART
	v_dot2c_f32_f16 v251, v37, v3
	;;#ASMEND
	;; [unrolled: 17-line block ×3, first 2 shown]
	v_accvgpr_read_b32 v34, a42
	;;#ASMSTART
	v_dot2c_f32_f16 v23, v34, v0
	;;#ASMEND
	v_accvgpr_read_b32 v35, a43
	;;#ASMSTART
	v_dot2c_f32_f16 v23, v35, v1
	;;#ASMEND
	;; [unrolled: 4-line block ×4, first 2 shown]
	s_branch .LBB23_5
.LBB23_22:                              ;   in Loop: Header=BB23_3 Depth=1
	v_mov_b32_e32 v33, v39
	v_mov_b32_e32 v197, v39
	;; [unrolled: 1-line block ×14, first 2 shown]
.LBB23_23:                              ;   in Loop: Header=BB23_3 Depth=1
	;;#ASMSTART
	s_nop 0
	v_add_f32 v33, v33, v33 row_shr:8 bound_ctrl:0 
	;;#ASMEND
	;;#ASMSTART
	s_nop 0
	v_add_f32 v197, v197, v197 row_shr:8 bound_ctrl:0 
	;;#ASMEND
	;;#ASMSTART
	s_nop 0
	v_add_f32 v196, v196, v196 row_shr:8 bound_ctrl:0 
	;;#ASMEND
	;;#ASMSTART
	s_nop 0
	v_add_f32 v17, v17, v17 row_shr:8 bound_ctrl:0 
	;;#ASMEND
	;;#ASMSTART
	s_nop 0
	v_add_f32 v247, v247, v247 row_shr:8 bound_ctrl:0 
	;;#ASMEND
	;;#ASMSTART
	s_nop 0
	v_add_f32 v245, v245, v245 row_shr:8 bound_ctrl:0 
	;;#ASMEND
	;;#ASMSTART
	s_nop 0
	v_add_f32 v243, v243, v243 row_shr:8 bound_ctrl:0 
	;;#ASMEND
	;;#ASMSTART
	s_nop 0
	v_add_f32 v255, v255, v255 row_shr:8 bound_ctrl:0 
	;;#ASMEND
	;;#ASMSTART
	s_nop 0
	v_add_f32 v253, v253, v253 row_shr:8 bound_ctrl:0 
	;;#ASMEND
	;;#ASMSTART
	s_nop 0
	v_add_f32 v251, v251, v251 row_shr:8 bound_ctrl:0 
	;;#ASMEND
	;;#ASMSTART
	s_nop 0
	v_add_f32 v249, v249, v249 row_shr:8 bound_ctrl:0 
	;;#ASMEND
	;;#ASMSTART
	s_nop 0
	v_add_f32 v23, v23, v23 row_shr:8 bound_ctrl:0 
	;;#ASMEND
	;;#ASMSTART
	s_nop 0
	v_add_f32 v21, v21, v21 row_shr:8 bound_ctrl:0 
	;;#ASMEND
	;;#ASMSTART
	s_nop 0
	v_add_f32 v19, v19, v19 row_shr:8 bound_ctrl:0 
	;;#ASMEND
	s_nop 0
	;;#ASMSTART
	s_nop 0
	v_add_f32 v33, v33, v33 row_shr:4 bound_ctrl:0 
	;;#ASMEND
	;;#ASMSTART
	s_nop 0
	v_add_f32 v197, v197, v197 row_shr:4 bound_ctrl:0 
	;;#ASMEND
	;;#ASMSTART
	s_nop 0
	v_add_f32 v196, v196, v196 row_shr:4 bound_ctrl:0 
	;;#ASMEND
	;;#ASMSTART
	s_nop 0
	v_add_f32 v17, v17, v17 row_shr:4 bound_ctrl:0 
	;;#ASMEND
	;;#ASMSTART
	s_nop 0
	v_add_f32 v247, v247, v247 row_shr:4 bound_ctrl:0 
	;;#ASMEND
	;;#ASMSTART
	s_nop 0
	v_add_f32 v245, v245, v245 row_shr:4 bound_ctrl:0 
	;;#ASMEND
	;;#ASMSTART
	s_nop 0
	v_add_f32 v243, v243, v243 row_shr:4 bound_ctrl:0 
	;;#ASMEND
	;;#ASMSTART
	s_nop 0
	v_add_f32 v255, v255, v255 row_shr:4 bound_ctrl:0 
	;;#ASMEND
	;;#ASMSTART
	s_nop 0
	v_add_f32 v253, v253, v253 row_shr:4 bound_ctrl:0 
	;;#ASMEND
	;;#ASMSTART
	s_nop 0
	v_add_f32 v251, v251, v251 row_shr:4 bound_ctrl:0 
	;;#ASMEND
	;;#ASMSTART
	s_nop 0
	v_add_f32 v249, v249, v249 row_shr:4 bound_ctrl:0 
	;;#ASMEND
	;;#ASMSTART
	s_nop 0
	v_add_f32 v23, v23, v23 row_shr:4 bound_ctrl:0 
	;;#ASMEND
	;;#ASMSTART
	s_nop 0
	v_add_f32 v21, v21, v21 row_shr:4 bound_ctrl:0 
	;;#ASMEND
	;;#ASMSTART
	s_nop 0
	v_add_f32 v19, v19, v19 row_shr:4 bound_ctrl:0 
	;;#ASMEND
	s_nop 0
	;; [unrolled: 57-line block ×3, first 2 shown]
	;;#ASMSTART
	s_nop 0
	v_add_f32 v33, v33, v33 wave_shr:1 bound_ctrl:0
	;;#ASMEND
	;;#ASMSTART
	s_nop 0
	v_add_f32 v197, v197, v197 wave_shr:1 bound_ctrl:0
	;;#ASMEND
	;;#ASMSTART
	s_nop 0
	v_add_f32 v196, v196, v196 wave_shr:1 bound_ctrl:0
	;;#ASMEND
	;;#ASMSTART
	s_nop 0
	v_add_f32 v17, v17, v17 wave_shr:1 bound_ctrl:0
	;;#ASMEND
	;;#ASMSTART
	s_nop 0
	v_add_f32 v247, v247, v247 wave_shr:1 bound_ctrl:0
	;;#ASMEND
	;;#ASMSTART
	s_nop 0
	v_add_f32 v245, v245, v245 wave_shr:1 bound_ctrl:0
	;;#ASMEND
	;;#ASMSTART
	s_nop 0
	v_add_f32 v243, v243, v243 wave_shr:1 bound_ctrl:0
	;;#ASMEND
	;;#ASMSTART
	s_nop 0
	v_add_f32 v255, v255, v255 wave_shr:1 bound_ctrl:0
	;;#ASMEND
	;;#ASMSTART
	s_nop 0
	v_add_f32 v253, v253, v253 wave_shr:1 bound_ctrl:0
	;;#ASMEND
	;;#ASMSTART
	s_nop 0
	v_add_f32 v251, v251, v251 wave_shr:1 bound_ctrl:0
	;;#ASMEND
	;;#ASMSTART
	s_nop 0
	v_add_f32 v249, v249, v249 wave_shr:1 bound_ctrl:0
	;;#ASMEND
	;;#ASMSTART
	s_nop 0
	v_add_f32 v23, v23, v23 wave_shr:1 bound_ctrl:0
	;;#ASMEND
	;;#ASMSTART
	s_nop 0
	v_add_f32 v21, v21, v21 wave_shr:1 bound_ctrl:0
	;;#ASMEND
	;;#ASMSTART
	s_nop 0
	v_add_f32 v19, v19, v19 wave_shr:1 bound_ctrl:0
	;;#ASMEND
	s_nop 0
	;;#ASMSTART
	s_nop 0
	v_add_f32 v33, v33, v33 row_bcast:15 bound_ctrl:0
	;;#ASMEND
	;;#ASMSTART
	s_nop 0
	v_add_f32 v197, v197, v197 row_bcast:15 bound_ctrl:0
	;;#ASMEND
	;; [unrolled: 4-line block ×14, first 2 shown]
	s_nop 0
	;;#ASMSTART
	s_nop 0
	v_add_f32 v33, v33, v33 row_bcast:31 bound_ctrl:0
	;;#ASMEND
	;;#ASMSTART
	s_nop 0
	v_add_f32 v197, v197, v197 row_bcast:31 bound_ctrl:0
	;;#ASMEND
	;; [unrolled: 4-line block ×14, first 2 shown]
	s_and_saveexec_b64 s[4:5], s[0:1]
	s_cbranch_execz .LBB23_2
; %bb.24:                               ;   in Loop: Header=BB23_3 Depth=1
	v_cvt_f16_f32_e32 v36, v33
	v_mov_b32_e32 v33, v39
	v_cvt_f16_f32_e32 v37, v197
	s_waitcnt lgkmcnt(0)
	v_lshl_add_u64 v[34:35], v[32:33], 1, s[12:13]
	v_cvt_f16_f32_e32 v33, v196
	v_add_u32_e32 v38, s7, v32
	v_cvt_f16_f32_e32 v17, v17
	global_store_short v[34:35], v36, off
	v_lshl_add_u64 v[34:35], v[38:39], 1, s[12:13]
	v_add_u32_e32 v38, s7, v38
	global_store_short v[34:35], v37, off
	v_lshl_add_u64 v[34:35], v[38:39], 1, s[12:13]
	v_add_u32_e32 v38, s7, v38
	global_store_short v[34:35], v33, off
	v_lshl_add_u64 v[34:35], v[38:39], 1, s[12:13]
	global_store_short v[34:35], v17, off
	v_cvt_f16_f32_e32 v17, v247
	v_add_u32_e32 v38, s7, v38
	v_lshl_add_u64 v[34:35], v[38:39], 1, s[12:13]
	v_cvt_f16_f32_e32 v33, v245
	global_store_short v[34:35], v17, off
	v_cvt_f16_f32_e32 v17, v243
	v_add_u32_e32 v38, s7, v38
	v_lshl_add_u64 v[34:35], v[38:39], 1, s[12:13]
	v_add_u32_e32 v38, s7, v38
	global_store_short v[34:35], v33, off
	v_lshl_add_u64 v[34:35], v[38:39], 1, s[12:13]
	v_cvt_f16_f32_e32 v33, v255
	global_store_short v[34:35], v17, off
	v_cvt_f16_f32_e32 v17, v253
	v_add_u32_e32 v38, s7, v38
	v_lshl_add_u64 v[34:35], v[38:39], 1, s[12:13]
	v_add_u32_e32 v38, s7, v38
	global_store_short v[34:35], v33, off
	;; [unrolled: 8-line block ×3, first 2 shown]
	v_lshl_add_u64 v[34:35], v[38:39], 1, s[12:13]
	v_cvt_f16_f32_e32 v23, v23
	global_store_short v[34:35], v17, off
	v_cvt_f16_f32_e32 v17, v21
	v_add_u32_e32 v38, s7, v38
	v_cvt_f16_f32_e32 v19, v19
	v_lshl_add_u64 v[34:35], v[38:39], 1, s[12:13]
	v_add_u32_e32 v38, s7, v38
	global_store_short v[34:35], v23, off
	v_lshl_add_u64 v[34:35], v[38:39], 1, s[12:13]
	v_add_u32_e32 v38, s7, v38
	global_store_short v[34:35], v17, off
	v_lshl_add_u64 v[34:35], v[38:39], 1, s[12:13]
	global_store_short v[34:35], v19, off
	s_branch .LBB23_2
.LBB23_25:
	s_endpgm
	.section	.rodata,"a",@progbits
	.p2align	6, 0x0
	.amdhsa_kernel _ZN5aiter32wv_splitk_small_fp16_bf16_kernelI6__halfLi64ELi1ELi1ELi8ELi4ELi14EEEviiPKT_S4_PS2_ii
		.amdhsa_group_segment_fixed_size 0
		.amdhsa_private_segment_fixed_size 0
		.amdhsa_kernarg_size 40
		.amdhsa_user_sgpr_count 2
		.amdhsa_user_sgpr_dispatch_ptr 0
		.amdhsa_user_sgpr_queue_ptr 0
		.amdhsa_user_sgpr_kernarg_segment_ptr 1
		.amdhsa_user_sgpr_dispatch_id 0
		.amdhsa_user_sgpr_kernarg_preload_length 0
		.amdhsa_user_sgpr_kernarg_preload_offset 0
		.amdhsa_user_sgpr_private_segment_size 0
		.amdhsa_uses_dynamic_stack 0
		.amdhsa_enable_private_segment 0
		.amdhsa_system_sgpr_workgroup_id_x 1
		.amdhsa_system_sgpr_workgroup_id_y 0
		.amdhsa_system_sgpr_workgroup_id_z 0
		.amdhsa_system_sgpr_workgroup_info 0
		.amdhsa_system_vgpr_workitem_id 1
		.amdhsa_next_free_vgpr 306
		.amdhsa_next_free_sgpr 27
		.amdhsa_accum_offset 256
		.amdhsa_reserve_vcc 1
		.amdhsa_float_round_mode_32 0
		.amdhsa_float_round_mode_16_64 0
		.amdhsa_float_denorm_mode_32 3
		.amdhsa_float_denorm_mode_16_64 3
		.amdhsa_dx10_clamp 1
		.amdhsa_ieee_mode 1
		.amdhsa_fp16_overflow 0
		.amdhsa_tg_split 0
		.amdhsa_exception_fp_ieee_invalid_op 0
		.amdhsa_exception_fp_denorm_src 0
		.amdhsa_exception_fp_ieee_div_zero 0
		.amdhsa_exception_fp_ieee_overflow 0
		.amdhsa_exception_fp_ieee_underflow 0
		.amdhsa_exception_fp_ieee_inexact 0
		.amdhsa_exception_int_div_zero 0
	.end_amdhsa_kernel
	.section	.text._ZN5aiter32wv_splitk_small_fp16_bf16_kernelI6__halfLi64ELi1ELi1ELi8ELi4ELi14EEEviiPKT_S4_PS2_ii,"axG",@progbits,_ZN5aiter32wv_splitk_small_fp16_bf16_kernelI6__halfLi64ELi1ELi1ELi8ELi4ELi14EEEviiPKT_S4_PS2_ii,comdat
.Lfunc_end23:
	.size	_ZN5aiter32wv_splitk_small_fp16_bf16_kernelI6__halfLi64ELi1ELi1ELi8ELi4ELi14EEEviiPKT_S4_PS2_ii, .Lfunc_end23-_ZN5aiter32wv_splitk_small_fp16_bf16_kernelI6__halfLi64ELi1ELi1ELi8ELi4ELi14EEEviiPKT_S4_PS2_ii
                                        ; -- End function
	.section	.AMDGPU.csdata,"",@progbits
; Kernel info:
; codeLenInByte = 6328
; NumSgprs: 33
; NumVgprs: 256
; NumAgprs: 50
; TotalNumVgprs: 306
; ScratchSize: 0
; MemoryBound: 1
; FloatMode: 240
; IeeeMode: 1
; LDSByteSize: 0 bytes/workgroup (compile time only)
; SGPRBlocks: 4
; VGPRBlocks: 38
; NumSGPRsForWavesPerEU: 33
; NumVGPRsForWavesPerEU: 306
; AccumOffset: 256
; Occupancy: 1
; WaveLimiterHint : 0
; COMPUTE_PGM_RSRC2:SCRATCH_EN: 0
; COMPUTE_PGM_RSRC2:USER_SGPR: 2
; COMPUTE_PGM_RSRC2:TRAP_HANDLER: 0
; COMPUTE_PGM_RSRC2:TGID_X_EN: 1
; COMPUTE_PGM_RSRC2:TGID_Y_EN: 0
; COMPUTE_PGM_RSRC2:TGID_Z_EN: 0
; COMPUTE_PGM_RSRC2:TIDIG_COMP_CNT: 1
; COMPUTE_PGM_RSRC3_GFX90A:ACCUM_OFFSET: 63
; COMPUTE_PGM_RSRC3_GFX90A:TG_SPLIT: 0
	.section	.text._ZN5aiter32wv_splitk_small_fp16_bf16_kernelI6__halfLi64ELi1ELi1ELi8ELi4ELi15EEEviiPKT_S4_PS2_ii,"axG",@progbits,_ZN5aiter32wv_splitk_small_fp16_bf16_kernelI6__halfLi64ELi1ELi1ELi8ELi4ELi15EEEviiPKT_S4_PS2_ii,comdat
	.protected	_ZN5aiter32wv_splitk_small_fp16_bf16_kernelI6__halfLi64ELi1ELi1ELi8ELi4ELi15EEEviiPKT_S4_PS2_ii ; -- Begin function _ZN5aiter32wv_splitk_small_fp16_bf16_kernelI6__halfLi64ELi1ELi1ELi8ELi4ELi15EEEviiPKT_S4_PS2_ii
	.globl	_ZN5aiter32wv_splitk_small_fp16_bf16_kernelI6__halfLi64ELi1ELi1ELi8ELi4ELi15EEEviiPKT_S4_PS2_ii
	.p2align	8
	.type	_ZN5aiter32wv_splitk_small_fp16_bf16_kernelI6__halfLi64ELi1ELi1ELi8ELi4ELi15EEEviiPKT_S4_PS2_ii,@function
_ZN5aiter32wv_splitk_small_fp16_bf16_kernelI6__halfLi64ELi1ELi1ELi8ELi4ELi15EEEviiPKT_S4_PS2_ii: ; @_ZN5aiter32wv_splitk_small_fp16_bf16_kernelI6__halfLi64ELi1ELi1ELi8ELi4ELi15EEEviiPKT_S4_PS2_ii
; %bb.0:
	s_load_dwordx2 s[4:5], s[0:1], 0x20
	s_load_dwordx2 s[6:7], s[0:1], 0x0
	v_bfe_u32 v1, v0, 10, 10
	s_waitcnt lgkmcnt(0)
	s_mul_i32 s2, s2, s4
	v_add_u32_e32 v16, s2, v1
	v_cmp_gt_u32_e32 vcc, s7, v16
	s_and_saveexec_b64 s[2:3], vcc
	s_cbranch_execz .LBB24_25
; %bb.1:
	v_and_b32_e32 v0, 0x3ff, v0
	v_lshlrev_b32_e32 v18, 3, v0
	s_load_dwordx4 s[8:11], s[0:1], 0x8
	s_load_dwordx2 s[12:13], s[0:1], 0x18
	v_cmp_eq_u32_e64 s[0:1], 63, v0
	v_mad_u64_u32 v[0:1], s[2:3], s6, 3, v[18:19]
	v_accvgpr_write_b32 a2, v0
	v_lshl_add_u32 v0, s6, 2, v18
	v_accvgpr_write_b32 a1, v0
	v_mad_u64_u32 v[0:1], s[2:3], s6, 5, v[18:19]
	v_accvgpr_write_b32 a4, v0
	v_mad_u64_u32 v[0:1], s[2:3], s6, 6, v[18:19]
	s_cmp_lg_u32 s6, 0
	v_mad_u64_u32 v[20:21], s[2:3], s6, v16, v[18:19]
	v_accvgpr_write_b32 a6, v0
	v_mad_u64_u32 v[36:37], s[2:3], s6, 7, v[18:19]
	v_lshl_add_u32 v0, s6, 3, v18
	v_mad_u64_u32 v[38:39], s[2:3], s6, 9, v[18:19]
	v_mad_u64_u32 v[56:57], s[2:3], s6, 10, v[18:19]
	;; [unrolled: 1-line block ×6, first 2 shown]
	v_accvgpr_write_b32 a3, v0
	v_add_u32_e32 v0, s6, v18
	s_cselect_b64 s[2:3], -1, 0
	s_mul_i32 s24, s5, s4
	v_accvgpr_write_b32 a5, v0
	v_cndmask_b32_e64 v0, 0, 1, s[2:3]
	s_mul_i32 s25, s24, s6
	v_lshl_add_u32 v95, s6, 1, v18
	s_mov_b64 s[14:15], 0
	v_cmp_ne_u32_e64 s[2:3], 1, v0
	v_mov_b32_e32 v145, 0
                                        ; implicit-def: $vgpr0_vgpr1_vgpr2_vgpr3
                                        ; implicit-def: $vgpr4_vgpr5_vgpr6_vgpr7
                                        ; implicit-def: $vgpr8_vgpr9_vgpr10_vgpr11
                                        ; implicit-def: $vgpr12_vgpr13_vgpr14_vgpr15
                                        ; implicit-def: $agpr66_agpr67
                                        ; implicit-def: $agpr58_agpr59
                                        ; implicit-def: $agpr62_agpr63
                                        ; implicit-def: $agpr50_agpr51
                                        ; implicit-def: $agpr54_agpr55
                                        ; implicit-def: $agpr42_agpr43
                                        ; implicit-def: $agpr46_agpr47
                                        ; implicit-def: $agpr34_agpr35
                                        ; implicit-def: $agpr38_agpr39
                                        ; implicit-def: $agpr26_agpr27
                                        ; implicit-def: $agpr30_agpr31
                                        ; implicit-def: $agpr18_agpr19
                                        ; implicit-def: $agpr22_agpr23
                                        ; implicit-def: $agpr10_agpr11
                                        ; implicit-def: $agpr14_agpr15
                                        ; implicit-def: $vgpr178_vgpr179
                                        ; implicit-def: $vgpr162_vgpr163
                                        ; implicit-def: $vgpr174_vgpr175
                                        ; implicit-def: $vgpr130_vgpr131
                                        ; implicit-def: $vgpr142_vgpr143
                                        ; implicit-def: $vgpr106_vgpr107
                                        ; implicit-def: $vgpr118_vgpr119
                                        ; implicit-def: $vgpr78_vgpr79
                                        ; implicit-def: $vgpr86_vgpr87
                                        ; implicit-def: $vgpr54_vgpr55
                                        ; implicit-def: $vgpr66_vgpr67
                                        ; implicit-def: $vgpr42_vgpr43
                                        ; implicit-def: $vgpr46_vgpr47
                                        ; implicit-def: $vgpr26_vgpr27
                                        ; implicit-def: $vgpr30_vgpr31
                                        ; implicit-def: $vgpr222_vgpr223
                                        ; implicit-def: $vgpr210_vgpr211
                                        ; implicit-def: $vgpr218_vgpr219
                                        ; implicit-def: $vgpr186_vgpr187
                                        ; implicit-def: $vgpr194_vgpr195
                                        ; implicit-def: $vgpr158_vgpr159
                                        ; implicit-def: $vgpr170_vgpr171
                                        ; implicit-def: $vgpr126_vgpr127
                                        ; implicit-def: $vgpr138_vgpr139
                                        ; implicit-def: $vgpr102_vgpr103
                                        ; implicit-def: $vgpr114_vgpr115
                                        ; implicit-def: $vgpr74_vgpr75
                                        ; implicit-def: $vgpr82_vgpr83
                                        ; implicit-def: $vgpr50_vgpr51
                                        ; implicit-def: $vgpr62_vgpr63
                                        ; implicit-def: $vgpr254_vgpr255
                                        ; implicit-def: $vgpr242_vgpr243
                                        ; implicit-def: $vgpr246_vgpr247
                                        ; implicit-def: $vgpr226_vgpr227
                                        ; implicit-def: $vgpr230_vgpr231
                                        ; implicit-def: $vgpr206_vgpr207
                                        ; implicit-def: $vgpr214_vgpr215
                                        ; implicit-def: $vgpr182_vgpr183
                                        ; implicit-def: $vgpr190_vgpr191
                                        ; implicit-def: $vgpr154_vgpr155
                                        ; implicit-def: $vgpr166_vgpr167
                                        ; implicit-def: $vgpr122_vgpr123
                                        ; implicit-def: $vgpr134_vgpr135
                                        ; implicit-def: $vgpr98_vgpr99
                                        ; implicit-def: $vgpr110_vgpr111
	s_branch .LBB24_3
.LBB24_2:                               ;   in Loop: Header=BB24_3 Depth=1
	s_or_b64 exec, exec, s[4:5]
	v_accvgpr_read_b32 v16, a0
	v_add_u32_e32 v16, s24, v16
	v_cmp_le_u32_e32 vcc, s7, v16
	s_or_b64 s[14:15], vcc, s[14:15]
	v_add_u32_e32 v20, s25, v20
	s_andn2_b64 exec, exec, s[14:15]
	s_cbranch_execz .LBB24_25
.LBB24_3:                               ; =>This Loop Header: Depth=1
                                        ;     Child Loop BB24_9 Depth 2
	v_accvgpr_write_b32 a0, v16
	s_and_b64 vcc, exec, s[2:3]
	s_mov_b32 s26, 0
	s_cbranch_vccnz .LBB24_22
; %bb.4:                                ;   in Loop: Header=BB24_3 Depth=1
	v_mov_b32_e32 v35, 0
	v_mov_b32_e32 v37, 0
	;; [unrolled: 1-line block ×15, first 2 shown]
	s_branch .LBB24_9
.LBB24_5:                               ;   in Loop: Header=BB24_9 Depth=2
	s_or_b64 exec, exec, s[20:21]
.LBB24_6:                               ;   in Loop: Header=BB24_9 Depth=2
	s_or_b64 exec, exec, s[18:19]
.LBB24_7:                               ;   in Loop: Header=BB24_9 Depth=2
	s_or_b64 exec, exec, s[16:17]
.LBB24_8:                               ;   in Loop: Header=BB24_9 Depth=2
	s_or_b64 exec, exec, s[4:5]
	s_addk_i32 s26, 0x800
	s_cmp_ge_u32 s26, s6
	s_cbranch_scc1 .LBB24_23
.LBB24_9:                               ;   Parent Loop BB24_3 Depth=1
                                        ; =>  This Inner Loop Header: Depth=2
	v_add_u32_e32 v92, s26, v18
	v_cmp_gt_u32_e32 vcc, s6, v92
	v_add_u32_e32 v94, 0x200, v92
	s_and_saveexec_b64 s[16:17], vcc
	s_cbranch_execz .LBB24_17
; %bb.10:                               ;   in Loop: Header=BB24_9 Depth=2
	v_accvgpr_read_b32 v90, a5
	v_add_u32_e32 v144, s26, v20
	v_mov_b32_e32 v93, v145
	v_add_u32_e32 v250, s26, v90
	v_mov_b32_e32 v251, v145
	s_waitcnt vmcnt(15) lgkmcnt(0)
	v_lshl_add_u64 v[12:13], v[144:145], 1, s[8:9]
	v_lshl_add_u64 v[16:17], v[92:93], 1, s[10:11]
	;; [unrolled: 1-line block ×3, first 2 shown]
	global_load_dwordx4 v[12:15], v[12:13], off nt
	s_nop 0
	global_load_dwordx4 v[108:111], v[16:17], off
	global_load_dwordx4 v[96:99], v[90:91], off
	v_add_u32_e32 v248, s26, v95
	v_mov_b32_e32 v249, v145
	v_accvgpr_read_b32 v90, a2
	v_lshl_add_u64 v[16:17], v[248:249], 1, s[10:11]
	v_add_u32_e32 v238, s26, v90
	v_mov_b32_e32 v239, v145
	v_lshl_add_u64 v[90:91], v[238:239], 1, s[10:11]
	global_load_dwordx4 v[132:135], v[16:17], off
	global_load_dwordx4 v[120:123], v[90:91], off
	v_accvgpr_read_b32 v16, a1
	v_add_u32_e32 v236, s26, v16
	v_mov_b32_e32 v237, v145
	v_accvgpr_read_b32 v90, a4
	v_lshl_add_u64 v[16:17], v[236:237], 1, s[10:11]
	v_add_u32_e32 v234, s26, v90
	v_mov_b32_e32 v235, v145
	v_lshl_add_u64 v[90:91], v[234:235], 1, s[10:11]
	global_load_dwordx4 v[164:167], v[16:17], off
	global_load_dwordx4 v[152:155], v[90:91], off
	v_accvgpr_read_b32 v16, a6
	v_add_u32_e32 v232, s26, v16
	v_mov_b32_e32 v233, v145
	v_lshl_add_u64 v[16:17], v[232:233], 1, s[10:11]
	v_add_u32_e32 v202, s26, v36
	v_mov_b32_e32 v203, v145
	v_lshl_add_u64 v[90:91], v[202:203], 1, s[10:11]
	global_load_dwordx4 v[188:191], v[16:17], off
	global_load_dwordx4 v[180:183], v[90:91], off
	v_accvgpr_read_b32 v16, a3
	v_add_u32_e32 v200, s26, v16
	v_mov_b32_e32 v201, v145
	v_lshl_add_u64 v[16:17], v[200:201], 1, s[10:11]
	v_add_u32_e32 v198, s26, v38
	v_mov_b32_e32 v199, v145
	v_add_u32_e32 v196, s26, v56
	v_mov_b32_e32 v197, v145
	v_lshl_add_u64 v[90:91], v[198:199], 1, s[10:11]
	global_load_dwordx4 v[212:215], v[16:17], off
	global_load_dwordx4 v[204:207], v[90:91], off
	v_lshl_add_u64 v[16:17], v[196:197], 1, s[10:11]
	v_add_u32_e32 v150, s26, v58
	v_mov_b32_e32 v151, v145
	v_add_u32_e32 v148, s26, v68
	v_mov_b32_e32 v149, v145
	v_lshl_add_u64 v[90:91], v[150:151], 1, s[10:11]
	global_load_dwordx4 v[228:231], v[16:17], off
	global_load_dwordx4 v[224:227], v[90:91], off
	v_lshl_add_u64 v[16:17], v[148:149], 1, s[10:11]
	v_add_u32_e32 v146, s26, v70
	v_mov_b32_e32 v147, v145
	v_lshl_add_u64 v[90:91], v[146:147], 1, s[10:11]
	global_load_dwordx4 v[244:247], v[16:17], off
	global_load_dwordx4 v[240:243], v[90:91], off
	v_add_u32_e32 v16, s26, v88
	v_mov_b32_e32 v17, v145
	v_lshl_add_u64 v[90:91], v[16:17], 1, s[10:11]
	global_load_dwordx4 v[252:255], v[90:91], off
	v_cmp_gt_u32_e64 s[4:5], s6, v94
	s_and_saveexec_b64 s[18:19], s[4:5]
	s_cbranch_execz .LBB24_16
; %bb.11:                               ;   in Loop: Header=BB24_9 Depth=2
	v_mov_b32_e32 v93, v95
	v_add_u32_e32 v8, 0x200, v144
	v_mov_b32_e32 v9, v145
	v_mov_b32_e32 v95, v145
	s_waitcnt vmcnt(29)
	v_add_u32_e32 v50, 0x200, v250
	v_mov_b32_e32 v51, v145
	s_waitcnt vmcnt(27)
	v_add_u32_e32 v72, 0x200, v248
	v_mov_b32_e32 v73, v145
	v_add_u32_e32 v74, 0x200, v238
	v_mov_b32_e32 v75, v145
	;; [unrolled: 2-line block ×3, first 2 shown]
	s_waitcnt vmcnt(25)
	v_add_u32_e32 v100, 0x200, v234
	v_mov_b32_e32 v101, v145
	v_lshl_add_u64 v[8:9], v[8:9], 1, s[8:9]
	v_lshl_add_u64 v[48:49], v[94:95], 1, s[10:11]
	;; [unrolled: 1-line block ×7, first 2 shown]
	global_load_dwordx4 v[8:11], v[8:9], off nt
	s_nop 0
	global_load_dwordx4 v[60:63], v[48:49], off
	s_nop 0
	global_load_dwordx4 v[48:51], v[50:51], off
	;; [unrolled: 2-line block ×6, first 2 shown]
	v_add_u32_e32 v90, 0x200, v232
	v_mov_b32_e32 v91, v145
	s_waitcnt vmcnt(30)
	v_add_u32_e32 v124, 0x200, v202
	v_mov_b32_e32 v125, v145
	v_lshl_add_u64 v[90:91], v[90:91], 1, s[10:11]
	v_lshl_add_u64 v[124:125], v[124:125], 1, s[10:11]
	global_load_dwordx4 v[136:139], v[90:91], off
	s_nop 0
	global_load_dwordx4 v[124:127], v[124:125], off
	v_add_u32_e32 v90, 0x200, v200
	v_mov_b32_e32 v91, v145
	s_waitcnt vmcnt(30)
	v_add_u32_e32 v156, 0x200, v198
	v_mov_b32_e32 v157, v145
	v_lshl_add_u64 v[90:91], v[90:91], 1, s[10:11]
	v_lshl_add_u64 v[156:157], v[156:157], 1, s[10:11]
	global_load_dwordx4 v[168:171], v[90:91], off
	s_nop 0
	global_load_dwordx4 v[156:159], v[156:157], off
	;; [unrolled: 10-line block ×4, first 2 shown]
	v_add_u32_e32 v90, 0x200, v16
	v_mov_b32_e32 v91, v145
	v_lshl_add_u64 v[90:91], v[90:91], 1, s[10:11]
	global_load_dwordx4 v[220:223], v[90:91], off
	v_add_u32_e32 v90, 0x400, v92
	v_cmp_gt_u32_e64 s[4:5], s6, v90
	s_and_saveexec_b64 s[20:21], s[4:5]
	s_cbranch_execz .LBB24_15
; %bb.12:                               ;   in Loop: Header=BB24_9 Depth=2
	v_mov_b32_e32 v91, v145
	v_add_u32_e32 v4, 0x400, v144
	v_mov_b32_e32 v5, v145
	v_lshl_add_u64 v[24:25], v[90:91], 1, s[10:11]
	v_add_u32_e32 v26, 0x400, v250
	v_mov_b32_e32 v27, v145
	v_add_u32_e32 v40, 0x400, v248
	v_mov_b32_e32 v41, v145
	;; [unrolled: 2-line block ×7, first 2 shown]
	v_add_u32_e32 v90, 0x400, v200
	v_add_u32_e32 v104, 0x400, v198
	v_mov_b32_e32 v105, v145
	v_lshl_add_u64 v[4:5], v[4:5], 1, s[8:9]
	v_lshl_add_u64 v[26:27], v[26:27], 1, s[10:11]
	;; [unrolled: 1-line block ×10, first 2 shown]
	global_load_dwordx4 v[4:7], v[4:5], off nt
	s_nop 0
	global_load_dwordx4 v[28:31], v[24:25], off
	s_nop 0
	global_load_dwordx4 v[24:27], v[26:27], off
	;; [unrolled: 2-line block ×10, first 2 shown]
	v_add_u32_e32 v90, 0x400, v196
	v_mov_b32_e32 v91, v145
	v_add_u32_e32 v128, 0x400, v150
	v_mov_b32_e32 v129, v145
	v_lshl_add_u64 v[90:91], v[90:91], 1, s[10:11]
	v_lshl_add_u64 v[128:129], v[128:129], 1, s[10:11]
	global_load_dwordx4 v[140:143], v[90:91], off
	s_nop 0
	global_load_dwordx4 v[128:131], v[128:129], off
	v_add_u32_e32 v90, 0x400, v148
	v_mov_b32_e32 v91, v145
	v_add_u32_e32 v160, 0x400, v146
	v_mov_b32_e32 v161, v145
	v_lshl_add_u64 v[90:91], v[90:91], 1, s[10:11]
	v_lshl_add_u64 v[160:161], v[160:161], 1, s[10:11]
	global_load_dwordx4 v[172:175], v[90:91], off
	s_nop 0
	global_load_dwordx4 v[160:163], v[160:161], off
	v_add_u32_e32 v90, 0x400, v16
	v_mov_b32_e32 v91, v145
	v_lshl_add_u64 v[90:91], v[90:91], 1, s[10:11]
	global_load_dwordx4 v[176:179], v[90:91], off
	v_add_u32_e32 v90, 0x600, v92
	v_cmp_gt_u32_e64 s[4:5], s6, v90
	s_and_saveexec_b64 s[22:23], s[4:5]
	s_cbranch_execz .LBB24_14
; %bb.13:                               ;   in Loop: Header=BB24_9 Depth=2
	v_add_u32_e32 v144, 0x600, v144
	v_lshl_add_u64 v[0:1], v[144:145], 1, s[8:9]
	v_mov_b32_e32 v91, v145
	v_add_u32_e32 v144, 0x600, v250
	v_lshl_add_u64 v[90:91], v[90:91], 1, s[10:11]
	v_lshl_add_u64 v[250:251], v[144:145], 1, s[10:11]
	v_add_u32_e32 v144, 0x600, v248
	global_load_dwordx4 v[0:3], v[0:1], off nt
	s_nop 0
	global_load_dwordx4 a[12:15], v[90:91], off
	global_load_dwordx4 a[8:11], v[250:251], off
	v_lshl_add_u64 v[90:91], v[144:145], 1, s[10:11]
	v_add_u32_e32 v144, 0x600, v238
	v_lshl_add_u64 v[238:239], v[144:145], 1, s[10:11]
	v_add_u32_e32 v144, 0x600, v236
	global_load_dwordx4 a[20:23], v[90:91], off
	global_load_dwordx4 a[16:19], v[238:239], off
	v_lshl_add_u64 v[90:91], v[144:145], 1, s[10:11]
	v_add_u32_e32 v144, 0x600, v234
	v_lshl_add_u64 v[234:235], v[144:145], 1, s[10:11]
	v_add_u32_e32 v144, 0x600, v232
	;; [unrolled: 6-line block ×6, first 2 shown]
	v_lshl_add_u64 v[16:17], v[144:145], 1, s[10:11]
	global_load_dwordx4 a[60:63], v[90:91], off
	global_load_dwordx4 a[56:59], v[146:147], off
	;; [unrolled: 1-line block ×3, first 2 shown]
.LBB24_14:                              ;   in Loop: Header=BB24_9 Depth=2
	s_or_b64 exec, exec, s[22:23]
.LBB24_15:                              ;   in Loop: Header=BB24_9 Depth=2
	s_or_b64 exec, exec, s[20:21]
	v_mov_b32_e32 v95, v93
.LBB24_16:                              ;   in Loop: Header=BB24_9 Depth=2
	s_or_b64 exec, exec, s[18:19]
.LBB24_17:                              ;   in Loop: Header=BB24_9 Depth=2
	s_or_b64 exec, exec, s[16:17]
	s_and_saveexec_b64 s[4:5], vcc
	s_cbranch_execz .LBB24_8
; %bb.18:                               ;   in Loop: Header=BB24_9 Depth=2
	s_waitcnt vmcnt(14)
	;;#ASMSTART
	v_dot2c_f32_f16 v34, v108, v12
	;;#ASMEND
	s_waitcnt vmcnt(13)
	;;#ASMSTART
	v_dot2c_f32_f16 v32, v96, v12
	;;#ASMEND
	;; [unrolled: 4-line block ×15, first 2 shown]
	v_cmp_gt_u32_e32 vcc, s6, v94
	;;#ASMSTART
	v_dot2c_f32_f16 v34, v109, v13
	;;#ASMEND
	;;#ASMSTART
	v_dot2c_f32_f16 v32, v97, v13
	;;#ASMEND
	;; [unrolled: 3-line block ×15, first 2 shown]
	s_nop 0
	;;#ASMSTART
	v_dot2c_f32_f16 v34, v110, v14
	;;#ASMEND
	;;#ASMSTART
	v_dot2c_f32_f16 v32, v98, v14
	;;#ASMEND
	;;#ASMSTART
	v_dot2c_f32_f16 v22, v134, v14
	;;#ASMEND
	;;#ASMSTART
	v_dot2c_f32_f16 v33, v122, v14
	;;#ASMEND
	;;#ASMSTART
	v_dot2c_f32_f16 v23, v166, v14
	;;#ASMEND
	;;#ASMSTART
	v_dot2c_f32_f16 v21, v154, v14
	;;#ASMEND
	;;#ASMSTART
	v_dot2c_f32_f16 v19, v190, v14
	;;#ASMEND
	;;#ASMSTART
	v_dot2c_f32_f16 v89, v182, v14
	;;#ASMEND
	;;#ASMSTART
	v_dot2c_f32_f16 v71, v214, v14
	;;#ASMEND
	;;#ASMSTART
	v_dot2c_f32_f16 v69, v206, v14
	;;#ASMEND
	;;#ASMSTART
	v_dot2c_f32_f16 v59, v230, v14
	;;#ASMEND
	;;#ASMSTART
	v_dot2c_f32_f16 v57, v226, v14
	;;#ASMEND
	;;#ASMSTART
	v_dot2c_f32_f16 v39, v246, v14
	;;#ASMEND
	;;#ASMSTART
	v_dot2c_f32_f16 v37, v242, v14
	;;#ASMEND
	;;#ASMSTART
	v_dot2c_f32_f16 v35, v254, v14
	;;#ASMEND
	s_nop 0
	;;#ASMSTART
	v_dot2c_f32_f16 v34, v111, v15
	;;#ASMEND
	;;#ASMSTART
	v_dot2c_f32_f16 v32, v99, v15
	;;#ASMEND
	;;#ASMSTART
	v_dot2c_f32_f16 v22, v135, v15
	;;#ASMEND
	;;#ASMSTART
	v_dot2c_f32_f16 v33, v123, v15
	;;#ASMEND
	;;#ASMSTART
	v_dot2c_f32_f16 v23, v167, v15
	;;#ASMEND
	;;#ASMSTART
	v_dot2c_f32_f16 v21, v155, v15
	;;#ASMEND
	;;#ASMSTART
	v_dot2c_f32_f16 v19, v191, v15
	;;#ASMEND
	;;#ASMSTART
	v_dot2c_f32_f16 v89, v183, v15
	;;#ASMEND
	;;#ASMSTART
	v_dot2c_f32_f16 v71, v215, v15
	;;#ASMEND
	;;#ASMSTART
	v_dot2c_f32_f16 v69, v207, v15
	;;#ASMEND
	;;#ASMSTART
	v_dot2c_f32_f16 v59, v231, v15
	;;#ASMEND
	;;#ASMSTART
	v_dot2c_f32_f16 v57, v227, v15
	;;#ASMEND
	;;#ASMSTART
	v_dot2c_f32_f16 v39, v247, v15
	;;#ASMEND
	;;#ASMSTART
	v_dot2c_f32_f16 v37, v243, v15
	;;#ASMEND
	;;#ASMSTART
	v_dot2c_f32_f16 v35, v255, v15
	;;#ASMEND
	s_and_saveexec_b64 s[16:17], vcc
	s_cbranch_execz .LBB24_7
; %bb.19:                               ;   in Loop: Header=BB24_9 Depth=2
	;;#ASMSTART
	v_dot2c_f32_f16 v34, v60, v8
	;;#ASMEND
	;;#ASMSTART
	v_dot2c_f32_f16 v32, v48, v8
	;;#ASMEND
	;; [unrolled: 3-line block ×15, first 2 shown]
	v_add_u32_e32 v16, 0x400, v92
	;;#ASMSTART
	v_dot2c_f32_f16 v34, v61, v9
	;;#ASMEND
	;;#ASMSTART
	v_dot2c_f32_f16 v32, v49, v9
	;;#ASMEND
	;; [unrolled: 3-line block ×15, first 2 shown]
	v_cmp_gt_u32_e32 vcc, s6, v16
	;;#ASMSTART
	v_dot2c_f32_f16 v34, v62, v10
	;;#ASMEND
	;;#ASMSTART
	v_dot2c_f32_f16 v32, v50, v10
	;;#ASMEND
	;; [unrolled: 3-line block ×15, first 2 shown]
	s_nop 0
	;;#ASMSTART
	v_dot2c_f32_f16 v34, v63, v11
	;;#ASMEND
	;;#ASMSTART
	v_dot2c_f32_f16 v32, v51, v11
	;;#ASMEND
	;; [unrolled: 3-line block ×15, first 2 shown]
	s_and_saveexec_b64 s[18:19], vcc
	s_cbranch_execz .LBB24_6
; %bb.20:                               ;   in Loop: Header=BB24_9 Depth=2
	;;#ASMSTART
	v_dot2c_f32_f16 v34, v28, v4
	;;#ASMEND
	;;#ASMSTART
	v_dot2c_f32_f16 v32, v24, v4
	;;#ASMEND
	;; [unrolled: 3-line block ×15, first 2 shown]
	v_add_u32_e32 v16, 0x600, v92
	;;#ASMSTART
	v_dot2c_f32_f16 v34, v29, v5
	;;#ASMEND
	;;#ASMSTART
	v_dot2c_f32_f16 v32, v25, v5
	;;#ASMEND
	;; [unrolled: 3-line block ×15, first 2 shown]
	v_cmp_gt_u32_e32 vcc, s6, v16
	;;#ASMSTART
	v_dot2c_f32_f16 v34, v30, v6
	;;#ASMEND
	;;#ASMSTART
	v_dot2c_f32_f16 v32, v26, v6
	;;#ASMEND
	;; [unrolled: 3-line block ×15, first 2 shown]
	s_nop 0
	;;#ASMSTART
	v_dot2c_f32_f16 v34, v31, v7
	;;#ASMEND
	;;#ASMSTART
	v_dot2c_f32_f16 v32, v27, v7
	;;#ASMEND
	;; [unrolled: 3-line block ×15, first 2 shown]
	s_and_saveexec_b64 s[20:21], vcc
	s_cbranch_execz .LBB24_5
; %bb.21:                               ;   in Loop: Header=BB24_9 Depth=2
	v_accvgpr_read_b32 v93, a15
	v_accvgpr_read_b32 v90, a12
	;;#ASMSTART
	v_dot2c_f32_f16 v34, v90, v0
	;;#ASMEND
	v_accvgpr_read_b32 v91, a13
	;;#ASMSTART
	v_dot2c_f32_f16 v34, v91, v1
	;;#ASMEND
	v_accvgpr_read_b32 v92, a14
	;;#ASMSTART
	v_dot2c_f32_f16 v34, v92, v2
	;;#ASMEND
	s_nop 0
	;;#ASMSTART
	v_dot2c_f32_f16 v34, v93, v3
	;;#ASMEND
	v_accvgpr_read_b32 v93, a11
	v_accvgpr_read_b32 v90, a8
	;;#ASMSTART
	v_dot2c_f32_f16 v32, v90, v0
	;;#ASMEND
	v_accvgpr_read_b32 v91, a9
	;;#ASMSTART
	v_dot2c_f32_f16 v32, v91, v1
	;;#ASMEND
	v_accvgpr_read_b32 v92, a10
	;;#ASMSTART
	v_dot2c_f32_f16 v32, v92, v2
	;;#ASMEND
	s_nop 0
	;;#ASMSTART
	v_dot2c_f32_f16 v32, v93, v3
	;;#ASMEND
	;; [unrolled: 17-line block ×15, first 2 shown]
	s_branch .LBB24_5
.LBB24_22:                              ;   in Loop: Header=BB24_3 Depth=1
	v_mov_b32_e32 v34, v145
	v_mov_b32_e32 v32, v145
	;; [unrolled: 1-line block ×15, first 2 shown]
.LBB24_23:                              ;   in Loop: Header=BB24_3 Depth=1
	;;#ASMSTART
	s_nop 0
	v_add_f32 v34, v34, v34 row_shr:8 bound_ctrl:0 
	;;#ASMEND
	;;#ASMSTART
	s_nop 0
	v_add_f32 v32, v32, v32 row_shr:8 bound_ctrl:0 
	;;#ASMEND
	;;#ASMSTART
	s_nop 0
	v_add_f32 v22, v22, v22 row_shr:8 bound_ctrl:0 
	;;#ASMEND
	;;#ASMSTART
	s_nop 0
	v_add_f32 v33, v33, v33 row_shr:8 bound_ctrl:0 
	;;#ASMEND
	;;#ASMSTART
	s_nop 0
	v_add_f32 v23, v23, v23 row_shr:8 bound_ctrl:0 
	;;#ASMEND
	;;#ASMSTART
	s_nop 0
	v_add_f32 v21, v21, v21 row_shr:8 bound_ctrl:0 
	;;#ASMEND
	;;#ASMSTART
	s_nop 0
	v_add_f32 v19, v19, v19 row_shr:8 bound_ctrl:0 
	;;#ASMEND
	;;#ASMSTART
	s_nop 0
	v_add_f32 v89, v89, v89 row_shr:8 bound_ctrl:0 
	;;#ASMEND
	;;#ASMSTART
	s_nop 0
	v_add_f32 v71, v71, v71 row_shr:8 bound_ctrl:0 
	;;#ASMEND
	;;#ASMSTART
	s_nop 0
	v_add_f32 v69, v69, v69 row_shr:8 bound_ctrl:0 
	;;#ASMEND
	;;#ASMSTART
	s_nop 0
	v_add_f32 v59, v59, v59 row_shr:8 bound_ctrl:0 
	;;#ASMEND
	;;#ASMSTART
	s_nop 0
	v_add_f32 v57, v57, v57 row_shr:8 bound_ctrl:0 
	;;#ASMEND
	;;#ASMSTART
	s_nop 0
	v_add_f32 v39, v39, v39 row_shr:8 bound_ctrl:0 
	;;#ASMEND
	;;#ASMSTART
	s_nop 0
	v_add_f32 v37, v37, v37 row_shr:8 bound_ctrl:0 
	;;#ASMEND
	;;#ASMSTART
	s_nop 0
	v_add_f32 v35, v35, v35 row_shr:8 bound_ctrl:0 
	;;#ASMEND
	s_nop 0
	;;#ASMSTART
	s_nop 0
	v_add_f32 v34, v34, v34 row_shr:4 bound_ctrl:0 
	;;#ASMEND
	;;#ASMSTART
	s_nop 0
	v_add_f32 v32, v32, v32 row_shr:4 bound_ctrl:0 
	;;#ASMEND
	;;#ASMSTART
	s_nop 0
	v_add_f32 v22, v22, v22 row_shr:4 bound_ctrl:0 
	;;#ASMEND
	;;#ASMSTART
	s_nop 0
	v_add_f32 v33, v33, v33 row_shr:4 bound_ctrl:0 
	;;#ASMEND
	;;#ASMSTART
	s_nop 0
	v_add_f32 v23, v23, v23 row_shr:4 bound_ctrl:0 
	;;#ASMEND
	;;#ASMSTART
	s_nop 0
	v_add_f32 v21, v21, v21 row_shr:4 bound_ctrl:0 
	;;#ASMEND
	;;#ASMSTART
	s_nop 0
	v_add_f32 v19, v19, v19 row_shr:4 bound_ctrl:0 
	;;#ASMEND
	;;#ASMSTART
	s_nop 0
	v_add_f32 v89, v89, v89 row_shr:4 bound_ctrl:0 
	;;#ASMEND
	;;#ASMSTART
	s_nop 0
	v_add_f32 v71, v71, v71 row_shr:4 bound_ctrl:0 
	;;#ASMEND
	;;#ASMSTART
	s_nop 0
	v_add_f32 v69, v69, v69 row_shr:4 bound_ctrl:0 
	;;#ASMEND
	;;#ASMSTART
	s_nop 0
	v_add_f32 v59, v59, v59 row_shr:4 bound_ctrl:0 
	;;#ASMEND
	;;#ASMSTART
	s_nop 0
	v_add_f32 v57, v57, v57 row_shr:4 bound_ctrl:0 
	;;#ASMEND
	;;#ASMSTART
	s_nop 0
	v_add_f32 v39, v39, v39 row_shr:4 bound_ctrl:0 
	;;#ASMEND
	;;#ASMSTART
	s_nop 0
	v_add_f32 v37, v37, v37 row_shr:4 bound_ctrl:0 
	;;#ASMEND
	;;#ASMSTART
	s_nop 0
	v_add_f32 v35, v35, v35 row_shr:4 bound_ctrl:0 
	;;#ASMEND
	s_nop 0
	;; [unrolled: 61-line block ×3, first 2 shown]
	;;#ASMSTART
	s_nop 0
	v_add_f32 v34, v34, v34 wave_shr:1 bound_ctrl:0
	;;#ASMEND
	;;#ASMSTART
	s_nop 0
	v_add_f32 v32, v32, v32 wave_shr:1 bound_ctrl:0
	;;#ASMEND
	;; [unrolled: 4-line block ×15, first 2 shown]
	s_nop 0
	;;#ASMSTART
	s_nop 0
	v_add_f32 v34, v34, v34 row_bcast:15 bound_ctrl:0
	;;#ASMEND
	;;#ASMSTART
	s_nop 0
	v_add_f32 v32, v32, v32 row_bcast:15 bound_ctrl:0
	;;#ASMEND
	;; [unrolled: 4-line block ×15, first 2 shown]
	s_nop 0
	;;#ASMSTART
	s_nop 0
	v_add_f32 v34, v34, v34 row_bcast:31 bound_ctrl:0
	;;#ASMEND
	;;#ASMSTART
	s_nop 0
	v_add_f32 v32, v32, v32 row_bcast:31 bound_ctrl:0
	;;#ASMEND
	;; [unrolled: 4-line block ×15, first 2 shown]
	s_and_saveexec_b64 s[4:5], s[0:1]
	s_cbranch_execz .LBB24_2
; %bb.24:                               ;   in Loop: Header=BB24_3 Depth=1
	v_cvt_f16_f32_e32 v34, v34
	v_cvt_f16_f32_e32 v32, v32
	v_accvgpr_read_b32 v90, a0
	v_mov_b32_e32 v91, v145
	v_cvt_f16_f32_e32 v22, v22
	s_waitcnt lgkmcnt(0)
	v_lshl_add_u64 v[16:17], v[90:91], 1, s[12:13]
	v_add_u32_e32 v144, s7, v90
	global_store_short v[16:17], v34, off
	v_lshl_add_u64 v[16:17], v[144:145], 1, s[12:13]
	v_add_u32_e32 v144, s7, v144
	global_store_short v[16:17], v32, off
	v_lshl_add_u64 v[16:17], v[144:145], 1, s[12:13]
	global_store_short v[16:17], v22, off
	v_cvt_f16_f32_e32 v22, v33
	v_cvt_f16_f32_e32 v23, v23
	v_add_u32_e32 v144, s7, v144
	v_cvt_f16_f32_e32 v21, v21
	v_lshl_add_u64 v[16:17], v[144:145], 1, s[12:13]
	v_add_u32_e32 v144, s7, v144
	v_cvt_f16_f32_e32 v19, v19
	global_store_short v[16:17], v22, off
	v_lshl_add_u64 v[16:17], v[144:145], 1, s[12:13]
	v_add_u32_e32 v144, s7, v144
	global_store_short v[16:17], v23, off
	v_lshl_add_u64 v[16:17], v[144:145], 1, s[12:13]
	v_add_u32_e32 v144, s7, v144
	global_store_short v[16:17], v21, off
	v_lshl_add_u64 v[16:17], v[144:145], 1, s[12:13]
	global_store_short v[16:17], v19, off
	v_cvt_f16_f32_e32 v19, v89
	v_cvt_f16_f32_e32 v21, v71
	v_add_u32_e32 v144, s7, v144
	v_lshl_add_u64 v[16:17], v[144:145], 1, s[12:13]
	v_add_u32_e32 v144, s7, v144
	global_store_short v[16:17], v19, off
	v_lshl_add_u64 v[16:17], v[144:145], 1, s[12:13]
	v_cvt_f16_f32_e32 v19, v69
	global_store_short v[16:17], v21, off
	v_cvt_f16_f32_e32 v21, v59
	v_add_u32_e32 v144, s7, v144
	v_lshl_add_u64 v[16:17], v[144:145], 1, s[12:13]
	v_add_u32_e32 v144, s7, v144
	global_store_short v[16:17], v19, off
	v_lshl_add_u64 v[16:17], v[144:145], 1, s[12:13]
	v_cvt_f16_f32_e32 v19, v57
	global_store_short v[16:17], v21, off
	v_cvt_f16_f32_e32 v21, v39
	v_add_u32_e32 v144, s7, v144
	v_lshl_add_u64 v[16:17], v[144:145], 1, s[12:13]
	v_add_u32_e32 v144, s7, v144
	global_store_short v[16:17], v19, off
	v_lshl_add_u64 v[16:17], v[144:145], 1, s[12:13]
	v_cvt_f16_f32_e32 v19, v37
	global_store_short v[16:17], v21, off
	v_cvt_f16_f32_e32 v21, v35
	v_add_u32_e32 v144, s7, v144
	v_lshl_add_u64 v[16:17], v[144:145], 1, s[12:13]
	v_add_u32_e32 v144, s7, v144
	global_store_short v[16:17], v19, off
	v_lshl_add_u64 v[16:17], v[144:145], 1, s[12:13]
	global_store_short v[16:17], v21, off
	s_branch .LBB24_2
.LBB24_25:
	s_endpgm
	.section	.rodata,"a",@progbits
	.p2align	6, 0x0
	.amdhsa_kernel _ZN5aiter32wv_splitk_small_fp16_bf16_kernelI6__halfLi64ELi1ELi1ELi8ELi4ELi15EEEviiPKT_S4_PS2_ii
		.amdhsa_group_segment_fixed_size 0
		.amdhsa_private_segment_fixed_size 0
		.amdhsa_kernarg_size 40
		.amdhsa_user_sgpr_count 2
		.amdhsa_user_sgpr_dispatch_ptr 0
		.amdhsa_user_sgpr_queue_ptr 0
		.amdhsa_user_sgpr_kernarg_segment_ptr 1
		.amdhsa_user_sgpr_dispatch_id 0
		.amdhsa_user_sgpr_kernarg_preload_length 0
		.amdhsa_user_sgpr_kernarg_preload_offset 0
		.amdhsa_user_sgpr_private_segment_size 0
		.amdhsa_uses_dynamic_stack 0
		.amdhsa_enable_private_segment 0
		.amdhsa_system_sgpr_workgroup_id_x 1
		.amdhsa_system_sgpr_workgroup_id_y 0
		.amdhsa_system_sgpr_workgroup_id_z 0
		.amdhsa_system_sgpr_workgroup_info 0
		.amdhsa_system_vgpr_workitem_id 1
		.amdhsa_next_free_vgpr 324
		.amdhsa_next_free_sgpr 27
		.amdhsa_accum_offset 256
		.amdhsa_reserve_vcc 1
		.amdhsa_float_round_mode_32 0
		.amdhsa_float_round_mode_16_64 0
		.amdhsa_float_denorm_mode_32 3
		.amdhsa_float_denorm_mode_16_64 3
		.amdhsa_dx10_clamp 1
		.amdhsa_ieee_mode 1
		.amdhsa_fp16_overflow 0
		.amdhsa_tg_split 0
		.amdhsa_exception_fp_ieee_invalid_op 0
		.amdhsa_exception_fp_denorm_src 0
		.amdhsa_exception_fp_ieee_div_zero 0
		.amdhsa_exception_fp_ieee_overflow 0
		.amdhsa_exception_fp_ieee_underflow 0
		.amdhsa_exception_fp_ieee_inexact 0
		.amdhsa_exception_int_div_zero 0
	.end_amdhsa_kernel
	.section	.text._ZN5aiter32wv_splitk_small_fp16_bf16_kernelI6__halfLi64ELi1ELi1ELi8ELi4ELi15EEEviiPKT_S4_PS2_ii,"axG",@progbits,_ZN5aiter32wv_splitk_small_fp16_bf16_kernelI6__halfLi64ELi1ELi1ELi8ELi4ELi15EEEviiPKT_S4_PS2_ii,comdat
.Lfunc_end24:
	.size	_ZN5aiter32wv_splitk_small_fp16_bf16_kernelI6__halfLi64ELi1ELi1ELi8ELi4ELi15EEEviiPKT_S4_PS2_ii, .Lfunc_end24-_ZN5aiter32wv_splitk_small_fp16_bf16_kernelI6__halfLi64ELi1ELi1ELi8ELi4ELi15EEEviiPKT_S4_PS2_ii
                                        ; -- End function
	.section	.AMDGPU.csdata,"",@progbits
; Kernel info:
; codeLenInByte = 6868
; NumSgprs: 33
; NumVgprs: 256
; NumAgprs: 68
; TotalNumVgprs: 324
; ScratchSize: 0
; MemoryBound: 1
; FloatMode: 240
; IeeeMode: 1
; LDSByteSize: 0 bytes/workgroup (compile time only)
; SGPRBlocks: 4
; VGPRBlocks: 40
; NumSGPRsForWavesPerEU: 33
; NumVGPRsForWavesPerEU: 324
; AccumOffset: 256
; Occupancy: 1
; WaveLimiterHint : 0
; COMPUTE_PGM_RSRC2:SCRATCH_EN: 0
; COMPUTE_PGM_RSRC2:USER_SGPR: 2
; COMPUTE_PGM_RSRC2:TRAP_HANDLER: 0
; COMPUTE_PGM_RSRC2:TGID_X_EN: 1
; COMPUTE_PGM_RSRC2:TGID_Y_EN: 0
; COMPUTE_PGM_RSRC2:TGID_Z_EN: 0
; COMPUTE_PGM_RSRC2:TIDIG_COMP_CNT: 1
; COMPUTE_PGM_RSRC3_GFX90A:ACCUM_OFFSET: 63
; COMPUTE_PGM_RSRC3_GFX90A:TG_SPLIT: 0
	.section	.text._ZN5aiter32wv_splitk_small_fp16_bf16_kernelI6__halfLi64ELi1ELi1ELi8ELi4ELi16EEEviiPKT_S4_PS2_ii,"axG",@progbits,_ZN5aiter32wv_splitk_small_fp16_bf16_kernelI6__halfLi64ELi1ELi1ELi8ELi4ELi16EEEviiPKT_S4_PS2_ii,comdat
	.protected	_ZN5aiter32wv_splitk_small_fp16_bf16_kernelI6__halfLi64ELi1ELi1ELi8ELi4ELi16EEEviiPKT_S4_PS2_ii ; -- Begin function _ZN5aiter32wv_splitk_small_fp16_bf16_kernelI6__halfLi64ELi1ELi1ELi8ELi4ELi16EEEviiPKT_S4_PS2_ii
	.globl	_ZN5aiter32wv_splitk_small_fp16_bf16_kernelI6__halfLi64ELi1ELi1ELi8ELi4ELi16EEEviiPKT_S4_PS2_ii
	.p2align	8
	.type	_ZN5aiter32wv_splitk_small_fp16_bf16_kernelI6__halfLi64ELi1ELi1ELi8ELi4ELi16EEEviiPKT_S4_PS2_ii,@function
_ZN5aiter32wv_splitk_small_fp16_bf16_kernelI6__halfLi64ELi1ELi1ELi8ELi4ELi16EEEviiPKT_S4_PS2_ii: ; @_ZN5aiter32wv_splitk_small_fp16_bf16_kernelI6__halfLi64ELi1ELi1ELi8ELi4ELi16EEEviiPKT_S4_PS2_ii
; %bb.0:
	s_load_dwordx2 s[4:5], s[0:1], 0x20
	s_load_dwordx2 s[6:7], s[0:1], 0x0
	v_bfe_u32 v1, v0, 10, 10
	s_waitcnt lgkmcnt(0)
	s_mul_i32 s2, s2, s4
	v_add_u32_e32 v16, s2, v1
	v_cmp_gt_u32_e32 vcc, s7, v16
	s_and_saveexec_b64 s[2:3], vcc
	s_cbranch_execz .LBB25_25
; %bb.1:
	v_and_b32_e32 v0, 0x3ff, v0
	v_lshlrev_b32_e32 v48, 3, v0
	s_load_dwordx4 s[8:11], s[0:1], 0x8
	s_load_dwordx2 s[12:13], s[0:1], 0x18
	v_cmp_eq_u32_e64 s[0:1], 63, v0
	v_mad_u64_u32 v[52:53], s[2:3], s6, v16, v[48:49]
	v_mad_u64_u32 v[0:1], s[2:3], s6, 3, v[48:49]
	v_lshl_add_u32 v49, s6, 2, v48
	v_accvgpr_write_b32 a4, v0
	v_mad_u64_u32 v[0:1], s[2:3], s6, 5, v[48:49]
	v_accvgpr_write_b32 a6, v0
	v_mad_u64_u32 v[0:1], s[2:3], s6, 6, v[48:49]
	;; [unrolled: 2-line block ×9, first 2 shown]
	s_cmp_lg_u32 s6, 0
	v_accvgpr_write_b32 a22, v0
	v_mad_u64_u32 v[0:1], s[2:3], s6, 15, v[48:49]
	v_accvgpr_write_b32 a24, v0
	v_add_u32_e32 v0, s6, v48
	s_cselect_b64 s[2:3], -1, 0
	s_mul_i32 s24, s5, s4
	v_accvgpr_write_b32 a1, v0
	v_cndmask_b32_e64 v0, 0, 1, s[2:3]
	s_mul_i32 s25, s24, s6
	v_lshl_add_u32 v31, s6, 1, v48
	v_lshl_add_u32 v225, s6, 3, v48
	s_mov_b64 s[14:15], 0
	v_cmp_ne_u32_e64 s[2:3], 1, v0
	v_mov_b32_e32 v227, 0
                                        ; implicit-def: $vgpr0_vgpr1_vgpr2_vgpr3
                                        ; implicit-def: $vgpr4_vgpr5_vgpr6_vgpr7
                                        ; implicit-def: $vgpr8_vgpr9_vgpr10_vgpr11
                                        ; implicit-def: $vgpr12_vgpr13_vgpr14_vgpr15
                                        ; implicit-def: $agpr92_agpr93
                                        ; implicit-def: $agpr96_agpr97
                                        ; implicit-def: $agpr84_agpr85
                                        ; implicit-def: $agpr88_agpr89
                                        ; implicit-def: $agpr76_agpr77
                                        ; implicit-def: $agpr80_agpr81
                                        ; implicit-def: $agpr68_agpr69
                                        ; implicit-def: $agpr72_agpr73
                                        ; implicit-def: $agpr60_agpr61
                                        ; implicit-def: $agpr64_agpr65
                                        ; implicit-def: $agpr52_agpr53
                                        ; implicit-def: $agpr56_agpr57
                                        ; implicit-def: $agpr44_agpr45
                                        ; implicit-def: $agpr48_agpr49
                                        ; implicit-def: $agpr28_agpr29
                                        ; implicit-def: $agpr32_agpr33
                                        ; implicit-def: $vgpr178_vgpr179
                                        ; implicit-def: $vgpr182_vgpr183
                                        ; implicit-def: $vgpr154_vgpr155
                                        ; implicit-def: $vgpr158_vgpr159
                                        ; implicit-def: $vgpr122_vgpr123
                                        ; implicit-def: $vgpr126_vgpr127
                                        ; implicit-def: $vgpr98_vgpr99
                                        ; implicit-def: $vgpr102_vgpr103
                                        ; implicit-def: $vgpr74_vgpr75
                                        ; implicit-def: $vgpr78_vgpr79
                                        ; implicit-def: $vgpr58_vgpr59
                                        ; implicit-def: $vgpr62_vgpr63
                                        ; implicit-def: $vgpr42_vgpr43
                                        ; implicit-def: $vgpr46_vgpr47
                                        ; implicit-def: $agpr36_agpr37
                                        ; implicit-def: $agpr40_agpr41
                                        ; implicit-def: $vgpr230_vgpr231
                                        ; implicit-def: $vgpr238_vgpr239
                                        ; implicit-def: $vgpr210_vgpr211
                                        ; implicit-def: $vgpr214_vgpr215
                                        ; implicit-def: $vgpr186_vgpr187
                                        ; implicit-def: $vgpr190_vgpr191
                                        ; implicit-def: $vgpr162_vgpr163
                                        ; implicit-def: $vgpr166_vgpr167
                                        ; implicit-def: $vgpr130_vgpr131
                                        ; implicit-def: $vgpr134_vgpr135
                                        ; implicit-def: $vgpr106_vgpr107
                                        ; implicit-def: $vgpr110_vgpr111
                                        ; implicit-def: $vgpr82_vgpr83
                                        ; implicit-def: $vgpr86_vgpr87
                                        ; implicit-def: $vgpr66_vgpr67
                                        ; implicit-def: $vgpr70_vgpr71
                                        ; implicit-def: $vgpr34_vgpr35
                                        ; implicit-def: $vgpr38_vgpr39
                                        ; implicit-def: $vgpr250_vgpr251
                                        ; implicit-def: $vgpr254_vgpr255
                                        ; implicit-def: $vgpr242_vgpr243
                                        ; implicit-def: $vgpr246_vgpr247
                                        ; implicit-def: $vgpr218_vgpr219
                                        ; implicit-def: $vgpr222_vgpr223
                                        ; implicit-def: $vgpr194_vgpr195
                                        ; implicit-def: $vgpr202_vgpr203
                                        ; implicit-def: $vgpr170_vgpr171
                                        ; implicit-def: $vgpr174_vgpr175
                                        ; implicit-def: $vgpr138_vgpr139
                                        ; implicit-def: $vgpr142_vgpr143
                                        ; implicit-def: $vgpr114_vgpr115
                                        ; implicit-def: $vgpr118_vgpr119
	s_branch .LBB25_3
.LBB25_2:                               ;   in Loop: Header=BB25_3 Depth=1
	s_or_b64 exec, exec, s[4:5]
	v_accvgpr_read_b32 v16, a0
	v_add_u32_e32 v16, s24, v16
	v_cmp_le_u32_e32 vcc, s7, v16
	s_or_b64 s[14:15], vcc, s[14:15]
	v_add_u32_e32 v52, s25, v52
	s_andn2_b64 exec, exec, s[14:15]
	s_cbranch_execz .LBB25_25
.LBB25_3:                               ; =>This Loop Header: Depth=1
                                        ;     Child Loop BB25_9 Depth 2
	v_accvgpr_write_b32 a0, v16
	s_and_b64 vcc, exec, s[2:3]
	s_mov_b32 s26, 0
	s_cbranch_vccnz .LBB25_22
; %bb.4:                                ;   in Loop: Header=BB25_3 Depth=1
	v_mov_b32_e32 v197, 0
	v_mov_b32_e32 v199, 0
	;; [unrolled: 1-line block ×16, first 2 shown]
	s_branch .LBB25_9
.LBB25_5:                               ;   in Loop: Header=BB25_9 Depth=2
	s_or_b64 exec, exec, s[20:21]
.LBB25_6:                               ;   in Loop: Header=BB25_9 Depth=2
	s_or_b64 exec, exec, s[18:19]
.LBB25_7:                               ;   in Loop: Header=BB25_9 Depth=2
	s_or_b64 exec, exec, s[16:17]
.LBB25_8:                               ;   in Loop: Header=BB25_9 Depth=2
	s_or_b64 exec, exec, s[4:5]
	s_addk_i32 s26, 0x800
	s_cmp_ge_u32 s26, s6
	s_cbranch_scc1 .LBB25_23
.LBB25_9:                               ;   Parent Loop BB25_3 Depth=1
                                        ; =>  This Inner Loop Header: Depth=2
	v_add_u32_e32 v206, s26, v48
	v_cmp_gt_u32_e32 vcc, s6, v206
	v_add_u32_e32 v224, 0x200, v206
	s_and_saveexec_b64 s[16:17], vcc
	s_cbranch_execz .LBB25_17
; %bb.10:                               ;   in Loop: Header=BB25_9 Depth=2
	v_accvgpr_read_b32 v18, a1
	v_add_u32_e32 v226, s26, v52
	v_mov_b32_e32 v207, v227
	v_add_u32_e32 v146, s26, v18
	v_mov_b32_e32 v147, v227
	s_waitcnt vmcnt(16) lgkmcnt(0)
	v_lshl_add_u64 v[12:13], v[226:227], 1, s[8:9]
	v_lshl_add_u64 v[16:17], v[206:207], 1, s[10:11]
	;; [unrolled: 1-line block ×3, first 2 shown]
	global_load_dwordx4 v[12:15], v[12:13], off nt
	s_nop 0
	global_load_dwordx4 v[116:119], v[16:17], off
	global_load_dwordx4 v[112:115], v[18:19], off
	v_accvgpr_read_b32 v18, a4
	v_add_u32_e32 v144, s26, v31
	v_mov_b32_e32 v145, v227
	v_add_u32_e32 v94, s26, v18
	v_mov_b32_e32 v95, v227
	v_lshl_add_u64 v[16:17], v[144:145], 1, s[10:11]
	v_lshl_add_u64 v[18:19], v[94:95], 1, s[10:11]
	global_load_dwordx4 v[140:143], v[16:17], off
	global_load_dwordx4 v[136:139], v[18:19], off
	v_accvgpr_read_b32 v18, a6
	v_add_u32_e32 v92, s26, v49
	v_mov_b32_e32 v93, v227
	v_add_u32_e32 v90, s26, v18
	v_mov_b32_e32 v91, v227
	v_lshl_add_u64 v[16:17], v[92:93], 1, s[10:11]
	v_lshl_add_u64 v[18:19], v[90:91], 1, s[10:11]
	global_load_dwordx4 v[172:175], v[16:17], off
	global_load_dwordx4 v[168:171], v[18:19], off
	v_accvgpr_read_b32 v16, a8
	v_accvgpr_read_b32 v18, a10
	v_add_u32_e32 v88, s26, v16
	v_mov_b32_e32 v89, v227
	v_add_u32_e32 v54, s26, v18
	v_mov_b32_e32 v55, v227
	v_lshl_add_u64 v[16:17], v[88:89], 1, s[10:11]
	v_lshl_add_u64 v[18:19], v[54:55], 1, s[10:11]
	global_load_dwordx4 v[200:203], v[16:17], off
	global_load_dwordx4 v[192:195], v[18:19], off
	v_add_u32_e32 v204, s26, v225
	v_mov_b32_e32 v205, v227
	v_accvgpr_read_b32 v18, a12
	v_lshl_add_u64 v[16:17], v[204:205], 1, s[10:11]
	v_add_u32_e32 v22, s26, v18
	v_mov_b32_e32 v23, v227
	v_lshl_add_u64 v[18:19], v[22:23], 1, s[10:11]
	global_load_dwordx4 v[220:223], v[16:17], off
	global_load_dwordx4 v[216:219], v[18:19], off
	v_accvgpr_read_b32 v16, a14
	v_add_u32_e32 v20, s26, v16
	v_mov_b32_e32 v21, v227
	v_accvgpr_read_b32 v18, a16
	v_lshl_add_u64 v[16:17], v[20:21], 1, s[10:11]
	v_add_u32_e32 v18, s26, v18
	v_mov_b32_e32 v19, v227
	s_waitcnt vmcnt(11)
	v_lshl_add_u64 v[32:33], v[18:19], 1, s[10:11]
	global_load_dwordx4 v[244:247], v[16:17], off
	global_load_dwordx4 v[240:243], v[32:33], off
	v_accvgpr_read_b32 v16, a18
	v_accvgpr_read_b32 v34, a20
	v_add_u32_e32 v16, s26, v16
	v_mov_b32_e32 v17, v227
	v_add_u32_e32 v234, s26, v34
	v_mov_b32_e32 v235, v227
	v_lshl_add_u64 v[32:33], v[16:17], 1, s[10:11]
	v_lshl_add_u64 v[34:35], v[234:235], 1, s[10:11]
	global_load_dwordx4 v[252:255], v[32:33], off
	global_load_dwordx4 v[248:251], v[34:35], off
	v_accvgpr_read_b32 v32, a22
	v_accvgpr_read_b32 v34, a24
	v_add_u32_e32 v232, s26, v32
	v_mov_b32_e32 v233, v227
	v_add_u32_e32 v148, s26, v34
	v_mov_b32_e32 v149, v227
	v_lshl_add_u64 v[32:33], v[232:233], 1, s[10:11]
	v_lshl_add_u64 v[34:35], v[148:149], 1, s[10:11]
	global_load_dwordx4 v[36:39], v[32:33], off
	s_nop 0
	global_load_dwordx4 v[32:35], v[34:35], off
	v_cmp_gt_u32_e64 s[4:5], s6, v224
	s_and_saveexec_b64 s[18:19], s[4:5]
	s_cbranch_execz .LBB25_16
; %bb.11:                               ;   in Loop: Header=BB25_9 Depth=2
	v_mov_b32_e32 v93, v225
	v_add_u32_e32 v8, 0x200, v226
	v_mov_b32_e32 v9, v227
	v_mov_b32_e32 v225, v227
	v_add_u32_e32 v64, 0x200, v146
	v_mov_b32_e32 v65, v227
	v_mov_b32_e32 v89, v49
	v_accvgpr_write_b32 a2, v48
	v_lshl_add_u64 v[8:9], v[8:9], 1, s[8:9]
	v_lshl_add_u64 v[48:49], v[224:225], 1, s[10:11]
	v_lshl_add_u64 v[64:65], v[64:65], 1, s[10:11]
	global_load_dwordx4 v[8:11], v[8:9], off nt
	s_nop 0
	global_load_dwordx4 v[68:71], v[48:49], off
	s_nop 0
	global_load_dwordx4 v[64:67], v[64:65], off
	v_add_u32_e32 v48, 0x200, v144
	v_mov_b32_e32 v49, v227
	v_add_u32_e32 v80, 0x200, v94
	v_mov_b32_e32 v81, v227
	v_lshl_add_u64 v[48:49], v[48:49], 1, s[10:11]
	v_lshl_add_u64 v[80:81], v[80:81], 1, s[10:11]
	global_load_dwordx4 v[84:87], v[48:49], off
	s_nop 0
	global_load_dwordx4 v[80:83], v[80:81], off
	v_add_u32_e32 v48, 0x200, v92
	v_mov_b32_e32 v49, v227
	v_add_u32_e32 v104, 0x200, v90
	v_mov_b32_e32 v105, v227
	v_lshl_add_u64 v[48:49], v[48:49], 1, s[10:11]
	v_lshl_add_u64 v[104:105], v[104:105], 1, s[10:11]
	global_load_dwordx4 v[108:111], v[48:49], off
	s_nop 0
	global_load_dwordx4 v[104:107], v[104:105], off
	v_add_u32_e32 v48, 0x200, v88
	v_mov_b32_e32 v49, v227
	v_add_u32_e32 v128, 0x200, v54
	v_mov_b32_e32 v129, v227
	v_lshl_add_u64 v[48:49], v[48:49], 1, s[10:11]
	v_lshl_add_u64 v[128:129], v[128:129], 1, s[10:11]
	global_load_dwordx4 v[132:135], v[48:49], off
	s_nop 0
	global_load_dwordx4 v[128:131], v[128:129], off
	v_add_u32_e32 v48, 0x200, v204
	v_mov_b32_e32 v49, v227
	v_add_u32_e32 v160, 0x200, v22
	v_mov_b32_e32 v161, v227
	v_lshl_add_u64 v[48:49], v[48:49], 1, s[10:11]
	v_lshl_add_u64 v[160:161], v[160:161], 1, s[10:11]
	global_load_dwordx4 v[164:167], v[48:49], off
	s_nop 0
	global_load_dwordx4 v[160:163], v[160:161], off
	v_add_u32_e32 v48, 0x200, v20
	v_mov_b32_e32 v49, v227
	v_add_u32_e32 v184, 0x200, v18
	v_mov_b32_e32 v185, v227
	v_lshl_add_u64 v[48:49], v[48:49], 1, s[10:11]
	v_lshl_add_u64 v[184:185], v[184:185], 1, s[10:11]
	global_load_dwordx4 v[188:191], v[48:49], off
	s_nop 0
	global_load_dwordx4 v[184:187], v[184:185], off
	v_add_u32_e32 v48, 0x200, v16
	v_mov_b32_e32 v49, v227
	v_add_u32_e32 v208, 0x200, v234
	v_mov_b32_e32 v209, v227
	v_lshl_add_u64 v[48:49], v[48:49], 1, s[10:11]
	v_lshl_add_u64 v[208:209], v[208:209], 1, s[10:11]
	global_load_dwordx4 v[212:215], v[48:49], off
	s_nop 0
	global_load_dwordx4 v[208:211], v[208:209], off
	v_add_u32_e32 v48, 0x200, v232
	v_mov_b32_e32 v49, v227
	v_add_u32_e32 v228, 0x200, v148
	v_mov_b32_e32 v229, v227
	v_lshl_add_u64 v[48:49], v[48:49], 1, s[10:11]
	v_lshl_add_u64 v[228:229], v[228:229], 1, s[10:11]
	global_load_dwordx4 v[236:239], v[48:49], off
	s_nop 0
	global_load_dwordx4 v[228:231], v[228:229], off
	v_add_u32_e32 v48, 0x400, v206
	v_cmp_gt_u32_e64 s[4:5], s6, v48
	s_and_saveexec_b64 s[20:21], s[4:5]
	s_cbranch_execz .LBB25_15
; %bb.12:                               ;   in Loop: Header=BB25_9 Depth=2
	v_add_u32_e32 v4, 0x400, v226
	v_mov_b32_e32 v5, v227
	v_mov_b32_e32 v49, v227
	v_add_u32_e32 v42, 0x400, v146
	v_mov_b32_e32 v43, v227
	v_lshl_add_u64 v[4:5], v[4:5], 1, s[8:9]
	v_lshl_add_u64 v[40:41], v[48:49], 1, s[10:11]
	;; [unrolled: 1-line block ×3, first 2 shown]
	global_load_dwordx4 v[4:7], v[4:5], off nt
	s_nop 0
	global_load_dwordx4 a[38:41], v[40:41], off
	global_load_dwordx4 a[34:37], v[42:43], off
	v_add_u32_e32 v40, 0x400, v144
	v_mov_b32_e32 v41, v227
	v_add_u32_e32 v42, 0x400, v94
	v_mov_b32_e32 v43, v227
	v_add_u32_e32 v48, 0x400, v92
	v_add_u32_e32 v56, 0x400, v90
	v_mov_b32_e32 v57, v227
	v_lshl_add_u64 v[40:41], v[40:41], 1, s[10:11]
	v_lshl_add_u64 v[42:43], v[42:43], 1, s[10:11]
	;; [unrolled: 1-line block ×4, first 2 shown]
	global_load_dwordx4 v[44:47], v[40:41], off
	s_nop 0
	global_load_dwordx4 v[40:43], v[42:43], off
	s_nop 0
	;; [unrolled: 2-line block ×3, first 2 shown]
	global_load_dwordx4 v[56:59], v[56:57], off
	v_add_u32_e32 v48, 0x400, v88
	v_mov_b32_e32 v49, v227
	v_add_u32_e32 v72, 0x400, v54
	v_mov_b32_e32 v73, v227
	v_lshl_add_u64 v[48:49], v[48:49], 1, s[10:11]
	v_lshl_add_u64 v[72:73], v[72:73], 1, s[10:11]
	global_load_dwordx4 v[76:79], v[48:49], off
	s_nop 0
	global_load_dwordx4 v[72:75], v[72:73], off
	v_add_u32_e32 v48, 0x400, v204
	v_mov_b32_e32 v49, v227
	v_add_u32_e32 v96, 0x400, v22
	v_mov_b32_e32 v97, v227
	v_lshl_add_u64 v[48:49], v[48:49], 1, s[10:11]
	v_lshl_add_u64 v[96:97], v[96:97], 1, s[10:11]
	global_load_dwordx4 v[100:103], v[48:49], off
	s_nop 0
	;; [unrolled: 9-line block ×5, first 2 shown]
	global_load_dwordx4 v[176:179], v[176:177], off
	v_add_u32_e32 v48, 0x600, v206
	v_cmp_gt_u32_e64 s[4:5], s6, v48
	s_and_saveexec_b64 s[22:23], s[4:5]
	s_cbranch_execz .LBB25_14
; %bb.13:                               ;   in Loop: Header=BB25_9 Depth=2
	v_add_u32_e32 v226, 0x600, v226
	v_lshl_add_u64 v[0:1], v[226:227], 1, s[8:9]
	v_mov_b32_e32 v49, v227
	v_add_u32_e32 v226, 0x600, v146
	v_lshl_add_u64 v[48:49], v[48:49], 1, s[10:11]
	v_lshl_add_u64 v[146:147], v[226:227], 1, s[10:11]
	v_add_u32_e32 v226, 0x600, v144
	global_load_dwordx4 v[0:3], v[0:1], off nt
	s_nop 0
	global_load_dwordx4 a[30:33], v[48:49], off
	global_load_dwordx4 a[26:29], v[146:147], off
	v_lshl_add_u64 v[48:49], v[226:227], 1, s[10:11]
	v_add_u32_e32 v226, 0x600, v94
	v_lshl_add_u64 v[94:95], v[226:227], 1, s[10:11]
	v_add_u32_e32 v226, 0x600, v92
	global_load_dwordx4 a[46:49], v[48:49], off
	global_load_dwordx4 a[42:45], v[94:95], off
	v_lshl_add_u64 v[48:49], v[226:227], 1, s[10:11]
	v_add_u32_e32 v226, 0x600, v90
	v_lshl_add_u64 v[90:91], v[226:227], 1, s[10:11]
	v_add_u32_e32 v226, 0x600, v88
	;; [unrolled: 6-line block ×4, first 2 shown]
	v_lshl_add_u64 v[20:21], v[226:227], 1, s[10:11]
	v_add_u32_e32 v226, 0x600, v18
	v_lshl_add_u64 v[18:19], v[226:227], 1, s[10:11]
	v_add_u32_e32 v226, 0x600, v16
	;; [unrolled: 2-line block ×3, first 2 shown]
	global_load_dwordx4 a[70:73], v[48:49], off
	global_load_dwordx4 a[66:69], v[22:23], off
	;; [unrolled: 1-line block ×4, first 2 shown]
	v_lshl_add_u64 v[18:19], v[226:227], 1, s[10:11]
	v_add_u32_e32 v226, 0x600, v232
	global_load_dwordx4 a[86:89], v[16:17], off
	global_load_dwordx4 a[82:85], v[18:19], off
	v_lshl_add_u64 v[16:17], v[226:227], 1, s[10:11]
	v_add_u32_e32 v226, 0x600, v148
	v_lshl_add_u64 v[18:19], v[226:227], 1, s[10:11]
	global_load_dwordx4 a[94:97], v[16:17], off
	global_load_dwordx4 a[90:93], v[18:19], off
.LBB25_14:                              ;   in Loop: Header=BB25_9 Depth=2
	s_or_b64 exec, exec, s[22:23]
.LBB25_15:                              ;   in Loop: Header=BB25_9 Depth=2
	s_or_b64 exec, exec, s[20:21]
	v_accvgpr_read_b32 v48, a2
	v_mov_b32_e32 v49, v89
	v_mov_b32_e32 v225, v93
.LBB25_16:                              ;   in Loop: Header=BB25_9 Depth=2
	s_or_b64 exec, exec, s[18:19]
.LBB25_17:                              ;   in Loop: Header=BB25_9 Depth=2
	s_or_b64 exec, exec, s[16:17]
	s_and_saveexec_b64 s[4:5], vcc
	s_cbranch_execz .LBB25_8
; %bb.18:                               ;   in Loop: Header=BB25_9 Depth=2
	s_waitcnt vmcnt(15)
	;;#ASMSTART
	v_dot2c_f32_f16 v30, v116, v12
	;;#ASMEND
	s_waitcnt vmcnt(14)
	;;#ASMSTART
	v_dot2c_f32_f16 v29, v112, v12
	;;#ASMEND
	;; [unrolled: 4-line block ×16, first 2 shown]
	v_cmp_gt_u32_e32 vcc, s6, v224
	;;#ASMSTART
	v_dot2c_f32_f16 v30, v117, v13
	;;#ASMEND
	;;#ASMSTART
	v_dot2c_f32_f16 v29, v113, v13
	;;#ASMEND
	;; [unrolled: 3-line block ×16, first 2 shown]
	s_nop 0
	;;#ASMSTART
	v_dot2c_f32_f16 v30, v118, v14
	;;#ASMEND
	;;#ASMSTART
	v_dot2c_f32_f16 v29, v114, v14
	;;#ASMEND
	;;#ASMSTART
	v_dot2c_f32_f16 v28, v142, v14
	;;#ASMEND
	;;#ASMSTART
	v_dot2c_f32_f16 v27, v138, v14
	;;#ASMEND
	;;#ASMSTART
	v_dot2c_f32_f16 v26, v174, v14
	;;#ASMEND
	;;#ASMSTART
	v_dot2c_f32_f16 v25, v170, v14
	;;#ASMEND
	;;#ASMSTART
	v_dot2c_f32_f16 v24, v202, v14
	;;#ASMEND
	;;#ASMSTART
	v_dot2c_f32_f16 v50, v194, v14
	;;#ASMEND
	;;#ASMSTART
	v_dot2c_f32_f16 v198, v222, v14
	;;#ASMEND
	;;#ASMSTART
	v_dot2c_f32_f16 v196, v218, v14
	;;#ASMEND
	;;#ASMSTART
	v_dot2c_f32_f16 v150, v246, v14
	;;#ASMEND
	;;#ASMSTART
	v_dot2c_f32_f16 v151, v242, v14
	;;#ASMEND
	;;#ASMSTART
	v_dot2c_f32_f16 v51, v254, v14
	;;#ASMEND
	;;#ASMSTART
	v_dot2c_f32_f16 v53, v250, v14
	;;#ASMEND
	;;#ASMSTART
	v_dot2c_f32_f16 v199, v38, v14
	;;#ASMEND
	;;#ASMSTART
	v_dot2c_f32_f16 v197, v34, v14
	;;#ASMEND
	s_nop 0
	;;#ASMSTART
	v_dot2c_f32_f16 v30, v119, v15
	;;#ASMEND
	;;#ASMSTART
	v_dot2c_f32_f16 v29, v115, v15
	;;#ASMEND
	;;#ASMSTART
	v_dot2c_f32_f16 v28, v143, v15
	;;#ASMEND
	;;#ASMSTART
	v_dot2c_f32_f16 v27, v139, v15
	;;#ASMEND
	;;#ASMSTART
	v_dot2c_f32_f16 v26, v175, v15
	;;#ASMEND
	;;#ASMSTART
	v_dot2c_f32_f16 v25, v171, v15
	;;#ASMEND
	;;#ASMSTART
	v_dot2c_f32_f16 v24, v203, v15
	;;#ASMEND
	;;#ASMSTART
	v_dot2c_f32_f16 v50, v195, v15
	;;#ASMEND
	;;#ASMSTART
	v_dot2c_f32_f16 v198, v223, v15
	;;#ASMEND
	;;#ASMSTART
	v_dot2c_f32_f16 v196, v219, v15
	;;#ASMEND
	;;#ASMSTART
	v_dot2c_f32_f16 v150, v247, v15
	;;#ASMEND
	;;#ASMSTART
	v_dot2c_f32_f16 v151, v243, v15
	;;#ASMEND
	;;#ASMSTART
	v_dot2c_f32_f16 v51, v255, v15
	;;#ASMEND
	;;#ASMSTART
	v_dot2c_f32_f16 v53, v251, v15
	;;#ASMEND
	;;#ASMSTART
	v_dot2c_f32_f16 v199, v39, v15
	;;#ASMEND
	;;#ASMSTART
	v_dot2c_f32_f16 v197, v35, v15
	;;#ASMEND
	s_and_saveexec_b64 s[16:17], vcc
	s_cbranch_execz .LBB25_7
; %bb.19:                               ;   in Loop: Header=BB25_9 Depth=2
	;;#ASMSTART
	v_dot2c_f32_f16 v30, v68, v8
	;;#ASMEND
	;;#ASMSTART
	v_dot2c_f32_f16 v29, v64, v8
	;;#ASMEND
	;; [unrolled: 3-line block ×16, first 2 shown]
	v_add_u32_e32 v16, 0x400, v206
	;;#ASMSTART
	v_dot2c_f32_f16 v30, v69, v9
	;;#ASMEND
	;;#ASMSTART
	v_dot2c_f32_f16 v29, v65, v9
	;;#ASMEND
	;; [unrolled: 3-line block ×16, first 2 shown]
	v_cmp_gt_u32_e32 vcc, s6, v16
	;;#ASMSTART
	v_dot2c_f32_f16 v30, v70, v10
	;;#ASMEND
	;;#ASMSTART
	v_dot2c_f32_f16 v29, v66, v10
	;;#ASMEND
	;; [unrolled: 3-line block ×16, first 2 shown]
	s_nop 0
	;;#ASMSTART
	v_dot2c_f32_f16 v30, v71, v11
	;;#ASMEND
	;;#ASMSTART
	v_dot2c_f32_f16 v29, v67, v11
	;;#ASMEND
	;; [unrolled: 3-line block ×16, first 2 shown]
	s_and_saveexec_b64 s[18:19], vcc
	s_cbranch_execz .LBB25_6
; %bb.20:                               ;   in Loop: Header=BB25_9 Depth=2
	v_accvgpr_read_b32 v16, a38
	;;#ASMSTART
	v_dot2c_f32_f16 v30, v16, v4
	;;#ASMEND
	v_accvgpr_read_b32 v17, a39
	;;#ASMSTART
	v_dot2c_f32_f16 v30, v17, v5
	;;#ASMEND
	v_accvgpr_read_b32 v18, a40
	v_accvgpr_read_b32 v19, a41
	;;#ASMSTART
	v_dot2c_f32_f16 v30, v18, v6
	;;#ASMEND
	;;#ASMSTART
	v_dot2c_f32_f16 v28, v44, v4
	;;#ASMEND
	;; [unrolled: 3-line block ×15, first 2 shown]
	s_nop 0
	;;#ASMSTART
	v_dot2c_f32_f16 v30, v19, v7
	;;#ASMEND
	v_accvgpr_read_b32 v16, a34
	;;#ASMSTART
	v_dot2c_f32_f16 v29, v16, v4
	;;#ASMEND
	v_accvgpr_read_b32 v17, a35
	;;#ASMSTART
	v_dot2c_f32_f16 v29, v17, v5
	;;#ASMEND
	;;#ASMSTART
	v_dot2c_f32_f16 v28, v45, v5
	;;#ASMEND
	;; [unrolled: 3-line block ×15, first 2 shown]
	v_add_u32_e32 v16, 0x600, v206
	v_accvgpr_read_b32 v18, a36
	;;#ASMSTART
	v_dot2c_f32_f16 v29, v18, v6
	;;#ASMEND
	;;#ASMSTART
	v_dot2c_f32_f16 v28, v46, v6
	;;#ASMEND
	;; [unrolled: 3-line block ×15, first 2 shown]
	v_cmp_gt_u32_e32 vcc, s6, v16
	v_accvgpr_read_b32 v19, a37
	;;#ASMSTART
	v_dot2c_f32_f16 v29, v19, v7
	;;#ASMEND
	;;#ASMSTART
	v_dot2c_f32_f16 v28, v47, v7
	;;#ASMEND
	;; [unrolled: 3-line block ×15, first 2 shown]
	s_and_saveexec_b64 s[20:21], vcc
	s_cbranch_execz .LBB25_5
; %bb.21:                               ;   in Loop: Header=BB25_9 Depth=2
	v_accvgpr_read_b32 v16, a30
	;;#ASMSTART
	v_dot2c_f32_f16 v30, v16, v0
	;;#ASMEND
	v_accvgpr_read_b32 v17, a31
	;;#ASMSTART
	v_dot2c_f32_f16 v30, v17, v1
	;;#ASMEND
	v_accvgpr_read_b32 v18, a32
	v_accvgpr_read_b32 v19, a33
	;;#ASMSTART
	v_dot2c_f32_f16 v30, v18, v2
	;;#ASMEND
	s_nop 0
	;;#ASMSTART
	v_dot2c_f32_f16 v30, v19, v3
	;;#ASMEND
	v_accvgpr_read_b32 v16, a26
	;;#ASMSTART
	v_dot2c_f32_f16 v29, v16, v0
	;;#ASMEND
	v_accvgpr_read_b32 v17, a27
	;;#ASMSTART
	v_dot2c_f32_f16 v29, v17, v1
	;;#ASMEND
	v_accvgpr_read_b32 v18, a28
	v_accvgpr_read_b32 v19, a29
	;;#ASMSTART
	v_dot2c_f32_f16 v29, v18, v2
	;;#ASMEND
	s_nop 0
	;;#ASMSTART
	v_dot2c_f32_f16 v29, v19, v3
	;;#ASMEND
	;; [unrolled: 17-line block ×15, first 2 shown]
	v_accvgpr_read_b32 v16, a90
	;;#ASMSTART
	v_dot2c_f32_f16 v197, v16, v0
	;;#ASMEND
	v_accvgpr_read_b32 v17, a91
	;;#ASMSTART
	v_dot2c_f32_f16 v197, v17, v1
	;;#ASMEND
	v_accvgpr_read_b32 v18, a92
	;;#ASMSTART
	v_dot2c_f32_f16 v197, v18, v2
	;;#ASMEND
	v_accvgpr_read_b32 v19, a93
	;;#ASMSTART
	v_dot2c_f32_f16 v197, v19, v3
	;;#ASMEND
	s_branch .LBB25_5
.LBB25_22:                              ;   in Loop: Header=BB25_3 Depth=1
	v_mov_b32_e32 v30, v227
	v_mov_b32_e32 v29, v227
	;; [unrolled: 1-line block ×16, first 2 shown]
.LBB25_23:                              ;   in Loop: Header=BB25_3 Depth=1
	;;#ASMSTART
	s_nop 0
	v_add_f32 v30, v30, v30 row_shr:8 bound_ctrl:0 
	;;#ASMEND
	;;#ASMSTART
	s_nop 0
	v_add_f32 v29, v29, v29 row_shr:8 bound_ctrl:0 
	;;#ASMEND
	;; [unrolled: 4-line block ×16, first 2 shown]
	s_nop 0
	;;#ASMSTART
	s_nop 0
	v_add_f32 v30, v30, v30 row_shr:4 bound_ctrl:0 
	;;#ASMEND
	;;#ASMSTART
	s_nop 0
	v_add_f32 v29, v29, v29 row_shr:4 bound_ctrl:0 
	;;#ASMEND
	;; [unrolled: 4-line block ×16, first 2 shown]
	s_nop 0
	;;#ASMSTART
	s_nop 0
	v_add_f32 v30, v30, v30 row_shr:2 bound_ctrl:0 
	;;#ASMEND
	;;#ASMSTART
	s_nop 0
	v_add_f32 v29, v29, v29 row_shr:2 bound_ctrl:0 
	;;#ASMEND
	;;#ASMSTART
	s_nop 0
	v_add_f32 v28, v28, v28 row_shr:2 bound_ctrl:0 
	;;#ASMEND
	;;#ASMSTART
	s_nop 0
	v_add_f32 v27, v27, v27 row_shr:2 bound_ctrl:0 
	;;#ASMEND
	;;#ASMSTART
	s_nop 0
	v_add_f32 v26, v26, v26 row_shr:2 bound_ctrl:0 
	;;#ASMEND
	;;#ASMSTART
	s_nop 0
	v_add_f32 v25, v25, v25 row_shr:2 bound_ctrl:0 
	;;#ASMEND
	;;#ASMSTART
	s_nop 0
	v_add_f32 v24, v24, v24 row_shr:2 bound_ctrl:0 
	;;#ASMEND
	;;#ASMSTART
	s_nop 0
	v_add_f32 v50, v50, v50 row_shr:2 bound_ctrl:0 
	;;#ASMEND
	;;#ASMSTART
	s_nop 0
	v_add_f32 v198, v198, v198 row_shr:2 bound_ctrl:0 
	;;#ASMEND
	;;#ASMSTART
	s_nop 0
	v_add_f32 v196, v196, v196 row_shr:2 bound_ctrl:0 
	;;#ASMEND
	;;#ASMSTART
	s_nop 0
	v_add_f32 v150, v150, v150 row_shr:2 bound_ctrl:0 
	;;#ASMEND
	;;#ASMSTART
	s_nop 0
	v_add_f32 v151, v151, v151 row_shr:2 bound_ctrl:0 
	;;#ASMEND
	;;#ASMSTART
	s_nop 0
	v_add_f32 v51, v51, v51 row_shr:2 bound_ctrl:0 
	;;#ASMEND
	;;#ASMSTART
	s_nop 0
	v_add_f32 v53, v53, v53 row_shr:2 bound_ctrl:0 
	;;#ASMEND
	;;#ASMSTART
	s_nop 0
	v_add_f32 v199, v199, v199 row_shr:2 bound_ctrl:0 
	;;#ASMEND
	;;#ASMSTART
	s_nop 0
	v_add_f32 v197, v197, v197 row_shr:2 bound_ctrl:0 
	;;#ASMEND
	s_nop 0
	;;#ASMSTART
	s_nop 0
	v_add_f32 v30, v30, v30 wave_shr:1 bound_ctrl:0
	;;#ASMEND
	;;#ASMSTART
	s_nop 0
	v_add_f32 v29, v29, v29 wave_shr:1 bound_ctrl:0
	;;#ASMEND
	;; [unrolled: 4-line block ×16, first 2 shown]
	s_nop 0
	;;#ASMSTART
	s_nop 0
	v_add_f32 v30, v30, v30 row_bcast:15 bound_ctrl:0
	;;#ASMEND
	;;#ASMSTART
	s_nop 0
	v_add_f32 v29, v29, v29 row_bcast:15 bound_ctrl:0
	;;#ASMEND
	;; [unrolled: 4-line block ×16, first 2 shown]
	s_nop 0
	;;#ASMSTART
	s_nop 0
	v_add_f32 v30, v30, v30 row_bcast:31 bound_ctrl:0
	;;#ASMEND
	;;#ASMSTART
	s_nop 0
	v_add_f32 v29, v29, v29 row_bcast:31 bound_ctrl:0
	;;#ASMEND
	;; [unrolled: 4-line block ×16, first 2 shown]
	s_and_saveexec_b64 s[4:5], s[0:1]
	s_cbranch_execz .LBB25_2
; %bb.24:                               ;   in Loop: Header=BB25_3 Depth=1
	v_cvt_f16_f32_e32 v18, v30
	v_cvt_f16_f32_e32 v19, v29
	v_accvgpr_read_b32 v20, a0
	v_mov_b32_e32 v21, v227
	s_waitcnt lgkmcnt(0)
	v_lshl_add_u64 v[16:17], v[20:21], 1, s[12:13]
	v_add_u32_e32 v226, s7, v20
	global_store_short v[16:17], v18, off
	v_lshl_add_u64 v[16:17], v[226:227], 1, s[12:13]
	v_cvt_f16_f32_e32 v18, v28
	global_store_short v[16:17], v19, off
	v_cvt_f16_f32_e32 v19, v27
	v_add_u32_e32 v226, s7, v226
	v_lshl_add_u64 v[16:17], v[226:227], 1, s[12:13]
	v_add_u32_e32 v226, s7, v226
	global_store_short v[16:17], v18, off
	v_lshl_add_u64 v[16:17], v[226:227], 1, s[12:13]
	v_cvt_f16_f32_e32 v18, v26
	global_store_short v[16:17], v19, off
	v_cvt_f16_f32_e32 v19, v25
	v_add_u32_e32 v226, s7, v226
	;; [unrolled: 8-line block ×7, first 2 shown]
	v_lshl_add_u64 v[16:17], v[226:227], 1, s[12:13]
	v_add_u32_e32 v226, s7, v226
	global_store_short v[16:17], v18, off
	v_lshl_add_u64 v[16:17], v[226:227], 1, s[12:13]
	global_store_short v[16:17], v19, off
	s_branch .LBB25_2
.LBB25_25:
	s_endpgm
	.section	.rodata,"a",@progbits
	.p2align	6, 0x0
	.amdhsa_kernel _ZN5aiter32wv_splitk_small_fp16_bf16_kernelI6__halfLi64ELi1ELi1ELi8ELi4ELi16EEEviiPKT_S4_PS2_ii
		.amdhsa_group_segment_fixed_size 0
		.amdhsa_private_segment_fixed_size 0
		.amdhsa_kernarg_size 40
		.amdhsa_user_sgpr_count 2
		.amdhsa_user_sgpr_dispatch_ptr 0
		.amdhsa_user_sgpr_queue_ptr 0
		.amdhsa_user_sgpr_kernarg_segment_ptr 1
		.amdhsa_user_sgpr_dispatch_id 0
		.amdhsa_user_sgpr_kernarg_preload_length 0
		.amdhsa_user_sgpr_kernarg_preload_offset 0
		.amdhsa_user_sgpr_private_segment_size 0
		.amdhsa_uses_dynamic_stack 0
		.amdhsa_enable_private_segment 0
		.amdhsa_system_sgpr_workgroup_id_x 1
		.amdhsa_system_sgpr_workgroup_id_y 0
		.amdhsa_system_sgpr_workgroup_id_z 0
		.amdhsa_system_sgpr_workgroup_info 0
		.amdhsa_system_vgpr_workitem_id 1
		.amdhsa_next_free_vgpr 354
		.amdhsa_next_free_sgpr 27
		.amdhsa_accum_offset 256
		.amdhsa_reserve_vcc 1
		.amdhsa_float_round_mode_32 0
		.amdhsa_float_round_mode_16_64 0
		.amdhsa_float_denorm_mode_32 3
		.amdhsa_float_denorm_mode_16_64 3
		.amdhsa_dx10_clamp 1
		.amdhsa_ieee_mode 1
		.amdhsa_fp16_overflow 0
		.amdhsa_tg_split 0
		.amdhsa_exception_fp_ieee_invalid_op 0
		.amdhsa_exception_fp_denorm_src 0
		.amdhsa_exception_fp_ieee_div_zero 0
		.amdhsa_exception_fp_ieee_overflow 0
		.amdhsa_exception_fp_ieee_underflow 0
		.amdhsa_exception_fp_ieee_inexact 0
		.amdhsa_exception_int_div_zero 0
	.end_amdhsa_kernel
	.section	.text._ZN5aiter32wv_splitk_small_fp16_bf16_kernelI6__halfLi64ELi1ELi1ELi8ELi4ELi16EEEviiPKT_S4_PS2_ii,"axG",@progbits,_ZN5aiter32wv_splitk_small_fp16_bf16_kernelI6__halfLi64ELi1ELi1ELi8ELi4ELi16EEEviiPKT_S4_PS2_ii,comdat
.Lfunc_end25:
	.size	_ZN5aiter32wv_splitk_small_fp16_bf16_kernelI6__halfLi64ELi1ELi1ELi8ELi4ELi16EEEviiPKT_S4_PS2_ii, .Lfunc_end25-_ZN5aiter32wv_splitk_small_fp16_bf16_kernelI6__halfLi64ELi1ELi1ELi8ELi4ELi16EEEviiPKT_S4_PS2_ii
                                        ; -- End function
	.section	.AMDGPU.csdata,"",@progbits
; Kernel info:
; codeLenInByte = 7420
; NumSgprs: 33
; NumVgprs: 256
; NumAgprs: 98
; TotalNumVgprs: 354
; ScratchSize: 0
; MemoryBound: 1
; FloatMode: 240
; IeeeMode: 1
; LDSByteSize: 0 bytes/workgroup (compile time only)
; SGPRBlocks: 4
; VGPRBlocks: 44
; NumSGPRsForWavesPerEU: 33
; NumVGPRsForWavesPerEU: 354
; AccumOffset: 256
; Occupancy: 1
; WaveLimiterHint : 0
; COMPUTE_PGM_RSRC2:SCRATCH_EN: 0
; COMPUTE_PGM_RSRC2:USER_SGPR: 2
; COMPUTE_PGM_RSRC2:TRAP_HANDLER: 0
; COMPUTE_PGM_RSRC2:TGID_X_EN: 1
; COMPUTE_PGM_RSRC2:TGID_Y_EN: 0
; COMPUTE_PGM_RSRC2:TGID_Z_EN: 0
; COMPUTE_PGM_RSRC2:TIDIG_COMP_CNT: 1
; COMPUTE_PGM_RSRC3_GFX90A:ACCUM_OFFSET: 63
; COMPUTE_PGM_RSRC3_GFX90A:TG_SPLIT: 0
	.section	.text._ZN5aiter32wv_splitk_small_fp16_bf16_kernelI14__hip_bfloat16Li64ELi1ELi1ELi8ELi4ELi1EEEviiPKT_S4_PS2_ii,"axG",@progbits,_ZN5aiter32wv_splitk_small_fp16_bf16_kernelI14__hip_bfloat16Li64ELi1ELi1ELi8ELi4ELi1EEEviiPKT_S4_PS2_ii,comdat
	.protected	_ZN5aiter32wv_splitk_small_fp16_bf16_kernelI14__hip_bfloat16Li64ELi1ELi1ELi8ELi4ELi1EEEviiPKT_S4_PS2_ii ; -- Begin function _ZN5aiter32wv_splitk_small_fp16_bf16_kernelI14__hip_bfloat16Li64ELi1ELi1ELi8ELi4ELi1EEEviiPKT_S4_PS2_ii
	.globl	_ZN5aiter32wv_splitk_small_fp16_bf16_kernelI14__hip_bfloat16Li64ELi1ELi1ELi8ELi4ELi1EEEviiPKT_S4_PS2_ii
	.p2align	8
	.type	_ZN5aiter32wv_splitk_small_fp16_bf16_kernelI14__hip_bfloat16Li64ELi1ELi1ELi8ELi4ELi1EEEviiPKT_S4_PS2_ii,@function
_ZN5aiter32wv_splitk_small_fp16_bf16_kernelI14__hip_bfloat16Li64ELi1ELi1ELi8ELi4ELi1EEEviiPKT_S4_PS2_ii: ; @_ZN5aiter32wv_splitk_small_fp16_bf16_kernelI14__hip_bfloat16Li64ELi1ELi1ELi8ELi4ELi1EEEviiPKT_S4_PS2_ii
; %bb.0:
	s_load_dwordx2 s[4:5], s[0:1], 0x20
	s_load_dwordx2 s[6:7], s[0:1], 0x0
	v_bfe_u32 v1, v0, 10, 10
	s_waitcnt lgkmcnt(0)
	s_mul_i32 s2, s2, s4
	v_add_u32_e32 v32, s2, v1
	v_cmp_gt_u32_e32 vcc, s7, v32
	s_and_saveexec_b64 s[2:3], vcc
	s_cbranch_execz .LBB26_29
; %bb.1:
	v_and_b32_e32 v0, 0x3ff, v0
	s_load_dwordx4 s[8:11], s[0:1], 0x8
	s_load_dwordx2 s[12:13], s[0:1], 0x18
	v_lshlrev_b32_e32 v34, 3, v0
	s_cmp_lg_u32 s6, 0
	v_mad_u64_u32 v[36:37], s[2:3], s6, v32, v[34:35]
	s_cselect_b64 s[2:3], -1, 0
	v_cmp_eq_u32_e64 s[0:1], 63, v0
	s_mul_i32 s24, s5, s4
	v_cndmask_b32_e64 v0, 0, 1, s[2:3]
	s_mul_i32 s25, s24, s6
	s_mov_b64 s[14:15], 0
	v_cmp_ne_u32_e64 s[2:3], 1, v0
	s_mov_b32 s26, 0x7f800000
	s_movk_i32 s27, 0x7fff
	v_mov_b32_e32 v39, 0
                                        ; implicit-def: $vgpr0_vgpr1_vgpr2_vgpr3
                                        ; implicit-def: $vgpr4_vgpr5_vgpr6_vgpr7
                                        ; implicit-def: $vgpr8_vgpr9_vgpr10_vgpr11
                                        ; implicit-def: $vgpr12_vgpr13_vgpr14_vgpr15
                                        ; implicit-def: $vgpr19
                                        ; implicit-def: $vgpr23
                                        ; implicit-def: $vgpr27
                                        ; implicit-def: $vgpr31
	s_branch .LBB26_4
.LBB26_2:                               ;   in Loop: Header=BB26_4 Depth=1
	s_or_b64 exec, exec, s[16:17]
	v_mov_b32_e32 v33, v39
	s_waitcnt lgkmcnt(0)
	v_lshl_add_u64 v[40:41], v[32:33], 1, s[12:13]
	global_store_short_d16_hi v[40:41], v35, off
.LBB26_3:                               ;   in Loop: Header=BB26_4 Depth=1
	s_or_b64 exec, exec, s[4:5]
	v_add_u32_e32 v32, s24, v32
	v_cmp_le_u32_e32 vcc, s7, v32
	s_or_b64 s[14:15], vcc, s[14:15]
	v_add_u32_e32 v36, s25, v36
	s_andn2_b64 exec, exec, s[14:15]
	s_cbranch_execz .LBB26_29
.LBB26_4:                               ; =>This Loop Header: Depth=1
                                        ;     Child Loop BB26_10 Depth 2
	s_and_b64 vcc, exec, s[2:3]
	s_cbranch_vccnz .LBB26_23
; %bb.5:                                ;   in Loop: Header=BB26_4 Depth=1
	s_mov_b32 s28, 0
	v_mov_b32_e32 v33, 0
	s_branch .LBB26_10
.LBB26_6:                               ;   in Loop: Header=BB26_10 Depth=2
	s_or_b64 exec, exec, s[20:21]
.LBB26_7:                               ;   in Loop: Header=BB26_10 Depth=2
	s_or_b64 exec, exec, s[18:19]
.LBB26_8:                               ;   in Loop: Header=BB26_10 Depth=2
	s_or_b64 exec, exec, s[16:17]
.LBB26_9:                               ;   in Loop: Header=BB26_10 Depth=2
	s_or_b64 exec, exec, s[4:5]
	s_addk_i32 s28, 0x800
	s_cmp_lt_u32 s28, s6
	s_cbranch_scc0 .LBB26_24
.LBB26_10:                              ;   Parent Loop BB26_4 Depth=1
                                        ; =>  This Inner Loop Header: Depth=2
	v_add_u32_e32 v40, s28, v34
	v_cmp_gt_u32_e32 vcc, s6, v40
	v_add_u32_e32 v42, 0x200, v40
	s_and_saveexec_b64 s[16:17], vcc
	s_cbranch_execnz .LBB26_12
; %bb.11:                               ;   in Loop: Header=BB26_10 Depth=2
	s_or_b64 exec, exec, s[16:17]
	s_and_saveexec_b64 s[4:5], vcc
	s_cbranch_execz .LBB26_9
	s_branch .LBB26_19
.LBB26_12:                              ;   in Loop: Header=BB26_10 Depth=2
	v_add_u32_e32 v38, s28, v36
	v_mov_b32_e32 v41, v39
	s_waitcnt vmcnt(1) lgkmcnt(0)
	v_lshl_add_u64 v[12:13], v[38:39], 1, s[8:9]
	s_waitcnt vmcnt(0)
	v_lshl_add_u64 v[16:17], v[40:41], 1, s[10:11]
	global_load_dwordx4 v[12:15], v[12:13], off nt
	v_cmp_gt_u32_e64 s[4:5], s6, v42
	global_load_dwordx4 v[16:19], v[16:17], off
	s_and_saveexec_b64 s[18:19], s[4:5]
	s_cbranch_execz .LBB26_18
; %bb.13:                               ;   in Loop: Header=BB26_10 Depth=2
	v_add_u32_e32 v8, 0x200, v38
	v_mov_b32_e32 v9, v39
	v_mov_b32_e32 v43, v39
	v_lshl_add_u64 v[8:9], v[8:9], 1, s[8:9]
	v_lshl_add_u64 v[20:21], v[42:43], 1, s[10:11]
	global_load_dwordx4 v[8:11], v[8:9], off nt
	v_add_u32_e32 v44, 0x400, v40
	global_load_dwordx4 v[20:23], v[20:21], off
	v_cmp_gt_u32_e64 s[4:5], s6, v44
	s_and_saveexec_b64 s[20:21], s[4:5]
	s_cbranch_execz .LBB26_17
; %bb.14:                               ;   in Loop: Header=BB26_10 Depth=2
	v_add_u32_e32 v4, 0x400, v38
	v_mov_b32_e32 v5, v39
	v_mov_b32_e32 v45, v39
	v_lshl_add_u64 v[4:5], v[4:5], 1, s[8:9]
	v_lshl_add_u64 v[24:25], v[44:45], 1, s[10:11]
	global_load_dwordx4 v[4:7], v[4:5], off nt
	v_add_u32_e32 v44, 0x600, v40
	global_load_dwordx4 v[24:27], v[24:25], off
	v_cmp_gt_u32_e64 s[4:5], s6, v44
	s_and_saveexec_b64 s[22:23], s[4:5]
	s_cbranch_execz .LBB26_16
; %bb.15:                               ;   in Loop: Header=BB26_10 Depth=2
	v_add_u32_e32 v38, 0x600, v38
	v_mov_b32_e32 v45, v39
	v_lshl_add_u64 v[0:1], v[38:39], 1, s[8:9]
	v_lshl_add_u64 v[28:29], v[44:45], 1, s[10:11]
	global_load_dwordx4 v[0:3], v[0:1], off nt
	s_nop 0
	global_load_dwordx4 v[28:31], v[28:29], off
.LBB26_16:                              ;   in Loop: Header=BB26_10 Depth=2
	s_or_b64 exec, exec, s[22:23]
.LBB26_17:                              ;   in Loop: Header=BB26_10 Depth=2
	s_or_b64 exec, exec, s[20:21]
.LBB26_18:                              ;   in Loop: Header=BB26_10 Depth=2
	s_or_b64 exec, exec, s[18:19]
	s_or_b64 exec, exec, s[16:17]
	s_and_saveexec_b64 s[4:5], vcc
	s_cbranch_execz .LBB26_9
.LBB26_19:                              ;   in Loop: Header=BB26_10 Depth=2
	s_waitcnt vmcnt(0)
	v_and_b32_e32 v45, 0xffff0000, v16
	v_lshlrev_b32_e32 v44, 16, v16
	v_and_b32_e32 v47, 0xffff0000, v12
	v_lshlrev_b32_e32 v46, 16, v12
	v_pk_mul_f32 v[44:45], v[44:45], v[46:47]
	v_and_b32_e32 v47, 0xffff0000, v17
	v_lshlrev_b32_e32 v46, 16, v17
	v_and_b32_e32 v49, 0xffff0000, v13
	v_lshlrev_b32_e32 v48, 16, v13
	v_pk_fma_f32 v[44:45], v[46:47], v[48:49], v[44:45]
	v_and_b32_e32 v47, 0xffff0000, v18
	v_lshlrev_b32_e32 v46, 16, v18
	v_and_b32_e32 v49, 0xffff0000, v14
	v_lshlrev_b32_e32 v48, 16, v14
	v_pk_fma_f32 v[44:45], v[46:47], v[48:49], v[44:45]
	;; [unrolled: 5-line block ×3, first 2 shown]
	v_cmp_gt_u32_e32 vcc, s6, v42
	v_add_f32_e32 v35, v44, v45
	v_add_f32_e32 v33, v33, v35
	s_and_saveexec_b64 s[16:17], vcc
	s_cbranch_execz .LBB26_8
; %bb.20:                               ;   in Loop: Header=BB26_10 Depth=2
	v_and_b32_e32 v43, 0xffff0000, v20
	v_lshlrev_b32_e32 v42, 16, v20
	v_and_b32_e32 v45, 0xffff0000, v8
	v_lshlrev_b32_e32 v44, 16, v8
	v_pk_mul_f32 v[42:43], v[42:43], v[44:45]
	v_and_b32_e32 v45, 0xffff0000, v21
	v_lshlrev_b32_e32 v44, 16, v21
	v_and_b32_e32 v47, 0xffff0000, v9
	v_lshlrev_b32_e32 v46, 16, v9
	v_pk_fma_f32 v[42:43], v[44:45], v[46:47], v[42:43]
	v_and_b32_e32 v45, 0xffff0000, v22
	v_lshlrev_b32_e32 v44, 16, v22
	v_and_b32_e32 v47, 0xffff0000, v10
	v_lshlrev_b32_e32 v46, 16, v10
	v_pk_fma_f32 v[42:43], v[44:45], v[46:47], v[42:43]
	;; [unrolled: 5-line block ×3, first 2 shown]
	s_nop 0
	v_add_f32_e32 v35, v42, v43
	v_add_f32_e32 v33, v33, v35
	v_add_u32_e32 v35, 0x400, v40
	v_cmp_gt_u32_e32 vcc, s6, v35
	s_and_saveexec_b64 s[18:19], vcc
	s_cbranch_execz .LBB26_7
; %bb.21:                               ;   in Loop: Header=BB26_10 Depth=2
	v_and_b32_e32 v43, 0xffff0000, v24
	v_lshlrev_b32_e32 v42, 16, v24
	v_and_b32_e32 v45, 0xffff0000, v4
	v_lshlrev_b32_e32 v44, 16, v4
	v_pk_mul_f32 v[42:43], v[42:43], v[44:45]
	v_and_b32_e32 v45, 0xffff0000, v25
	v_lshlrev_b32_e32 v44, 16, v25
	v_and_b32_e32 v47, 0xffff0000, v5
	v_lshlrev_b32_e32 v46, 16, v5
	v_pk_fma_f32 v[42:43], v[44:45], v[46:47], v[42:43]
	v_and_b32_e32 v45, 0xffff0000, v26
	v_lshlrev_b32_e32 v44, 16, v26
	v_and_b32_e32 v47, 0xffff0000, v6
	v_lshlrev_b32_e32 v46, 16, v6
	v_pk_fma_f32 v[42:43], v[44:45], v[46:47], v[42:43]
	;; [unrolled: 5-line block ×3, first 2 shown]
	s_nop 0
	v_add_f32_e32 v35, v42, v43
	v_add_f32_e32 v33, v33, v35
	v_add_u32_e32 v35, 0x600, v40
	v_cmp_gt_u32_e32 vcc, s6, v35
	s_and_saveexec_b64 s[20:21], vcc
	s_cbranch_execz .LBB26_6
; %bb.22:                               ;   in Loop: Header=BB26_10 Depth=2
	v_and_b32_e32 v41, 0xffff0000, v28
	v_lshlrev_b32_e32 v40, 16, v28
	v_and_b32_e32 v43, 0xffff0000, v0
	v_lshlrev_b32_e32 v42, 16, v0
	v_pk_mul_f32 v[40:41], v[40:41], v[42:43]
	v_and_b32_e32 v43, 0xffff0000, v29
	v_lshlrev_b32_e32 v42, 16, v29
	v_and_b32_e32 v45, 0xffff0000, v1
	v_lshlrev_b32_e32 v44, 16, v1
	v_pk_fma_f32 v[40:41], v[42:43], v[44:45], v[40:41]
	v_and_b32_e32 v43, 0xffff0000, v30
	v_lshlrev_b32_e32 v42, 16, v30
	v_and_b32_e32 v45, 0xffff0000, v2
	v_lshlrev_b32_e32 v44, 16, v2
	v_pk_fma_f32 v[40:41], v[42:43], v[44:45], v[40:41]
	;; [unrolled: 5-line block ×3, first 2 shown]
	s_nop 0
	v_add_f32_e32 v35, v40, v41
	v_add_f32_e32 v33, v33, v35
	s_branch .LBB26_6
.LBB26_23:                              ;   in Loop: Header=BB26_4 Depth=1
	v_mov_b32_e32 v33, v39
.LBB26_24:                              ;   in Loop: Header=BB26_4 Depth=1
	;;#ASMSTART
	s_nop 0
	v_add_f32 v33, v33, v33 row_shr:8 bound_ctrl:0 
	;;#ASMEND
	s_nop 0
	;;#ASMSTART
	s_nop 0
	v_add_f32 v33, v33, v33 row_shr:4 bound_ctrl:0 
	;;#ASMEND
	s_nop 0
	;; [unrolled: 5-line block ×3, first 2 shown]
	;;#ASMSTART
	s_nop 0
	v_add_f32 v33, v33, v33 wave_shr:1 bound_ctrl:0
	;;#ASMEND
	s_nop 0
	;;#ASMSTART
	s_nop 0
	v_add_f32 v33, v33, v33 row_bcast:15 bound_ctrl:0
	;;#ASMEND
	s_nop 0
	;;#ASMSTART
	s_nop 0
	v_add_f32 v33, v33, v33 row_bcast:31 bound_ctrl:0
	;;#ASMEND
	s_and_saveexec_b64 s[4:5], s[0:1]
	s_cbranch_execz .LBB26_3
; %bb.25:                               ;   in Loop: Header=BB26_4 Depth=1
	v_and_b32_e32 v35, 0x7f800000, v33
	v_cmp_ne_u32_e32 vcc, s26, v35
                                        ; implicit-def: $vgpr35
	s_and_saveexec_b64 s[16:17], vcc
	s_xor_b64 s[16:17], exec, s[16:17]
; %bb.26:                               ;   in Loop: Header=BB26_4 Depth=1
	v_bfe_u32 v35, v33, 16, 1
	v_add3_u32 v35, v33, v35, s27
                                        ; implicit-def: $vgpr33
; %bb.27:                               ;   in Loop: Header=BB26_4 Depth=1
	s_andn2_saveexec_b64 s[16:17], s[16:17]
	s_cbranch_execz .LBB26_2
; %bb.28:                               ;   in Loop: Header=BB26_4 Depth=1
	v_or_b32_e32 v35, 0x10000, v33
	v_cmp_eq_u32_sdwa vcc, v33, v39 src0_sel:WORD_0 src1_sel:DWORD
	s_nop 1
	v_cndmask_b32_e32 v35, v35, v33, vcc
	s_branch .LBB26_2
.LBB26_29:
	s_endpgm
	.section	.rodata,"a",@progbits
	.p2align	6, 0x0
	.amdhsa_kernel _ZN5aiter32wv_splitk_small_fp16_bf16_kernelI14__hip_bfloat16Li64ELi1ELi1ELi8ELi4ELi1EEEviiPKT_S4_PS2_ii
		.amdhsa_group_segment_fixed_size 0
		.amdhsa_private_segment_fixed_size 0
		.amdhsa_kernarg_size 40
		.amdhsa_user_sgpr_count 2
		.amdhsa_user_sgpr_dispatch_ptr 0
		.amdhsa_user_sgpr_queue_ptr 0
		.amdhsa_user_sgpr_kernarg_segment_ptr 1
		.amdhsa_user_sgpr_dispatch_id 0
		.amdhsa_user_sgpr_kernarg_preload_length 0
		.amdhsa_user_sgpr_kernarg_preload_offset 0
		.amdhsa_user_sgpr_private_segment_size 0
		.amdhsa_uses_dynamic_stack 0
		.amdhsa_enable_private_segment 0
		.amdhsa_system_sgpr_workgroup_id_x 1
		.amdhsa_system_sgpr_workgroup_id_y 0
		.amdhsa_system_sgpr_workgroup_id_z 0
		.amdhsa_system_sgpr_workgroup_info 0
		.amdhsa_system_vgpr_workitem_id 1
		.amdhsa_next_free_vgpr 50
		.amdhsa_next_free_sgpr 29
		.amdhsa_accum_offset 52
		.amdhsa_reserve_vcc 1
		.amdhsa_float_round_mode_32 0
		.amdhsa_float_round_mode_16_64 0
		.amdhsa_float_denorm_mode_32 3
		.amdhsa_float_denorm_mode_16_64 3
		.amdhsa_dx10_clamp 1
		.amdhsa_ieee_mode 1
		.amdhsa_fp16_overflow 0
		.amdhsa_tg_split 0
		.amdhsa_exception_fp_ieee_invalid_op 0
		.amdhsa_exception_fp_denorm_src 0
		.amdhsa_exception_fp_ieee_div_zero 0
		.amdhsa_exception_fp_ieee_overflow 0
		.amdhsa_exception_fp_ieee_underflow 0
		.amdhsa_exception_fp_ieee_inexact 0
		.amdhsa_exception_int_div_zero 0
	.end_amdhsa_kernel
	.section	.text._ZN5aiter32wv_splitk_small_fp16_bf16_kernelI14__hip_bfloat16Li64ELi1ELi1ELi8ELi4ELi1EEEviiPKT_S4_PS2_ii,"axG",@progbits,_ZN5aiter32wv_splitk_small_fp16_bf16_kernelI14__hip_bfloat16Li64ELi1ELi1ELi8ELi4ELi1EEEviiPKT_S4_PS2_ii,comdat
.Lfunc_end26:
	.size	_ZN5aiter32wv_splitk_small_fp16_bf16_kernelI14__hip_bfloat16Li64ELi1ELi1ELi8ELi4ELi1EEEviiPKT_S4_PS2_ii, .Lfunc_end26-_ZN5aiter32wv_splitk_small_fp16_bf16_kernelI14__hip_bfloat16Li64ELi1ELi1ELi8ELi4ELi1EEEviiPKT_S4_PS2_ii
                                        ; -- End function
	.section	.AMDGPU.csdata,"",@progbits
; Kernel info:
; codeLenInByte = 1392
; NumSgprs: 35
; NumVgprs: 50
; NumAgprs: 0
; TotalNumVgprs: 50
; ScratchSize: 0
; MemoryBound: 0
; FloatMode: 240
; IeeeMode: 1
; LDSByteSize: 0 bytes/workgroup (compile time only)
; SGPRBlocks: 4
; VGPRBlocks: 6
; NumSGPRsForWavesPerEU: 35
; NumVGPRsForWavesPerEU: 50
; AccumOffset: 52
; Occupancy: 8
; WaveLimiterHint : 0
; COMPUTE_PGM_RSRC2:SCRATCH_EN: 0
; COMPUTE_PGM_RSRC2:USER_SGPR: 2
; COMPUTE_PGM_RSRC2:TRAP_HANDLER: 0
; COMPUTE_PGM_RSRC2:TGID_X_EN: 1
; COMPUTE_PGM_RSRC2:TGID_Y_EN: 0
; COMPUTE_PGM_RSRC2:TGID_Z_EN: 0
; COMPUTE_PGM_RSRC2:TIDIG_COMP_CNT: 1
; COMPUTE_PGM_RSRC3_GFX90A:ACCUM_OFFSET: 12
; COMPUTE_PGM_RSRC3_GFX90A:TG_SPLIT: 0
	.section	.text._ZN5aiter32wv_splitk_small_fp16_bf16_kernelI14__hip_bfloat16Li64ELi1ELi1ELi8ELi4ELi2EEEviiPKT_S4_PS2_ii,"axG",@progbits,_ZN5aiter32wv_splitk_small_fp16_bf16_kernelI14__hip_bfloat16Li64ELi1ELi1ELi8ELi4ELi2EEEviiPKT_S4_PS2_ii,comdat
	.protected	_ZN5aiter32wv_splitk_small_fp16_bf16_kernelI14__hip_bfloat16Li64ELi1ELi1ELi8ELi4ELi2EEEviiPKT_S4_PS2_ii ; -- Begin function _ZN5aiter32wv_splitk_small_fp16_bf16_kernelI14__hip_bfloat16Li64ELi1ELi1ELi8ELi4ELi2EEEviiPKT_S4_PS2_ii
	.globl	_ZN5aiter32wv_splitk_small_fp16_bf16_kernelI14__hip_bfloat16Li64ELi1ELi1ELi8ELi4ELi2EEEviiPKT_S4_PS2_ii
	.p2align	8
	.type	_ZN5aiter32wv_splitk_small_fp16_bf16_kernelI14__hip_bfloat16Li64ELi1ELi1ELi8ELi4ELi2EEEviiPKT_S4_PS2_ii,@function
_ZN5aiter32wv_splitk_small_fp16_bf16_kernelI14__hip_bfloat16Li64ELi1ELi1ELi8ELi4ELi2EEEviiPKT_S4_PS2_ii: ; @_ZN5aiter32wv_splitk_small_fp16_bf16_kernelI14__hip_bfloat16Li64ELi1ELi1ELi8ELi4ELi2EEEviiPKT_S4_PS2_ii
; %bb.0:
	s_load_dwordx2 s[4:5], s[0:1], 0x20
	s_load_dwordx2 s[6:7], s[0:1], 0x0
	v_bfe_u32 v1, v0, 10, 10
	s_waitcnt lgkmcnt(0)
	s_mul_i32 s2, s2, s4
	v_add_u32_e32 v40, s2, v1
	v_cmp_gt_u32_e32 vcc, s7, v40
	s_and_saveexec_b64 s[2:3], vcc
	s_cbranch_execz .LBB27_34
; %bb.1:
	v_and_b32_e32 v0, 0x3ff, v0
	s_load_dwordx4 s[8:11], s[0:1], 0x8
	s_load_dwordx2 s[12:13], s[0:1], 0x18
	v_lshlrev_b32_e32 v42, 3, v0
	s_cmp_lg_u32 s6, 0
	v_mad_u64_u32 v[44:45], s[2:3], s6, v40, v[42:43]
	s_cselect_b64 s[2:3], -1, 0
	v_cmp_eq_u32_e64 s[0:1], 63, v0
	s_mul_i32 s24, s5, s4
	v_cndmask_b32_e64 v0, 0, 1, s[2:3]
	s_mul_i32 s25, s24, s6
	v_add_u32_e32 v43, s6, v42
	s_mov_b64 s[14:15], 0
	s_mov_b32 s26, 0x5040100
	s_mov_b32 s27, 0x7060302
	;; [unrolled: 1-line block ×3, first 2 shown]
	s_movk_i32 s29, 0x7fff
	v_mov_b32_e32 v47, 0
	v_cmp_ne_u32_e64 s[2:3], 1, v0
                                        ; implicit-def: $vgpr10
                                        ; implicit-def: $vgpr0
                                        ; implicit-def: $vgpr14
                                        ; implicit-def: $vgpr5
                                        ; implicit-def: $vgpr15
                                        ; implicit-def: $vgpr56
                                        ; implicit-def: $vgpr8
                                        ; implicit-def: $vgpr37
                                        ; implicit-def: $vgpr13
                                        ; implicit-def: $vgpr39
                                        ; implicit-def: $vgpr51
                                        ; implicit-def: $vgpr18
                                        ; implicit-def: $vgpr54
                                        ; implicit-def: $vgpr55
                                        ; implicit-def: $vgpr45
                                        ; implicit-def: $vgpr57
                                        ; implicit-def: $vgpr58
                                        ; implicit-def: $vgpr59
                                        ; implicit-def: $vgpr64
                                        ; implicit-def: $vgpr11
                                        ; implicit-def: $vgpr7
                                        ; implicit-def: $vgpr68
                                        ; implicit-def: $vgpr2
                                        ; implicit-def: $vgpr53
                                        ; implicit-def: $vgpr9
                                        ; implicit-def: $vgpr65
                                        ; implicit-def: $vgpr61
                                        ; implicit-def: $vgpr60
                                        ; implicit-def: $vgpr3
                                        ; implicit-def: $vgpr67
                                        ; implicit-def: $vgpr38
                                        ; implicit-def: $vgpr66
                                        ; implicit-def: $vgpr63
                                        ; implicit-def: $vgpr62
                                        ; implicit-def: $vgpr32_vgpr33_vgpr34_vgpr35
                                        ; implicit-def: $vgpr20_vgpr21_vgpr22_vgpr23
                                        ; implicit-def: $vgpr24_vgpr25_vgpr26_vgpr27
                                        ; implicit-def: $vgpr28_vgpr29_vgpr30_vgpr31
                                        ; implicit-def: $vgpr36
	s_branch .LBB27_4
.LBB27_2:                               ;   in Loop: Header=BB27_4 Depth=1
	s_or_b64 exec, exec, s[16:17]
	v_add_u32_e32 v46, s7, v40
	v_lshl_add_u64 v[48:49], v[46:47], 1, s[12:13]
	global_store_short_d16_hi v[48:49], v41, off
.LBB27_3:                               ;   in Loop: Header=BB27_4 Depth=1
	s_or_b64 exec, exec, s[4:5]
	v_add_u32_e32 v40, s24, v40
	v_cmp_le_u32_e32 vcc, s7, v40
	v_perm_b32 v57, v69, v57, s26
	v_perm_b32 v59, v52, v59, s26
	;; [unrolled: 1-line block ×4, first 2 shown]
	s_or_b64 s[14:15], vcc, s[14:15]
	v_add_u32_e32 v44, s25, v44
	s_andn2_b64 exec, exec, s[14:15]
	s_cbranch_execz .LBB27_34
.LBB27_4:                               ; =>This Loop Header: Depth=1
                                        ;     Child Loop BB27_10 Depth 2
	s_and_b64 vcc, exec, s[2:3]
	s_cbranch_vccnz .LBB27_24
; %bb.5:                                ;   in Loop: Header=BB27_4 Depth=1
	v_mov_b32_e32 v48, 0
	s_mov_b32 s30, 0
	v_mov_b32_e32 v49, v48
	s_branch .LBB27_10
.LBB27_6:                               ;   in Loop: Header=BB27_10 Depth=2
	s_or_b64 exec, exec, s[20:21]
.LBB27_7:                               ;   in Loop: Header=BB27_10 Depth=2
	s_or_b64 exec, exec, s[18:19]
.LBB27_8:                               ;   in Loop: Header=BB27_10 Depth=2
	s_or_b64 exec, exec, s[16:17]
.LBB27_9:                               ;   in Loop: Header=BB27_10 Depth=2
	s_or_b64 exec, exec, s[4:5]
	s_addk_i32 s30, 0x800
	s_cmp_ge_u32 s30, s6
	s_cbranch_scc1 .LBB27_23
.LBB27_10:                              ;   Parent Loop BB27_4 Depth=1
                                        ; =>  This Inner Loop Header: Depth=2
	v_add_u32_e32 v50, s30, v42
	v_cmp_gt_u32_e32 vcc, s6, v50
	v_add_u32_e32 v52, 0x200, v50
	s_and_saveexec_b64 s[16:17], vcc
	s_cbranch_execz .LBB27_18
; %bb.11:                               ;   in Loop: Header=BB27_10 Depth=2
	v_add_u32_e32 v46, s30, v44
	v_mov_b32_e32 v51, v47
	s_waitcnt lgkmcnt(0)
	v_lshl_add_u64 v[4:5], v[46:47], 1, s[8:9]
	v_lshl_add_u64 v[14:15], v[50:51], 1, s[10:11]
	v_add_u32_e32 v54, s30, v43
	v_mov_b32_e32 v55, v47
	global_load_dwordx4 v[28:31], v[4:5], off nt
	v_lshl_add_u64 v[68:69], v[54:55], 1, s[10:11]
	global_load_dwordx4 v[16:19], v[14:15], off
	global_load_dwordx4 v[4:7], v[68:69], off
	v_cmp_gt_u32_e64 s[4:5], s6, v52
	s_and_saveexec_b64 s[18:19], s[4:5]
	s_cbranch_execz .LBB27_17
; %bb.12:                               ;   in Loop: Header=BB27_10 Depth=2
	v_add_u32_e32 v0, 0x200, v46
	v_mov_b32_e32 v1, v47
	v_lshl_add_u64 v[0:1], v[0:1], 1, s[8:9]
	v_mov_b32_e32 v53, v47
	global_load_dwordx4 v[24:27], v[0:1], off nt
	v_lshl_add_u64 v[68:69], v[52:53], 1, s[10:11]
	v_add_u32_e32 v0, 0x200, v54
	v_mov_b32_e32 v1, v47
	v_lshl_add_u64 v[70:71], v[0:1], 1, s[10:11]
	global_load_dwordx4 v[12:15], v[68:69], off
	global_load_dwordx4 v[0:3], v[70:71], off
	v_add_u32_e32 v10, 0x400, v50
	v_cmp_gt_u32_e64 s[4:5], s6, v10
	s_and_saveexec_b64 s[20:21], s[4:5]
	s_cbranch_execz .LBB27_16
; %bb.13:                               ;   in Loop: Header=BB27_10 Depth=2
	v_add_u32_e32 v8, 0x400, v46
	v_mov_b32_e32 v9, v47
	v_lshl_add_u64 v[8:9], v[8:9], 1, s[8:9]
	v_mov_b32_e32 v11, v47
	global_load_dwordx4 v[20:23], v[8:9], off nt
	v_lshl_add_u64 v[64:65], v[10:11], 1, s[10:11]
	v_add_u32_e32 v8, 0x400, v54
	v_mov_b32_e32 v9, v47
	v_lshl_add_u64 v[66:67], v[8:9], 1, s[10:11]
	global_load_dwordx4 v[8:11], v[64:65], off
	global_load_dwordx4 v[36:39], v[66:67], off
	v_add_u32_e32 v56, 0x600, v50
	v_cmp_gt_u32_e64 s[4:5], s6, v56
	s_and_saveexec_b64 s[22:23], s[4:5]
	s_cbranch_execz .LBB27_15
; %bb.14:                               ;   in Loop: Header=BB27_10 Depth=2
	v_add_u32_e32 v46, 0x600, v46
	v_mov_b32_e32 v57, v47
	v_lshl_add_u64 v[58:59], v[46:47], 1, s[8:9]
	v_lshl_add_u64 v[56:57], v[56:57], 1, s[10:11]
	v_add_u32_e32 v46, 0x600, v54
	v_lshl_add_u64 v[54:55], v[46:47], 1, s[10:11]
	global_load_dwordx4 v[64:67], v[56:57], off
	global_load_dwordx4 v[68:71], v[54:55], off
	global_load_dwordx4 v[32:35], v[58:59], off nt
	s_waitcnt vmcnt(1)
	v_perm_b32 v45, v67, v71, s26
	v_perm_b32 v57, v66, v70, s26
	v_perm_b32 v62, v65, v69, s26
	v_perm_b32 v60, v64, v68, s26
	v_perm_b32 v58, v67, v71, s27
	v_perm_b32 v59, v66, v70, s27
	v_perm_b32 v63, v65, v69, s27
	v_perm_b32 v61, v64, v68, s27
.LBB27_15:                              ;   in Loop: Header=BB27_10 Depth=2
	s_or_b64 exec, exec, s[22:23]
	s_waitcnt vmcnt(1)
	v_lshrrev_b32_e32 v56, 16, v8
	s_waitcnt vmcnt(0)
	v_perm_b32 v64, v11, v39, s26
	v_perm_b32 v66, v10, v38, s26
	;; [unrolled: 1-line block ×6, first 2 shown]
.LBB27_16:                              ;   in Loop: Header=BB27_10 Depth=2
	s_or_b64 exec, exec, s[20:21]
	s_waitcnt vmcnt(1)
	v_lshrrev_b32_e32 v39, 16, v12
	v_lshrrev_b32_e32 v37, 16, v13
	s_waitcnt vmcnt(0)
	v_lshrrev_b32_e32 v10, 16, v0
	v_perm_b32 v67, v15, v3, s26
	v_perm_b32 v53, v14, v2, s26
	;; [unrolled: 1-line block ×4, first 2 shown]
.LBB27_17:                              ;   in Loop: Header=BB27_10 Depth=2
	s_or_b64 exec, exec, s[18:19]
	s_waitcnt vmcnt(1)
	v_lshrrev_b32_e32 v55, 16, v16
	v_lshrrev_b32_e32 v54, 16, v17
	v_lshrrev_b32_e32 v51, 16, v18
	s_waitcnt vmcnt(0)
	v_lshrrev_b32_e32 v15, 16, v4
	v_lshrrev_b32_e32 v14, 16, v5
	v_perm_b32 v68, v19, v7, s26
	v_perm_b32 v7, v19, v7, s27
.LBB27_18:                              ;   in Loop: Header=BB27_10 Depth=2
	s_or_b64 exec, exec, s[16:17]
	s_and_saveexec_b64 s[4:5], vcc
	s_cbranch_execz .LBB27_9
; %bb.19:                               ;   in Loop: Header=BB27_10 Depth=2
	v_lshlrev_b32_e32 v46, 16, v28
	v_and_b32_e32 v70, 0xffff0000, v28
	v_lshlrev_b32_e32 v73, 16, v16
	v_lshlrev_b32_e32 v75, 16, v55
	;; [unrolled: 1-line block ×5, first 2 shown]
	v_pk_mul_f32 v[72:73], v[46:47], v[72:73] op_sel_hi:[0,1]
	v_pk_mul_f32 v[70:71], v[70:71], v[74:75] op_sel_hi:[0,1]
	v_lshlrev_b32_e32 v75, 16, v17
	v_lshlrev_b32_e32 v74, 16, v5
	v_and_b32_e32 v78, 0xffff0000, v29
	v_pk_fma_f32 v[72:73], v[74:75], v[76:77], v[72:73] op_sel_hi:[1,0,1]
	v_lshlrev_b32_e32 v75, 16, v54
	v_lshlrev_b32_e32 v74, 16, v14
	;; [unrolled: 1-line block ×3, first 2 shown]
	v_pk_fma_f32 v[70:71], v[74:75], v[78:79], v[70:71] op_sel_hi:[1,0,1]
	v_lshlrev_b32_e32 v75, 16, v18
	v_lshlrev_b32_e32 v74, 16, v6
	v_and_b32_e32 v82, 0xffff0000, v30
	v_pk_fma_f32 v[72:73], v[74:75], v[80:81], v[72:73] op_sel_hi:[1,0,1]
	v_and_b32_e32 v74, 0xffff0000, v6
	v_lshlrev_b32_e32 v75, 16, v51
	v_lshlrev_b32_e32 v84, 16, v31
	v_pk_fma_f32 v[70:71], v[74:75], v[82:83], v[70:71] op_sel_hi:[1,0,1]
	v_and_b32_e32 v75, 0xffff0000, v68
	v_lshlrev_b32_e32 v74, 16, v68
	v_and_b32_e32 v86, 0xffff0000, v31
	v_pk_fma_f32 v[72:73], v[74:75], v[84:85], v[72:73] op_sel_hi:[1,0,1]
	v_and_b32_e32 v75, 0xffff0000, v7
	v_lshlrev_b32_e32 v74, 16, v7
	v_pk_fma_f32 v[70:71], v[74:75], v[86:87], v[70:71] op_sel_hi:[1,0,1]
	v_cmp_gt_u32_e32 vcc, s6, v52
	v_pk_add_f32 v[70:71], v[72:73], v[70:71]
	s_nop 0
	v_pk_add_f32 v[48:49], v[70:71], v[48:49]
	s_and_saveexec_b64 s[16:17], vcc
	s_cbranch_execz .LBB27_8
; %bb.20:                               ;   in Loop: Header=BB27_10 Depth=2
	v_lshlrev_b32_e32 v46, 16, v24
	v_lshlrev_b32_e32 v83, 16, v12
	;; [unrolled: 1-line block ×3, first 2 shown]
	v_and_b32_e32 v52, 0xffff0000, v24
	v_lshlrev_b32_e32 v70, 16, v25
	v_pk_mul_f32 v[82:83], v[46:47], v[82:83] op_sel_hi:[0,1]
	v_lshlrev_b32_e32 v85, 16, v39
	v_lshlrev_b32_e32 v84, 16, v10
	;; [unrolled: 1-line block ×4, first 2 shown]
	v_and_b32_e32 v72, 0xffff0000, v25
	v_pk_mul_f32 v[84:85], v[52:53], v[84:85] op_sel_hi:[0,1]
	v_pk_fma_f32 v[70:71], v[86:87], v[70:71], v[82:83] op_sel_hi:[1,0,1]
	v_and_b32_e32 v82, 0xffff0000, v1
	v_lshlrev_b32_e32 v83, 16, v37
	v_lshlrev_b32_e32 v74, 16, v26
	v_pk_fma_f32 v[72:73], v[82:83], v[72:73], v[84:85] op_sel_hi:[1,0,1]
	v_and_b32_e32 v83, 0xffff0000, v53
	v_lshlrev_b32_e32 v82, 16, v53
	v_and_b32_e32 v76, 0xffff0000, v26
	v_pk_fma_f32 v[70:71], v[82:83], v[74:75], v[70:71] op_sel_hi:[1,0,1]
	v_and_b32_e32 v75, 0xffff0000, v2
	v_lshlrev_b32_e32 v74, 16, v2
	v_lshlrev_b32_e32 v78, 16, v27
	v_pk_fma_f32 v[72:73], v[74:75], v[76:77], v[72:73] op_sel_hi:[1,0,1]
	v_and_b32_e32 v75, 0xffff0000, v67
	v_lshlrev_b32_e32 v74, 16, v67
	v_and_b32_e32 v80, 0xffff0000, v27
	v_pk_fma_f32 v[70:71], v[74:75], v[78:79], v[70:71] op_sel_hi:[1,0,1]
	v_and_b32_e32 v75, 0xffff0000, v3
	v_lshlrev_b32_e32 v74, 16, v3
	v_pk_fma_f32 v[72:73], v[74:75], v[80:81], v[72:73] op_sel_hi:[1,0,1]
	v_add_u32_e32 v19, 0x400, v50
	v_pk_add_f32 v[70:71], v[70:71], v[72:73]
	v_cmp_gt_u32_e32 vcc, s6, v19
	v_pk_add_f32 v[48:49], v[70:71], v[48:49]
	s_and_saveexec_b64 s[18:19], vcc
	s_cbranch_execz .LBB27_7
; %bb.21:                               ;   in Loop: Header=BB27_10 Depth=2
	v_lshlrev_b32_e32 v46, 16, v20
	v_lshlrev_b32_e32 v83, 16, v8
	;; [unrolled: 1-line block ×3, first 2 shown]
	v_and_b32_e32 v52, 0xffff0000, v20
	v_lshlrev_b32_e32 v70, 16, v21
	v_pk_mul_f32 v[82:83], v[46:47], v[82:83] op_sel_hi:[0,1]
	v_and_b32_e32 v84, 0xffff0000, v36
	v_lshlrev_b32_e32 v85, 16, v56
	v_and_b32_e32 v87, 0xffff0000, v65
	v_lshlrev_b32_e32 v86, 16, v65
	v_and_b32_e32 v72, 0xffff0000, v21
	v_pk_mul_f32 v[84:85], v[52:53], v[84:85] op_sel_hi:[0,1]
	v_pk_fma_f32 v[70:71], v[86:87], v[70:71], v[82:83] op_sel_hi:[1,0,1]
	v_and_b32_e32 v83, 0xffff0000, v9
	v_lshlrev_b32_e32 v82, 16, v9
	v_lshlrev_b32_e32 v74, 16, v22
	v_pk_fma_f32 v[72:73], v[82:83], v[72:73], v[84:85] op_sel_hi:[1,0,1]
	v_and_b32_e32 v83, 0xffff0000, v66
	v_lshlrev_b32_e32 v82, 16, v66
	v_and_b32_e32 v76, 0xffff0000, v22
	v_pk_fma_f32 v[70:71], v[82:83], v[74:75], v[70:71] op_sel_hi:[1,0,1]
	v_and_b32_e32 v75, 0xffff0000, v38
	v_lshlrev_b32_e32 v74, 16, v38
	v_lshlrev_b32_e32 v78, 16, v23
	v_pk_fma_f32 v[72:73], v[74:75], v[76:77], v[72:73] op_sel_hi:[1,0,1]
	v_and_b32_e32 v75, 0xffff0000, v64
	v_lshlrev_b32_e32 v74, 16, v64
	v_and_b32_e32 v80, 0xffff0000, v23
	v_pk_fma_f32 v[70:71], v[74:75], v[78:79], v[70:71] op_sel_hi:[1,0,1]
	v_and_b32_e32 v75, 0xffff0000, v11
	v_lshlrev_b32_e32 v74, 16, v11
	v_pk_fma_f32 v[72:73], v[74:75], v[80:81], v[72:73] op_sel_hi:[1,0,1]
	v_add_u32_e32 v19, 0x600, v50
	v_pk_add_f32 v[70:71], v[70:71], v[72:73]
	v_cmp_gt_u32_e32 vcc, s6, v19
	v_pk_add_f32 v[48:49], v[70:71], v[48:49]
	s_and_saveexec_b64 s[20:21], vcc
	s_cbranch_execz .LBB27_6
; %bb.22:                               ;   in Loop: Header=BB27_10 Depth=2
	v_lshlrev_b32_e32 v46, 16, v32
	v_and_b32_e32 v81, 0xffff0000, v60
	v_lshlrev_b32_e32 v80, 16, v60
	v_and_b32_e32 v50, 0xffff0000, v32
	v_lshlrev_b32_e32 v52, 16, v33
	v_pk_mul_f32 v[80:81], v[46:47], v[80:81] op_sel_hi:[0,1]
	v_and_b32_e32 v83, 0xffff0000, v61
	v_lshlrev_b32_e32 v82, 16, v61
	v_and_b32_e32 v85, 0xffff0000, v62
	v_lshlrev_b32_e32 v84, 16, v62
	v_and_b32_e32 v70, 0xffff0000, v33
	v_pk_mul_f32 v[82:83], v[50:51], v[82:83] op_sel_hi:[0,1]
	v_pk_fma_f32 v[80:81], v[84:85], v[52:53], v[80:81] op_sel_hi:[1,0,1]
	v_and_b32_e32 v85, 0xffff0000, v63
	v_lshlrev_b32_e32 v84, 16, v63
	v_lshlrev_b32_e32 v72, 16, v34
	v_pk_fma_f32 v[70:71], v[84:85], v[70:71], v[82:83] op_sel_hi:[1,0,1]
	v_and_b32_e32 v83, 0xffff0000, v57
	v_lshlrev_b32_e32 v82, 16, v57
	v_and_b32_e32 v74, 0xffff0000, v34
	v_pk_fma_f32 v[72:73], v[82:83], v[72:73], v[80:81] op_sel_hi:[1,0,1]
	v_and_b32_e32 v81, 0xffff0000, v59
	v_lshlrev_b32_e32 v80, 16, v59
	v_lshlrev_b32_e32 v76, 16, v35
	v_pk_fma_f32 v[70:71], v[80:81], v[74:75], v[70:71] op_sel_hi:[1,0,1]
	v_and_b32_e32 v75, 0xffff0000, v45
	v_lshlrev_b32_e32 v74, 16, v45
	v_and_b32_e32 v78, 0xffff0000, v35
	v_pk_fma_f32 v[72:73], v[74:75], v[76:77], v[72:73] op_sel_hi:[1,0,1]
	v_and_b32_e32 v75, 0xffff0000, v58
	v_lshlrev_b32_e32 v74, 16, v58
	v_pk_fma_f32 v[70:71], v[74:75], v[78:79], v[70:71] op_sel_hi:[1,0,1]
	s_nop 0
	v_pk_add_f32 v[70:71], v[72:73], v[70:71]
	s_nop 0
	v_pk_add_f32 v[48:49], v[70:71], v[48:49]
	s_branch .LBB27_6
.LBB27_23:                              ;   in Loop: Header=BB27_4 Depth=1
	v_lshrrev_b32_e32 v19, 16, v11
	v_lshrrev_b32_e32 v50, 16, v64
	;; [unrolled: 1-line block ×4, first 2 shown]
	s_branch .LBB27_25
.LBB27_24:                              ;   in Loop: Header=BB27_4 Depth=1
	v_lshrrev_b32_e32 v69, 16, v57
	v_lshrrev_b32_e32 v52, 16, v59
	;; [unrolled: 1-line block ×4, first 2 shown]
	v_mov_b32_e32 v49, v47
	v_mov_b32_e32 v48, v47
.LBB27_25:                              ;   in Loop: Header=BB27_4 Depth=1
	;;#ASMSTART
	s_nop 0
	v_add_f32 v49, v49, v49 row_shr:8 bound_ctrl:0 
	;;#ASMEND
	;;#ASMSTART
	s_nop 0
	v_add_f32 v48, v48, v48 row_shr:8 bound_ctrl:0 
	;;#ASMEND
	s_nop 0
	;;#ASMSTART
	s_nop 0
	v_add_f32 v49, v49, v49 row_shr:4 bound_ctrl:0 
	;;#ASMEND
	;;#ASMSTART
	s_nop 0
	v_add_f32 v48, v48, v48 row_shr:4 bound_ctrl:0 
	;;#ASMEND
	s_nop 0
	;; [unrolled: 9-line block ×3, first 2 shown]
	;;#ASMSTART
	s_nop 0
	v_add_f32 v49, v49, v49 wave_shr:1 bound_ctrl:0
	;;#ASMEND
	;;#ASMSTART
	s_nop 0
	v_add_f32 v48, v48, v48 wave_shr:1 bound_ctrl:0
	;;#ASMEND
	s_nop 0
	;;#ASMSTART
	s_nop 0
	v_add_f32 v49, v49, v49 row_bcast:15 bound_ctrl:0
	;;#ASMEND
	;;#ASMSTART
	s_nop 0
	v_add_f32 v48, v48, v48 row_bcast:15 bound_ctrl:0
	;;#ASMEND
	s_nop 0
	;;#ASMSTART
	s_nop 0
	v_add_f32 v49, v49, v49 row_bcast:31 bound_ctrl:0
	;;#ASMEND
	;;#ASMSTART
	s_nop 0
	v_add_f32 v48, v48, v48 row_bcast:31 bound_ctrl:0
	;;#ASMEND
	s_and_saveexec_b64 s[4:5], s[0:1]
	s_cbranch_execz .LBB27_3
; %bb.26:                               ;   in Loop: Header=BB27_4 Depth=1
	v_and_b32_e32 v41, 0x7f800000, v49
	v_cmp_ne_u32_e32 vcc, s28, v41
                                        ; implicit-def: $vgpr46
	s_and_saveexec_b64 s[16:17], vcc
	s_xor_b64 s[16:17], exec, s[16:17]
; %bb.27:                               ;   in Loop: Header=BB27_4 Depth=1
	v_bfe_u32 v41, v49, 16, 1
	v_add3_u32 v46, v49, v41, s29
; %bb.28:                               ;   in Loop: Header=BB27_4 Depth=1
	s_andn2_saveexec_b64 s[16:17], s[16:17]
; %bb.29:                               ;   in Loop: Header=BB27_4 Depth=1
	v_or_b32_e32 v41, 0x10000, v49
	v_cmp_eq_u32_sdwa vcc, v49, v47 src0_sel:WORD_0 src1_sel:DWORD
	s_nop 1
	v_cndmask_b32_e32 v46, v41, v49, vcc
; %bb.30:                               ;   in Loop: Header=BB27_4 Depth=1
	s_or_b64 exec, exec, s[16:17]
	v_mov_b32_e32 v41, v47
	s_waitcnt lgkmcnt(0)
	v_lshl_add_u64 v[70:71], v[40:41], 1, s[12:13]
	v_and_b32_e32 v41, 0x7f800000, v48
	v_cmp_ne_u32_e32 vcc, s28, v41
	global_store_short_d16_hi v[70:71], v46, off
                                        ; implicit-def: $vgpr41
	s_and_saveexec_b64 s[16:17], vcc
	s_xor_b64 s[16:17], exec, s[16:17]
; %bb.31:                               ;   in Loop: Header=BB27_4 Depth=1
	v_bfe_u32 v41, v48, 16, 1
	v_add3_u32 v41, v48, v41, s29
                                        ; implicit-def: $vgpr48
; %bb.32:                               ;   in Loop: Header=BB27_4 Depth=1
	s_andn2_saveexec_b64 s[16:17], s[16:17]
	s_cbranch_execz .LBB27_2
; %bb.33:                               ;   in Loop: Header=BB27_4 Depth=1
	v_or_b32_e32 v41, 0x10000, v48
	v_cmp_eq_u32_sdwa vcc, v48, v47 src0_sel:WORD_0 src1_sel:DWORD
	s_nop 1
	v_cndmask_b32_e32 v41, v41, v48, vcc
	s_branch .LBB27_2
.LBB27_34:
	s_endpgm
	.section	.rodata,"a",@progbits
	.p2align	6, 0x0
	.amdhsa_kernel _ZN5aiter32wv_splitk_small_fp16_bf16_kernelI14__hip_bfloat16Li64ELi1ELi1ELi8ELi4ELi2EEEviiPKT_S4_PS2_ii
		.amdhsa_group_segment_fixed_size 0
		.amdhsa_private_segment_fixed_size 0
		.amdhsa_kernarg_size 40
		.amdhsa_user_sgpr_count 2
		.amdhsa_user_sgpr_dispatch_ptr 0
		.amdhsa_user_sgpr_queue_ptr 0
		.amdhsa_user_sgpr_kernarg_segment_ptr 1
		.amdhsa_user_sgpr_dispatch_id 0
		.amdhsa_user_sgpr_kernarg_preload_length 0
		.amdhsa_user_sgpr_kernarg_preload_offset 0
		.amdhsa_user_sgpr_private_segment_size 0
		.amdhsa_uses_dynamic_stack 0
		.amdhsa_enable_private_segment 0
		.amdhsa_system_sgpr_workgroup_id_x 1
		.amdhsa_system_sgpr_workgroup_id_y 0
		.amdhsa_system_sgpr_workgroup_id_z 0
		.amdhsa_system_sgpr_workgroup_info 0
		.amdhsa_system_vgpr_workitem_id 1
		.amdhsa_next_free_vgpr 88
		.amdhsa_next_free_sgpr 31
		.amdhsa_accum_offset 88
		.amdhsa_reserve_vcc 1
		.amdhsa_float_round_mode_32 0
		.amdhsa_float_round_mode_16_64 0
		.amdhsa_float_denorm_mode_32 3
		.amdhsa_float_denorm_mode_16_64 3
		.amdhsa_dx10_clamp 1
		.amdhsa_ieee_mode 1
		.amdhsa_fp16_overflow 0
		.amdhsa_tg_split 0
		.amdhsa_exception_fp_ieee_invalid_op 0
		.amdhsa_exception_fp_denorm_src 0
		.amdhsa_exception_fp_ieee_div_zero 0
		.amdhsa_exception_fp_ieee_overflow 0
		.amdhsa_exception_fp_ieee_underflow 0
		.amdhsa_exception_fp_ieee_inexact 0
		.amdhsa_exception_int_div_zero 0
	.end_amdhsa_kernel
	.section	.text._ZN5aiter32wv_splitk_small_fp16_bf16_kernelI14__hip_bfloat16Li64ELi1ELi1ELi8ELi4ELi2EEEviiPKT_S4_PS2_ii,"axG",@progbits,_ZN5aiter32wv_splitk_small_fp16_bf16_kernelI14__hip_bfloat16Li64ELi1ELi1ELi8ELi4ELi2EEEviiPKT_S4_PS2_ii,comdat
.Lfunc_end27:
	.size	_ZN5aiter32wv_splitk_small_fp16_bf16_kernelI14__hip_bfloat16Li64ELi1ELi1ELi8ELi4ELi2EEEviiPKT_S4_PS2_ii, .Lfunc_end27-_ZN5aiter32wv_splitk_small_fp16_bf16_kernelI14__hip_bfloat16Li64ELi1ELi1ELi8ELi4ELi2EEEviiPKT_S4_PS2_ii
                                        ; -- End function
	.section	.AMDGPU.csdata,"",@progbits
; Kernel info:
; codeLenInByte = 2288
; NumSgprs: 37
; NumVgprs: 88
; NumAgprs: 0
; TotalNumVgprs: 88
; ScratchSize: 0
; MemoryBound: 0
; FloatMode: 240
; IeeeMode: 1
; LDSByteSize: 0 bytes/workgroup (compile time only)
; SGPRBlocks: 4
; VGPRBlocks: 10
; NumSGPRsForWavesPerEU: 37
; NumVGPRsForWavesPerEU: 88
; AccumOffset: 88
; Occupancy: 5
; WaveLimiterHint : 0
; COMPUTE_PGM_RSRC2:SCRATCH_EN: 0
; COMPUTE_PGM_RSRC2:USER_SGPR: 2
; COMPUTE_PGM_RSRC2:TRAP_HANDLER: 0
; COMPUTE_PGM_RSRC2:TGID_X_EN: 1
; COMPUTE_PGM_RSRC2:TGID_Y_EN: 0
; COMPUTE_PGM_RSRC2:TGID_Z_EN: 0
; COMPUTE_PGM_RSRC2:TIDIG_COMP_CNT: 1
; COMPUTE_PGM_RSRC3_GFX90A:ACCUM_OFFSET: 21
; COMPUTE_PGM_RSRC3_GFX90A:TG_SPLIT: 0
	.section	.text._ZN5aiter32wv_splitk_small_fp16_bf16_kernelI14__hip_bfloat16Li64ELi1ELi1ELi8ELi4ELi3EEEviiPKT_S4_PS2_ii,"axG",@progbits,_ZN5aiter32wv_splitk_small_fp16_bf16_kernelI14__hip_bfloat16Li64ELi1ELi1ELi8ELi4ELi3EEEviiPKT_S4_PS2_ii,comdat
	.protected	_ZN5aiter32wv_splitk_small_fp16_bf16_kernelI14__hip_bfloat16Li64ELi1ELi1ELi8ELi4ELi3EEEviiPKT_S4_PS2_ii ; -- Begin function _ZN5aiter32wv_splitk_small_fp16_bf16_kernelI14__hip_bfloat16Li64ELi1ELi1ELi8ELi4ELi3EEEviiPKT_S4_PS2_ii
	.globl	_ZN5aiter32wv_splitk_small_fp16_bf16_kernelI14__hip_bfloat16Li64ELi1ELi1ELi8ELi4ELi3EEEviiPKT_S4_PS2_ii
	.p2align	8
	.type	_ZN5aiter32wv_splitk_small_fp16_bf16_kernelI14__hip_bfloat16Li64ELi1ELi1ELi8ELi4ELi3EEEviiPKT_S4_PS2_ii,@function
_ZN5aiter32wv_splitk_small_fp16_bf16_kernelI14__hip_bfloat16Li64ELi1ELi1ELi8ELi4ELi3EEEviiPKT_S4_PS2_ii: ; @_ZN5aiter32wv_splitk_small_fp16_bf16_kernelI14__hip_bfloat16Li64ELi1ELi1ELi8ELi4ELi3EEEviiPKT_S4_PS2_ii
; %bb.0:
	s_load_dwordx2 s[4:5], s[0:1], 0x20
	s_load_dwordx2 s[6:7], s[0:1], 0x0
	v_bfe_u32 v1, v0, 10, 10
	s_waitcnt lgkmcnt(0)
	s_mul_i32 s2, s2, s4
	v_add_u32_e32 v56, s2, v1
	v_cmp_gt_u32_e32 vcc, s7, v56
	s_and_saveexec_b64 s[2:3], vcc
	s_cbranch_execz .LBB28_38
; %bb.1:
	v_and_b32_e32 v0, 0x3ff, v0
	s_load_dwordx4 s[8:11], s[0:1], 0x8
	s_load_dwordx2 s[12:13], s[0:1], 0x18
	v_lshlrev_b32_e32 v58, 3, v0
	s_cmp_lg_u32 s6, 0
	v_mad_u64_u32 v[60:61], s[2:3], s6, v56, v[58:59]
	s_cselect_b64 s[2:3], -1, 0
	v_cmp_eq_u32_e64 s[0:1], 63, v0
	s_mul_i32 s24, s5, s4
	v_cndmask_b32_e64 v0, 0, 1, s[2:3]
	s_mul_i32 s25, s24, s6
	v_lshl_add_u32 v59, s6, 1, v58
	v_add_u32_e32 v61, s6, v58
	s_mov_b64 s[14:15], 0
	s_mov_b32 s26, 0x5040100
	s_mov_b32 s27, 0x7060302
	;; [unrolled: 1-line block ×3, first 2 shown]
	s_movk_i32 s29, 0x7fff
	v_mov_b32_e32 v63, 0
	v_cmp_ne_u32_e64 s[2:3], 1, v0
                                        ; implicit-def: $vgpr2
                                        ; implicit-def: $vgpr4
                                        ; implicit-def: $vgpr10
                                        ; implicit-def: $vgpr13
                                        ; implicit-def: $vgpr11
                                        ; implicit-def: $vgpr74
                                        ; implicit-def: $vgpr0
                                        ; implicit-def: $vgpr45
                                        ; implicit-def: $vgpr9
                                        ; implicit-def: $vgpr47
                                        ; implicit-def: $vgpr67
                                        ; implicit-def: $vgpr18
                                        ; implicit-def: $vgpr70
                                        ; implicit-def: $vgpr71
                                        ; implicit-def: $vgpr75
                                        ; implicit-def: $vgpr76
                                        ; implicit-def: $vgpr77
                                        ; implicit-def: $vgpr78
                                        ; implicit-def: $vgpr83
                                        ; implicit-def: $vgpr3
                                        ; implicit-def: $vgpr15
                                        ; implicit-def: $vgpr72
                                        ; implicit-def: $vgpr6
                                        ; implicit-def: $vgpr69
                                        ; implicit-def: $vgpr1
                                        ; implicit-def: $vgpr84
                                        ; implicit-def: $vgpr80
                                        ; implicit-def: $vgpr79
                                        ; implicit-def: $vgpr7
                                        ; implicit-def: $vgpr86
                                        ; implicit-def: $vgpr46
                                        ; implicit-def: $vgpr85
                                        ; implicit-def: $vgpr82
                                        ; implicit-def: $vgpr81
                                        ; implicit-def: $vgpr48_vgpr49_vgpr50_vgpr51
                                        ; implicit-def: $vgpr20_vgpr21_vgpr22_vgpr23
                                        ; implicit-def: $vgpr24_vgpr25_vgpr26_vgpr27
                                        ; implicit-def: $vgpr28_vgpr29_vgpr30_vgpr31
                                        ; implicit-def: $vgpr44
                                        ; implicit-def: $vgpr55
                                        ; implicit-def: $vgpr35
                                        ; implicit-def: $vgpr39
                                        ; implicit-def: $vgpr43
	s_branch .LBB28_4
.LBB28_2:                               ;   in Loop: Header=BB28_4 Depth=1
	s_or_b64 exec, exec, s[16:17]
	v_add_u32_e32 v62, s7, v62
	v_lshl_add_u64 v[64:65], v[62:63], 1, s[12:13]
	global_store_short_d16_hi v[64:65], v57, off
.LBB28_3:                               ;   in Loop: Header=BB28_4 Depth=1
	s_or_b64 exec, exec, s[4:5]
	v_add_u32_e32 v56, s24, v56
	v_cmp_le_u32_e32 vcc, s7, v56
	v_perm_b32 v76, v73, v76, s26
	v_perm_b32 v78, v68, v78, s26
	;; [unrolled: 1-line block ×4, first 2 shown]
	s_or_b64 s[14:15], vcc, s[14:15]
	v_add_u32_e32 v60, s25, v60
	s_andn2_b64 exec, exec, s[14:15]
	s_cbranch_execz .LBB28_38
.LBB28_4:                               ; =>This Loop Header: Depth=1
                                        ;     Child Loop BB28_10 Depth 2
	s_and_b64 vcc, exec, s[2:3]
	s_mov_b32 s30, 0
	s_cbranch_vccnz .LBB28_24
; %bb.5:                                ;   in Loop: Header=BB28_4 Depth=1
	v_mov_b32_e32 v57, 0
	v_mov_b32_e32 v64, 0
	v_mov_b32_e32 v65, v57
	s_branch .LBB28_10
.LBB28_6:                               ;   in Loop: Header=BB28_10 Depth=2
	s_or_b64 exec, exec, s[20:21]
.LBB28_7:                               ;   in Loop: Header=BB28_10 Depth=2
	s_or_b64 exec, exec, s[18:19]
.LBB28_8:                               ;   in Loop: Header=BB28_10 Depth=2
	s_or_b64 exec, exec, s[16:17]
.LBB28_9:                               ;   in Loop: Header=BB28_10 Depth=2
	s_or_b64 exec, exec, s[4:5]
	s_addk_i32 s30, 0x800
	s_cmp_ge_u32 s30, s6
	s_cbranch_scc1 .LBB28_23
.LBB28_10:                              ;   Parent Loop BB28_4 Depth=1
                                        ; =>  This Inner Loop Header: Depth=2
	v_add_u32_e32 v66, s30, v58
	v_cmp_gt_u32_e32 vcc, s6, v66
	v_add_u32_e32 v68, 0x200, v66
	s_and_saveexec_b64 s[16:17], vcc
	s_cbranch_execz .LBB28_18
; %bb.11:                               ;   in Loop: Header=BB28_10 Depth=2
	v_add_u32_e32 v62, s30, v60
	s_waitcnt lgkmcnt(0)
	v_lshl_add_u64 v[10:11], v[62:63], 1, s[8:9]
	v_mov_b32_e32 v67, v63
	global_load_dwordx4 v[28:31], v[10:11], off nt
	v_lshl_add_u64 v[10:11], v[66:67], 1, s[10:11]
	v_add_u32_e32 v70, s30, v61
	v_mov_b32_e32 v71, v63
	v_add_u32_e32 v72, s30, v59
	v_mov_b32_e32 v73, v63
	v_lshl_add_u64 v[12:13], v[70:71], 1, s[10:11]
	global_load_dwordx4 v[40:43], v[10:11], off
	global_load_dwordx4 v[16:19], v[12:13], off
	v_lshl_add_u64 v[10:11], v[72:73], 1, s[10:11]
	global_load_dwordx4 v[12:15], v[10:11], off
	v_cmp_gt_u32_e64 s[4:5], s6, v68
	s_and_saveexec_b64 s[18:19], s[4:5]
	s_cbranch_execz .LBB28_17
; %bb.12:                               ;   in Loop: Header=BB28_10 Depth=2
	v_add_u32_e32 v4, 0x200, v62
	v_mov_b32_e32 v5, v63
	v_lshl_add_u64 v[4:5], v[4:5], 1, s[8:9]
	v_mov_b32_e32 v69, v63
	global_load_dwordx4 v[24:27], v[4:5], off nt
	v_lshl_add_u64 v[4:5], v[68:69], 1, s[10:11]
	v_add_u32_e32 v6, 0x200, v70
	v_mov_b32_e32 v7, v63
	v_lshl_add_u64 v[6:7], v[6:7], 1, s[10:11]
	global_load_dwordx4 v[36:39], v[4:5], off
	global_load_dwordx4 v[8:11], v[6:7], off
	v_add_u32_e32 v4, 0x200, v72
	v_mov_b32_e32 v5, v63
	v_lshl_add_u64 v[4:5], v[4:5], 1, s[10:11]
	global_load_dwordx4 v[4:7], v[4:5], off
	v_add_u32_e32 v2, 0x400, v66
	v_cmp_gt_u32_e64 s[4:5], s6, v2
	s_and_saveexec_b64 s[20:21], s[4:5]
	s_cbranch_execz .LBB28_16
; %bb.13:                               ;   in Loop: Header=BB28_10 Depth=2
	v_add_u32_e32 v0, 0x400, v62
	v_mov_b32_e32 v1, v63
	v_lshl_add_u64 v[0:1], v[0:1], 1, s[8:9]
	v_mov_b32_e32 v3, v63
	global_load_dwordx4 v[20:23], v[0:1], off nt
	v_lshl_add_u64 v[44:45], v[2:3], 1, s[10:11]
	v_add_u32_e32 v0, 0x400, v70
	v_mov_b32_e32 v1, v63
	v_lshl_add_u64 v[46:47], v[0:1], 1, s[10:11]
	global_load_dwordx4 v[32:35], v[44:45], off
	global_load_dwordx4 v[0:3], v[46:47], off
	v_add_u32_e32 v44, 0x400, v72
	v_mov_b32_e32 v45, v63
	v_lshl_add_u64 v[44:45], v[44:45], 1, s[10:11]
	global_load_dwordx4 v[44:47], v[44:45], off
	v_add_u32_e32 v74, 0x600, v66
	v_cmp_gt_u32_e64 s[4:5], s6, v74
	s_and_saveexec_b64 s[22:23], s[4:5]
	s_cbranch_execz .LBB28_15
; %bb.14:                               ;   in Loop: Header=BB28_10 Depth=2
	v_add_u32_e32 v62, 0x600, v62
	v_lshl_add_u64 v[76:77], v[62:63], 1, s[8:9]
	v_add_u32_e32 v62, 0x600, v70
	v_lshl_add_u64 v[48:49], v[62:63], 1, s[10:11]
	v_add_u32_e32 v62, 0x600, v72
	global_load_dwordx4 v[84:87], v[48:49], off
	v_lshl_add_u64 v[48:49], v[62:63], 1, s[10:11]
	v_mov_b32_e32 v75, v63
	global_load_dwordx4 v[70:73], v[48:49], off
	v_lshl_add_u64 v[74:75], v[74:75], 1, s[10:11]
	global_load_dwordx4 v[52:55], v[74:75], off
	global_load_dwordx4 v[48:51], v[76:77], off nt
	s_waitcnt vmcnt(2)
	v_perm_b32 v75, v87, v73, s26
	v_perm_b32 v76, v86, v72, s26
	;; [unrolled: 1-line block ×8, first 2 shown]
.LBB28_15:                              ;   in Loop: Header=BB28_10 Depth=2
	s_or_b64 exec, exec, s[22:23]
	s_waitcnt vmcnt(1)
	v_lshrrev_b32_e32 v74, 16, v0
	s_waitcnt vmcnt(0)
	v_perm_b32 v83, v3, v47, s26
	v_perm_b32 v85, v2, v46, s26
	;; [unrolled: 1-line block ×6, first 2 shown]
.LBB28_16:                              ;   in Loop: Header=BB28_10 Depth=2
	s_or_b64 exec, exec, s[20:21]
	s_waitcnt vmcnt(1)
	v_lshrrev_b32_e32 v47, 16, v8
	v_lshrrev_b32_e32 v45, 16, v9
	s_waitcnt vmcnt(0)
	v_lshrrev_b32_e32 v2, 16, v4
	v_perm_b32 v86, v11, v7, s26
	v_perm_b32 v69, v10, v6, s26
	;; [unrolled: 1-line block ×4, first 2 shown]
.LBB28_17:                              ;   in Loop: Header=BB28_10 Depth=2
	s_or_b64 exec, exec, s[18:19]
	s_waitcnt vmcnt(1)
	v_lshrrev_b32_e32 v71, 16, v16
	v_lshrrev_b32_e32 v70, 16, v17
	;; [unrolled: 1-line block ×3, first 2 shown]
	s_waitcnt vmcnt(0)
	v_lshrrev_b32_e32 v11, 16, v12
	v_lshrrev_b32_e32 v10, 16, v13
	v_perm_b32 v72, v19, v15, s26
	v_perm_b32 v15, v19, v15, s27
.LBB28_18:                              ;   in Loop: Header=BB28_10 Depth=2
	s_or_b64 exec, exec, s[16:17]
	s_and_saveexec_b64 s[4:5], vcc
	s_cbranch_execz .LBB28_9
; %bb.19:                               ;   in Loop: Header=BB28_10 Depth=2
	v_and_b32_e32 v89, 0xffff0000, v28
	v_lshlrev_b32_e32 v88, 16, v28
	v_and_b32_e32 v91, 0xffff0000, v40
	v_lshlrev_b32_e32 v90, 16, v40
	v_pk_mul_f32 v[90:91], v[90:91], v[88:89]
	v_and_b32_e32 v93, 0xffff0000, v41
	v_lshlrev_b32_e32 v92, 16, v41
	v_and_b32_e32 v95, 0xffff0000, v29
	v_lshlrev_b32_e32 v94, 16, v29
	v_pk_fma_f32 v[90:91], v[92:93], v[94:95], v[90:91]
	v_and_b32_e32 v93, 0xffff0000, v42
	v_lshlrev_b32_e32 v92, 16, v42
	v_and_b32_e32 v97, 0xffff0000, v30
	v_lshlrev_b32_e32 v96, 16, v30
	v_pk_fma_f32 v[90:91], v[92:93], v[96:97], v[90:91]
	;; [unrolled: 5-line block ×3, first 2 shown]
	v_lshlrev_b32_e32 v93, 16, v71
	v_add_f32_e32 v19, v90, v91
	v_lshlrev_b32_e32 v91, 16, v16
	v_lshlrev_b32_e32 v90, 16, v12
	;; [unrolled: 1-line block ×3, first 2 shown]
	v_mov_b32_e32 v62, v89
	v_pk_mul_f32 v[90:91], v[88:89], v[90:91] op_sel_hi:[0,1]
	v_pk_mul_f32 v[88:89], v[62:63], v[92:93] op_sel_hi:[0,1]
	v_lshlrev_b32_e32 v93, 16, v17
	v_lshlrev_b32_e32 v92, 16, v13
	v_pk_fma_f32 v[90:91], v[92:93], v[94:95], v[90:91] op_sel_hi:[1,0,1]
	v_lshlrev_b32_e32 v93, 16, v70
	v_lshlrev_b32_e32 v92, 16, v10
	v_mov_b32_e32 v62, v95
	v_pk_fma_f32 v[88:89], v[92:93], v[62:63], v[88:89] op_sel_hi:[1,0,1]
	v_lshlrev_b32_e32 v93, 16, v18
	v_lshlrev_b32_e32 v92, 16, v14
	v_pk_fma_f32 v[90:91], v[92:93], v[96:97], v[90:91] op_sel_hi:[1,0,1]
	v_and_b32_e32 v92, 0xffff0000, v14
	v_lshlrev_b32_e32 v93, 16, v67
	v_mov_b32_e32 v62, v97
	v_pk_fma_f32 v[88:89], v[92:93], v[62:63], v[88:89] op_sel_hi:[1,0,1]
	v_and_b32_e32 v93, 0xffff0000, v72
	v_lshlrev_b32_e32 v92, 16, v72
	v_pk_fma_f32 v[90:91], v[92:93], v[98:99], v[90:91] op_sel_hi:[1,0,1]
	v_and_b32_e32 v93, 0xffff0000, v15
	v_lshlrev_b32_e32 v92, 16, v15
	v_mov_b32_e32 v62, v99
	v_pk_fma_f32 v[88:89], v[92:93], v[62:63], v[88:89] op_sel_hi:[1,0,1]
	v_add_f32_e32 v57, v19, v57
	v_pk_add_f32 v[88:89], v[90:91], v[88:89]
	v_cmp_gt_u32_e32 vcc, s6, v68
	v_pk_add_f32 v[64:65], v[88:89], v[64:65]
	s_and_saveexec_b64 s[16:17], vcc
	s_cbranch_execz .LBB28_8
; %bb.20:                               ;   in Loop: Header=BB28_10 Depth=2
	v_and_b32_e32 v89, 0xffff0000, v24
	v_lshlrev_b32_e32 v88, 16, v24
	v_and_b32_e32 v91, 0xffff0000, v36
	v_lshlrev_b32_e32 v90, 16, v36
	v_pk_mul_f32 v[90:91], v[90:91], v[88:89]
	v_and_b32_e32 v93, 0xffff0000, v37
	v_lshlrev_b32_e32 v92, 16, v37
	v_and_b32_e32 v95, 0xffff0000, v25
	v_lshlrev_b32_e32 v94, 16, v25
	v_pk_fma_f32 v[90:91], v[92:93], v[94:95], v[90:91]
	v_and_b32_e32 v93, 0xffff0000, v38
	v_lshlrev_b32_e32 v92, 16, v38
	v_and_b32_e32 v97, 0xffff0000, v26
	v_lshlrev_b32_e32 v96, 16, v26
	v_pk_fma_f32 v[90:91], v[92:93], v[96:97], v[90:91]
	v_and_b32_e32 v93, 0xffff0000, v39
	v_lshlrev_b32_e32 v92, 16, v39
	v_and_b32_e32 v99, 0xffff0000, v27
	v_lshlrev_b32_e32 v98, 16, v27
	v_pk_fma_f32 v[90:91], v[92:93], v[98:99], v[90:91]
	v_lshlrev_b32_e32 v93, 16, v47
	v_add_f32_e32 v19, v90, v91
	v_lshlrev_b32_e32 v91, 16, v8
	v_lshlrev_b32_e32 v90, 16, v4
	;; [unrolled: 1-line block ×3, first 2 shown]
	v_mov_b32_e32 v62, v89
	v_pk_mul_f32 v[90:91], v[88:89], v[90:91] op_sel_hi:[0,1]
	v_pk_mul_f32 v[88:89], v[62:63], v[92:93] op_sel_hi:[0,1]
	v_lshlrev_b32_e32 v93, 16, v9
	v_lshlrev_b32_e32 v92, 16, v5
	v_pk_fma_f32 v[90:91], v[92:93], v[94:95], v[90:91] op_sel_hi:[1,0,1]
	v_and_b32_e32 v92, 0xffff0000, v5
	v_lshlrev_b32_e32 v93, 16, v45
	v_mov_b32_e32 v62, v95
	v_pk_fma_f32 v[88:89], v[92:93], v[62:63], v[88:89] op_sel_hi:[1,0,1]
	v_and_b32_e32 v93, 0xffff0000, v69
	v_lshlrev_b32_e32 v92, 16, v69
	v_pk_fma_f32 v[90:91], v[92:93], v[96:97], v[90:91] op_sel_hi:[1,0,1]
	v_and_b32_e32 v93, 0xffff0000, v6
	v_lshlrev_b32_e32 v92, 16, v6
	v_mov_b32_e32 v62, v97
	v_pk_fma_f32 v[88:89], v[92:93], v[62:63], v[88:89] op_sel_hi:[1,0,1]
	v_and_b32_e32 v93, 0xffff0000, v86
	v_lshlrev_b32_e32 v92, 16, v86
	v_pk_fma_f32 v[90:91], v[92:93], v[98:99], v[90:91] op_sel_hi:[1,0,1]
	v_and_b32_e32 v93, 0xffff0000, v7
	v_lshlrev_b32_e32 v92, 16, v7
	v_mov_b32_e32 v62, v99
	v_pk_fma_f32 v[88:89], v[92:93], v[62:63], v[88:89] op_sel_hi:[1,0,1]
	v_add_f32_e32 v57, v19, v57
	v_pk_add_f32 v[88:89], v[90:91], v[88:89]
	v_add_u32_e32 v19, 0x400, v66
	v_pk_add_f32 v[64:65], v[88:89], v[64:65]
	v_cmp_gt_u32_e32 vcc, s6, v19
	s_and_saveexec_b64 s[18:19], vcc
	s_cbranch_execz .LBB28_7
; %bb.21:                               ;   in Loop: Header=BB28_10 Depth=2
	v_and_b32_e32 v89, 0xffff0000, v20
	v_lshlrev_b32_e32 v88, 16, v20
	v_and_b32_e32 v91, 0xffff0000, v32
	v_lshlrev_b32_e32 v90, 16, v32
	v_pk_mul_f32 v[90:91], v[90:91], v[88:89]
	v_and_b32_e32 v93, 0xffff0000, v33
	v_lshlrev_b32_e32 v92, 16, v33
	v_and_b32_e32 v95, 0xffff0000, v21
	v_lshlrev_b32_e32 v94, 16, v21
	v_pk_fma_f32 v[90:91], v[92:93], v[94:95], v[90:91]
	v_and_b32_e32 v93, 0xffff0000, v34
	v_lshlrev_b32_e32 v92, 16, v34
	v_and_b32_e32 v97, 0xffff0000, v22
	v_lshlrev_b32_e32 v96, 16, v22
	v_pk_fma_f32 v[90:91], v[92:93], v[96:97], v[90:91]
	;; [unrolled: 5-line block ×3, first 2 shown]
	v_and_b32_e32 v92, 0xffff0000, v44
	v_add_f32_e32 v19, v90, v91
	v_lshlrev_b32_e32 v91, 16, v0
	v_lshlrev_b32_e32 v90, 16, v44
	;; [unrolled: 1-line block ×3, first 2 shown]
	v_mov_b32_e32 v62, v89
	v_pk_mul_f32 v[90:91], v[88:89], v[90:91] op_sel_hi:[0,1]
	v_pk_mul_f32 v[88:89], v[62:63], v[92:93] op_sel_hi:[0,1]
	v_and_b32_e32 v93, 0xffff0000, v84
	v_lshlrev_b32_e32 v92, 16, v84
	v_pk_fma_f32 v[90:91], v[92:93], v[94:95], v[90:91] op_sel_hi:[1,0,1]
	v_and_b32_e32 v93, 0xffff0000, v1
	v_lshlrev_b32_e32 v92, 16, v1
	v_mov_b32_e32 v62, v95
	v_pk_fma_f32 v[88:89], v[92:93], v[62:63], v[88:89] op_sel_hi:[1,0,1]
	v_and_b32_e32 v93, 0xffff0000, v85
	v_lshlrev_b32_e32 v92, 16, v85
	v_pk_fma_f32 v[90:91], v[92:93], v[96:97], v[90:91] op_sel_hi:[1,0,1]
	v_and_b32_e32 v93, 0xffff0000, v46
	v_lshlrev_b32_e32 v92, 16, v46
	v_mov_b32_e32 v62, v97
	v_pk_fma_f32 v[88:89], v[92:93], v[62:63], v[88:89] op_sel_hi:[1,0,1]
	;; [unrolled: 7-line block ×3, first 2 shown]
	v_add_f32_e32 v57, v19, v57
	v_pk_add_f32 v[88:89], v[90:91], v[88:89]
	v_add_u32_e32 v19, 0x600, v66
	v_pk_add_f32 v[64:65], v[88:89], v[64:65]
	v_cmp_gt_u32_e32 vcc, s6, v19
	s_and_saveexec_b64 s[20:21], vcc
	s_cbranch_execz .LBB28_6
; %bb.22:                               ;   in Loop: Header=BB28_10 Depth=2
	v_and_b32_e32 v89, 0xffff0000, v48
	v_lshlrev_b32_e32 v88, 16, v48
	v_and_b32_e32 v91, 0xffff0000, v52
	v_lshlrev_b32_e32 v90, 16, v52
	v_pk_mul_f32 v[90:91], v[90:91], v[88:89]
	v_and_b32_e32 v93, 0xffff0000, v53
	v_lshlrev_b32_e32 v92, 16, v53
	v_and_b32_e32 v95, 0xffff0000, v49
	v_lshlrev_b32_e32 v94, 16, v49
	v_pk_fma_f32 v[90:91], v[92:93], v[94:95], v[90:91]
	v_and_b32_e32 v93, 0xffff0000, v54
	v_lshlrev_b32_e32 v92, 16, v54
	v_and_b32_e32 v97, 0xffff0000, v50
	v_lshlrev_b32_e32 v96, 16, v50
	v_pk_fma_f32 v[90:91], v[92:93], v[96:97], v[90:91]
	;; [unrolled: 5-line block ×3, first 2 shown]
	v_and_b32_e32 v93, 0xffff0000, v80
	v_add_f32_e32 v19, v90, v91
	v_and_b32_e32 v91, 0xffff0000, v79
	v_lshlrev_b32_e32 v90, 16, v79
	v_lshlrev_b32_e32 v92, 16, v80
	v_mov_b32_e32 v62, v89
	v_pk_mul_f32 v[90:91], v[88:89], v[90:91] op_sel_hi:[0,1]
	v_pk_mul_f32 v[88:89], v[62:63], v[92:93] op_sel_hi:[0,1]
	v_and_b32_e32 v93, 0xffff0000, v81
	v_lshlrev_b32_e32 v92, 16, v81
	v_pk_fma_f32 v[90:91], v[92:93], v[94:95], v[90:91] op_sel_hi:[1,0,1]
	v_and_b32_e32 v93, 0xffff0000, v82
	v_lshlrev_b32_e32 v92, 16, v82
	v_mov_b32_e32 v62, v95
	v_pk_fma_f32 v[88:89], v[92:93], v[62:63], v[88:89] op_sel_hi:[1,0,1]
	v_and_b32_e32 v93, 0xffff0000, v76
	v_lshlrev_b32_e32 v92, 16, v76
	v_pk_fma_f32 v[90:91], v[92:93], v[96:97], v[90:91] op_sel_hi:[1,0,1]
	v_and_b32_e32 v93, 0xffff0000, v78
	v_lshlrev_b32_e32 v92, 16, v78
	v_mov_b32_e32 v62, v97
	v_pk_fma_f32 v[88:89], v[92:93], v[62:63], v[88:89] op_sel_hi:[1,0,1]
	;; [unrolled: 7-line block ×3, first 2 shown]
	v_add_f32_e32 v57, v19, v57
	v_pk_add_f32 v[88:89], v[90:91], v[88:89]
	s_nop 0
	v_pk_add_f32 v[64:65], v[88:89], v[64:65]
	s_branch .LBB28_6
.LBB28_23:                              ;   in Loop: Header=BB28_4 Depth=1
	v_lshrrev_b32_e32 v19, 16, v3
	v_lshrrev_b32_e32 v66, 16, v83
	;; [unrolled: 1-line block ×4, first 2 shown]
	s_branch .LBB28_25
.LBB28_24:                              ;   in Loop: Header=BB28_4 Depth=1
	v_lshrrev_b32_e32 v73, 16, v76
	v_lshrrev_b32_e32 v68, 16, v78
	;; [unrolled: 1-line block ×4, first 2 shown]
	v_mov_b32_e32 v65, v63
	v_mov_b32_e32 v64, v63
	;; [unrolled: 1-line block ×3, first 2 shown]
.LBB28_25:                              ;   in Loop: Header=BB28_4 Depth=1
	;;#ASMSTART
	s_nop 0
	v_add_f32 v57, v57, v57 row_shr:8 bound_ctrl:0 
	;;#ASMEND
	;;#ASMSTART
	s_nop 0
	v_add_f32 v65, v65, v65 row_shr:8 bound_ctrl:0 
	;;#ASMEND
	;;#ASMSTART
	s_nop 0
	v_add_f32 v64, v64, v64 row_shr:8 bound_ctrl:0 
	;;#ASMEND
	s_nop 0
	;;#ASMSTART
	s_nop 0
	v_add_f32 v57, v57, v57 row_shr:4 bound_ctrl:0 
	;;#ASMEND
	;;#ASMSTART
	s_nop 0
	v_add_f32 v65, v65, v65 row_shr:4 bound_ctrl:0 
	;;#ASMEND
	;;#ASMSTART
	s_nop 0
	v_add_f32 v64, v64, v64 row_shr:4 bound_ctrl:0 
	;;#ASMEND
	s_nop 0
	;; [unrolled: 13-line block ×3, first 2 shown]
	;;#ASMSTART
	s_nop 0
	v_add_f32 v57, v57, v57 wave_shr:1 bound_ctrl:0
	;;#ASMEND
	;;#ASMSTART
	s_nop 0
	v_add_f32 v65, v65, v65 wave_shr:1 bound_ctrl:0
	;;#ASMEND
	;; [unrolled: 4-line block ×3, first 2 shown]
	s_nop 0
	;;#ASMSTART
	s_nop 0
	v_add_f32 v57, v57, v57 row_bcast:15 bound_ctrl:0
	;;#ASMEND
	;;#ASMSTART
	s_nop 0
	v_add_f32 v65, v65, v65 row_bcast:15 bound_ctrl:0
	;;#ASMEND
	;; [unrolled: 4-line block ×3, first 2 shown]
	s_nop 0
	;;#ASMSTART
	s_nop 0
	v_add_f32 v57, v57, v57 row_bcast:31 bound_ctrl:0
	;;#ASMEND
	;;#ASMSTART
	s_nop 0
	v_add_f32 v65, v65, v65 row_bcast:31 bound_ctrl:0
	;;#ASMEND
	;; [unrolled: 4-line block ×3, first 2 shown]
	s_and_saveexec_b64 s[4:5], s[0:1]
	s_cbranch_execz .LBB28_3
; %bb.26:                               ;   in Loop: Header=BB28_4 Depth=1
	v_and_b32_e32 v62, 0x7f800000, v57
	v_cmp_ne_u32_e32 vcc, s28, v62
                                        ; implicit-def: $vgpr62
	s_and_saveexec_b64 s[16:17], vcc
	s_xor_b64 s[16:17], exec, s[16:17]
; %bb.27:                               ;   in Loop: Header=BB28_4 Depth=1
	v_bfe_u32 v62, v57, 16, 1
	v_add3_u32 v62, v57, v62, s29
                                        ; implicit-def: $vgpr57
; %bb.28:                               ;   in Loop: Header=BB28_4 Depth=1
	s_andn2_saveexec_b64 s[16:17], s[16:17]
; %bb.29:                               ;   in Loop: Header=BB28_4 Depth=1
	v_or_b32_e32 v62, 0x10000, v57
	v_cmp_eq_u32_sdwa vcc, v57, v63 src0_sel:WORD_0 src1_sel:DWORD
	s_nop 1
	v_cndmask_b32_e32 v62, v62, v57, vcc
; %bb.30:                               ;   in Loop: Header=BB28_4 Depth=1
	s_or_b64 exec, exec, s[16:17]
	v_mov_b32_e32 v57, v63
	s_waitcnt lgkmcnt(0)
	v_lshl_add_u64 v[88:89], v[56:57], 1, s[12:13]
	v_and_b32_e32 v57, 0x7f800000, v65
	v_cmp_ne_u32_e32 vcc, s28, v57
	global_store_short_d16_hi v[88:89], v62, off
                                        ; implicit-def: $vgpr57
	s_and_saveexec_b64 s[16:17], vcc
	s_xor_b64 s[16:17], exec, s[16:17]
; %bb.31:                               ;   in Loop: Header=BB28_4 Depth=1
	v_bfe_u32 v57, v65, 16, 1
	v_add3_u32 v57, v65, v57, s29
; %bb.32:                               ;   in Loop: Header=BB28_4 Depth=1
	s_andn2_saveexec_b64 s[16:17], s[16:17]
; %bb.33:                               ;   in Loop: Header=BB28_4 Depth=1
	v_or_b32_e32 v57, 0x10000, v65
	v_cmp_eq_u32_sdwa vcc, v65, v63 src0_sel:WORD_0 src1_sel:DWORD
	s_nop 1
	v_cndmask_b32_e32 v57, v57, v65, vcc
; %bb.34:                               ;   in Loop: Header=BB28_4 Depth=1
	s_or_b64 exec, exec, s[16:17]
	v_add_u32_e32 v62, s7, v56
	v_lshl_add_u64 v[88:89], v[62:63], 1, s[12:13]
	global_store_short_d16_hi v[88:89], v57, off
	v_and_b32_e32 v57, 0x7f800000, v64
	v_cmp_ne_u32_e32 vcc, s28, v57
                                        ; implicit-def: $vgpr57
	s_and_saveexec_b64 s[16:17], vcc
	s_xor_b64 s[16:17], exec, s[16:17]
; %bb.35:                               ;   in Loop: Header=BB28_4 Depth=1
	v_bfe_u32 v57, v64, 16, 1
	v_add3_u32 v57, v64, v57, s29
                                        ; implicit-def: $vgpr64
; %bb.36:                               ;   in Loop: Header=BB28_4 Depth=1
	s_andn2_saveexec_b64 s[16:17], s[16:17]
	s_cbranch_execz .LBB28_2
; %bb.37:                               ;   in Loop: Header=BB28_4 Depth=1
	v_or_b32_e32 v57, 0x10000, v64
	v_cmp_eq_u32_sdwa vcc, v64, v63 src0_sel:WORD_0 src1_sel:DWORD
	s_nop 1
	v_cndmask_b32_e32 v57, v57, v64, vcc
	s_branch .LBB28_2
.LBB28_38:
	s_endpgm
	.section	.rodata,"a",@progbits
	.p2align	6, 0x0
	.amdhsa_kernel _ZN5aiter32wv_splitk_small_fp16_bf16_kernelI14__hip_bfloat16Li64ELi1ELi1ELi8ELi4ELi3EEEviiPKT_S4_PS2_ii
		.amdhsa_group_segment_fixed_size 0
		.amdhsa_private_segment_fixed_size 0
		.amdhsa_kernarg_size 40
		.amdhsa_user_sgpr_count 2
		.amdhsa_user_sgpr_dispatch_ptr 0
		.amdhsa_user_sgpr_queue_ptr 0
		.amdhsa_user_sgpr_kernarg_segment_ptr 1
		.amdhsa_user_sgpr_dispatch_id 0
		.amdhsa_user_sgpr_kernarg_preload_length 0
		.amdhsa_user_sgpr_kernarg_preload_offset 0
		.amdhsa_user_sgpr_private_segment_size 0
		.amdhsa_uses_dynamic_stack 0
		.amdhsa_enable_private_segment 0
		.amdhsa_system_sgpr_workgroup_id_x 1
		.amdhsa_system_sgpr_workgroup_id_y 0
		.amdhsa_system_sgpr_workgroup_id_z 0
		.amdhsa_system_sgpr_workgroup_info 0
		.amdhsa_system_vgpr_workitem_id 1
		.amdhsa_next_free_vgpr 100
		.amdhsa_next_free_sgpr 31
		.amdhsa_accum_offset 100
		.amdhsa_reserve_vcc 1
		.amdhsa_float_round_mode_32 0
		.amdhsa_float_round_mode_16_64 0
		.amdhsa_float_denorm_mode_32 3
		.amdhsa_float_denorm_mode_16_64 3
		.amdhsa_dx10_clamp 1
		.amdhsa_ieee_mode 1
		.amdhsa_fp16_overflow 0
		.amdhsa_tg_split 0
		.amdhsa_exception_fp_ieee_invalid_op 0
		.amdhsa_exception_fp_denorm_src 0
		.amdhsa_exception_fp_ieee_div_zero 0
		.amdhsa_exception_fp_ieee_overflow 0
		.amdhsa_exception_fp_ieee_underflow 0
		.amdhsa_exception_fp_ieee_inexact 0
		.amdhsa_exception_int_div_zero 0
	.end_amdhsa_kernel
	.section	.text._ZN5aiter32wv_splitk_small_fp16_bf16_kernelI14__hip_bfloat16Li64ELi1ELi1ELi8ELi4ELi3EEEviiPKT_S4_PS2_ii,"axG",@progbits,_ZN5aiter32wv_splitk_small_fp16_bf16_kernelI14__hip_bfloat16Li64ELi1ELi1ELi8ELi4ELi3EEEviiPKT_S4_PS2_ii,comdat
.Lfunc_end28:
	.size	_ZN5aiter32wv_splitk_small_fp16_bf16_kernelI14__hip_bfloat16Li64ELi1ELi1ELi8ELi4ELi3EEEviiPKT_S4_PS2_ii, .Lfunc_end28-_ZN5aiter32wv_splitk_small_fp16_bf16_kernelI14__hip_bfloat16Li64ELi1ELi1ELi8ELi4ELi3EEEviiPKT_S4_PS2_ii
                                        ; -- End function
	.section	.AMDGPU.csdata,"",@progbits
; Kernel info:
; codeLenInByte = 3000
; NumSgprs: 37
; NumVgprs: 100
; NumAgprs: 0
; TotalNumVgprs: 100
; ScratchSize: 0
; MemoryBound: 0
; FloatMode: 240
; IeeeMode: 1
; LDSByteSize: 0 bytes/workgroup (compile time only)
; SGPRBlocks: 4
; VGPRBlocks: 12
; NumSGPRsForWavesPerEU: 37
; NumVGPRsForWavesPerEU: 100
; AccumOffset: 100
; Occupancy: 4
; WaveLimiterHint : 0
; COMPUTE_PGM_RSRC2:SCRATCH_EN: 0
; COMPUTE_PGM_RSRC2:USER_SGPR: 2
; COMPUTE_PGM_RSRC2:TRAP_HANDLER: 0
; COMPUTE_PGM_RSRC2:TGID_X_EN: 1
; COMPUTE_PGM_RSRC2:TGID_Y_EN: 0
; COMPUTE_PGM_RSRC2:TGID_Z_EN: 0
; COMPUTE_PGM_RSRC2:TIDIG_COMP_CNT: 1
; COMPUTE_PGM_RSRC3_GFX90A:ACCUM_OFFSET: 24
; COMPUTE_PGM_RSRC3_GFX90A:TG_SPLIT: 0
	.section	.text._ZN5aiter32wv_splitk_small_fp16_bf16_kernelI14__hip_bfloat16Li64ELi1ELi1ELi8ELi4ELi4EEEviiPKT_S4_PS2_ii,"axG",@progbits,_ZN5aiter32wv_splitk_small_fp16_bf16_kernelI14__hip_bfloat16Li64ELi1ELi1ELi8ELi4ELi4EEEviiPKT_S4_PS2_ii,comdat
	.protected	_ZN5aiter32wv_splitk_small_fp16_bf16_kernelI14__hip_bfloat16Li64ELi1ELi1ELi8ELi4ELi4EEEviiPKT_S4_PS2_ii ; -- Begin function _ZN5aiter32wv_splitk_small_fp16_bf16_kernelI14__hip_bfloat16Li64ELi1ELi1ELi8ELi4ELi4EEEviiPKT_S4_PS2_ii
	.globl	_ZN5aiter32wv_splitk_small_fp16_bf16_kernelI14__hip_bfloat16Li64ELi1ELi1ELi8ELi4ELi4EEEviiPKT_S4_PS2_ii
	.p2align	8
	.type	_ZN5aiter32wv_splitk_small_fp16_bf16_kernelI14__hip_bfloat16Li64ELi1ELi1ELi8ELi4ELi4EEEviiPKT_S4_PS2_ii,@function
_ZN5aiter32wv_splitk_small_fp16_bf16_kernelI14__hip_bfloat16Li64ELi1ELi1ELi8ELi4ELi4EEEviiPKT_S4_PS2_ii: ; @_ZN5aiter32wv_splitk_small_fp16_bf16_kernelI14__hip_bfloat16Li64ELi1ELi1ELi8ELi4ELi4EEEviiPKT_S4_PS2_ii
; %bb.0:
	s_load_dwordx2 s[4:5], s[0:1], 0x20
	s_load_dwordx2 s[6:7], s[0:1], 0x0
	v_bfe_u32 v1, v0, 10, 10
	s_waitcnt lgkmcnt(0)
	s_mul_i32 s2, s2, s4
	v_add_u32_e32 v64, s2, v1
	v_cmp_gt_u32_e32 vcc, s7, v64
	s_and_saveexec_b64 s[2:3], vcc
	s_cbranch_execz .LBB29_42
; %bb.1:
	s_load_dwordx4 s[8:11], s[0:1], 0x8
	s_load_dwordx2 s[12:13], s[0:1], 0x18
	s_cmp_lg_u32 s6, 0
	v_and_b32_e32 v0, 0x3ff, v0
	v_lshlrev_b32_e32 v66, 3, v0
	s_cselect_b64 s[2:3], -1, 0
	v_cmp_eq_u32_e64 s[0:1], 63, v0
	s_mul_i32 s24, s5, s4
	v_lshl_add_u32 v67, s6, 1, v66
	v_cndmask_b32_e64 v0, 0, 1, s[2:3]
	s_mul_i32 s25, s24, s6
	v_add_u32_e32 v90, s6, v66
	s_mov_b64 s[14:15], 0
	s_mov_b32 s26, 0x5040100
	s_mov_b32 s27, 0x7060302
	s_mov_b32 s28, 0x7f800000
	s_movk_i32 s29, 0x7fff
	v_cmp_ne_u32_e64 s[2:3], 1, v0
	v_mad_u64_u32 v[68:69], s[4:5], s6, v64, v[66:67]
	v_mad_u64_u32 v[70:71], s[4:5], s6, 3, v[66:67]
	v_mov_b32_e32 v73, 0
                                        ; implicit-def: $vgpr22
                                        ; implicit-def: $vgpr26
                                        ; implicit-def: $vgpr27
                                        ; implicit-def: $vgpr88
                                        ; implicit-def: $vgpr49
                                        ; implicit-def: $vgpr51
                                        ; implicit-def: $vgpr79
                                        ; implicit-def: $vgpr82
                                        ; implicit-def: $vgpr83
                                        ; implicit-def: $vgpr81
                                        ; implicit-def: $vgpr84
                                        ; implicit-def: $vgpr85
                                        ; implicit-def: $vgpr106
                                        ; implicit-def: $vgpr110
                                        ; implicit-def: $vgpr111
                                        ; implicit-def: $vgpr86
                                        ; implicit-def: $vgpr87
                                        ; implicit-def: $vgpr114
                                        ; implicit-def: $vgpr91
                                        ; implicit-def: $vgpr93
                                        ; implicit-def: $vgpr95
                                        ; implicit-def: $vgpr97
                                        ; implicit-def: $vgpr107
                                        ; implicit-def: $vgpr43
                                        ; implicit-def: $vgpr89
                                        ; implicit-def: $vgpr92
                                        ; implicit-def: $vgpr94
                                        ; implicit-def: $vgpr96
                                        ; implicit-def: $vgpr41
                                        ; implicit-def: $vgpr23
                                        ; implicit-def: $vgpr19
                                        ; implicit-def: $vgpr39
                                        ; implicit-def: $vgpr14
                                        ; implicit-def: $vgpr34
                                        ; implicit-def: $vgpr21
                                        ; implicit-def: $vgpr42
                                        ; implicit-def: $vgpr99
                                        ; implicit-def: $vgpr98
                                        ; implicit-def: $vgpr55
                                        ; implicit-def: $vgpr115
                                        ; implicit-def: $vgpr35
                                        ; implicit-def: $vgpr112
                                        ; implicit-def: $vgpr61
                                        ; implicit-def: $vgpr108
                                        ; implicit-def: $vgpr103
                                        ; implicit-def: $vgpr101
                                        ; implicit-def: $vgpr15
                                        ; implicit-def: $vgpr46
                                        ; implicit-def: $vgpr50
                                        ; implicit-def: $vgpr62
                                        ; implicit-def: $vgpr102
                                        ; implicit-def: $vgpr100
                                        ; implicit-def: $vgpr47
                                        ; implicit-def: $vgpr113
                                        ; implicit-def: $vgpr63
                                        ; implicit-def: $vgpr109
                                        ; implicit-def: $vgpr105
                                        ; implicit-def: $vgpr104
                                        ; implicit-def: $vgpr32
                                        ; implicit-def: $vgpr37
                                        ; implicit-def: $vgpr40
                                        ; implicit-def: $vgpr45
                                        ; implicit-def: $vgpr54
                                        ; implicit-def: $vgpr12
                                        ; implicit-def: $vgpr17
                                        ; implicit-def: $vgpr20
                                        ; implicit-def: $vgpr25
                                        ; implicit-def: $vgpr30
                                        ; implicit-def: $vgpr56_vgpr57_vgpr58_vgpr59
                                        ; implicit-def: $vgpr0_vgpr1_vgpr2_vgpr3
                                        ; implicit-def: $vgpr4_vgpr5_vgpr6_vgpr7
                                        ; implicit-def: $vgpr8_vgpr9_vgpr10_vgpr11
                                        ; implicit-def: $vgpr60
                                        ; implicit-def: $vgpr48
	s_branch .LBB29_4
.LBB29_2:                               ;   in Loop: Header=BB29_4 Depth=1
	s_or_b64 exec, exec, s[16:17]
	v_add_u32_e32 v72, s7, v72
	v_lshl_add_u64 v[74:75], v[72:73], 1, s[12:13]
	global_store_short_d16_hi v[74:75], v65, off
.LBB29_3:                               ;   in Loop: Header=BB29_4 Depth=1
	s_or_b64 exec, exec, s[4:5]
	v_add_u32_e32 v64, s24, v64
	v_cmp_le_u32_e32 vcc, s7, v64
	v_perm_b32 v93, v118, v93, s26
	v_perm_b32 v97, v117, v97, s26
	;; [unrolled: 1-line block ×8, first 2 shown]
	s_or_b64 s[14:15], vcc, s[14:15]
	v_add_u32_e32 v68, s25, v68
	s_andn2_b64 exec, exec, s[14:15]
	s_cbranch_execz .LBB29_42
.LBB29_4:                               ; =>This Loop Header: Depth=1
                                        ;     Child Loop BB29_10 Depth 2
	s_and_b64 vcc, exec, s[2:3]
	s_cbranch_vccnz .LBB29_24
; %bb.5:                                ;   in Loop: Header=BB29_4 Depth=1
	v_mov_b32_e32 v74, 0
	s_mov_b32 s30, 0
	v_mov_b32_e32 v75, v74
	v_mov_b32_e32 v76, v74
	;; [unrolled: 1-line block ×3, first 2 shown]
	s_branch .LBB29_10
.LBB29_6:                               ;   in Loop: Header=BB29_10 Depth=2
	s_or_b64 exec, exec, s[20:21]
.LBB29_7:                               ;   in Loop: Header=BB29_10 Depth=2
	s_or_b64 exec, exec, s[18:19]
.LBB29_8:                               ;   in Loop: Header=BB29_10 Depth=2
	s_or_b64 exec, exec, s[16:17]
.LBB29_9:                               ;   in Loop: Header=BB29_10 Depth=2
	s_or_b64 exec, exec, s[4:5]
	s_addk_i32 s30, 0x800
	s_cmp_ge_u32 s30, s6
	s_cbranch_scc1 .LBB29_23
.LBB29_10:                              ;   Parent Loop BB29_4 Depth=1
                                        ; =>  This Inner Loop Header: Depth=2
	v_add_u32_e32 v78, s30, v66
	v_cmp_gt_u32_e32 vcc, s6, v78
	v_add_u32_e32 v80, 0x200, v78
	s_and_saveexec_b64 s[16:17], vcc
	s_cbranch_execz .LBB29_18
; %bb.11:                               ;   in Loop: Header=BB29_10 Depth=2
	v_add_u32_e32 v72, s30, v68
	v_mov_b32_e32 v79, v73
	s_waitcnt lgkmcnt(0)
	v_lshl_add_u64 v[8:9], v[72:73], 1, s[8:9]
	v_lshl_add_u64 v[26:27], v[78:79], 1, s[10:11]
	v_add_u32_e32 v86, s30, v90
	v_mov_b32_e32 v87, v73
	v_add_u32_e32 v84, s30, v67
	v_mov_b32_e32 v85, v73
	global_load_dwordx4 v[8:11], v[8:9], off nt
	v_lshl_add_u64 v[36:37], v[86:87], 1, s[10:11]
	global_load_dwordx4 v[28:31], v[26:27], off
	global_load_dwordx4 v[16:19], v[36:37], off
	v_lshl_add_u64 v[26:27], v[84:85], 1, s[10:11]
	v_add_u32_e32 v82, s30, v70
	v_mov_b32_e32 v83, v73
	v_lshl_add_u64 v[114:115], v[82:83], 1, s[10:11]
	global_load_dwordx4 v[52:55], v[26:27], off
	global_load_dwordx4 v[36:39], v[114:115], off
	v_cmp_gt_u32_e64 s[4:5], s6, v80
	s_and_saveexec_b64 s[18:19], s[4:5]
	s_cbranch_execz .LBB29_17
; %bb.12:                               ;   in Loop: Header=BB29_10 Depth=2
	v_add_u32_e32 v4, 0x200, v72
	v_mov_b32_e32 v5, v73
	v_mov_b32_e32 v81, v73
	v_lshl_add_u64 v[4:5], v[4:5], 1, s[8:9]
	v_lshl_add_u64 v[32:33], v[80:81], 1, s[10:11]
	v_add_u32_e32 v12, 0x200, v86
	v_mov_b32_e32 v13, v73
	global_load_dwordx4 v[4:7], v[4:5], off nt
	v_lshl_add_u64 v[34:35], v[12:13], 1, s[10:11]
	global_load_dwordx4 v[24:27], v[32:33], off
	global_load_dwordx4 v[12:15], v[34:35], off
	v_add_u32_e32 v32, 0x200, v84
	v_mov_b32_e32 v33, v73
	v_lshl_add_u64 v[110:111], v[32:33], 1, s[10:11]
	v_add_u32_e32 v32, 0x200, v82
	v_lshl_add_u64 v[112:113], v[32:33], 1, s[10:11]
	global_load_dwordx4 v[44:47], v[110:111], off
	global_load_dwordx4 v[32:35], v[112:113], off
	v_add_u32_e32 v22, 0x400, v78
	v_cmp_gt_u32_e64 s[4:5], s6, v22
	s_and_saveexec_b64 s[20:21], s[4:5]
	s_cbranch_execz .LBB29_16
; %bb.13:                               ;   in Loop: Header=BB29_10 Depth=2
	v_add_u32_e32 v0, 0x400, v72
	v_mov_b32_e32 v1, v73
	v_mov_b32_e32 v23, v73
	v_lshl_add_u64 v[0:1], v[0:1], 1, s[8:9]
	v_lshl_add_u64 v[40:41], v[22:23], 1, s[10:11]
	v_add_u32_e32 v20, 0x400, v86
	v_mov_b32_e32 v21, v73
	global_load_dwordx4 v[0:3], v[0:1], off nt
	v_lshl_add_u64 v[42:43], v[20:21], 1, s[10:11]
	global_load_dwordx4 v[20:23], v[40:41], off
	global_load_dwordx4 v[48:51], v[42:43], off
	v_add_u32_e32 v40, 0x400, v84
	v_mov_b32_e32 v41, v73
	v_lshl_add_u64 v[106:107], v[40:41], 1, s[10:11]
	v_add_u32_e32 v40, 0x400, v82
	v_lshl_add_u64 v[108:109], v[40:41], 1, s[10:11]
	global_load_dwordx4 v[40:43], v[106:107], off
	global_load_dwordx4 v[60:63], v[108:109], off
	v_add_u32_e32 v88, 0x600, v78
	v_cmp_gt_u32_e64 s[4:5], s6, v88
	s_and_saveexec_b64 s[22:23], s[4:5]
	s_cbranch_execz .LBB29_15
; %bb.14:                               ;   in Loop: Header=BB29_10 Depth=2
	v_add_u32_e32 v72, 0x600, v72
	v_lshl_add_u64 v[92:93], v[72:73], 1, s[8:9]
	v_mov_b32_e32 v89, v73
	v_add_u32_e32 v72, 0x600, v86
	v_lshl_add_u64 v[56:57], v[88:89], 1, s[10:11]
	v_lshl_add_u64 v[58:59], v[72:73], 1, s[10:11]
	v_add_u32_e32 v72, 0x600, v84
	global_load_dwordx4 v[106:109], v[56:57], off
	global_load_dwordx4 v[110:113], v[58:59], off
	v_lshl_add_u64 v[86:87], v[72:73], 1, s[10:11]
	v_add_u32_e32 v72, 0x600, v82
	v_lshl_add_u64 v[88:89], v[72:73], 1, s[10:11]
	global_load_dwordx4 v[82:85], v[86:87], off
	global_load_dwordx4 v[114:117], v[88:89], off
	global_load_dwordx4 v[56:59], v[92:93], off nt
	s_waitcnt vmcnt(3)
	v_perm_b32 v89, v109, v113, s26
	v_perm_b32 v92, v108, v112, s26
	;; [unrolled: 1-line block ×7, first 2 shown]
	s_waitcnt vmcnt(1)
	v_perm_b32 v91, v85, v117, s26
	v_perm_b32 v93, v84, v116, s26
	;; [unrolled: 1-line block ×9, first 2 shown]
.LBB29_15:                              ;   in Loop: Header=BB29_10 Depth=2
	s_or_b64 exec, exec, s[22:23]
	s_waitcnt vmcnt(3)
	v_lshrrev_b32_e32 v106, 16, v20
	s_waitcnt vmcnt(1)
	v_lshrrev_b32_e32 v88, 16, v40
	s_waitcnt vmcnt(0)
	v_perm_b32 v107, v43, v63, s26
	v_perm_b32 v109, v42, v62, s26
	;; [unrolled: 1-line block ×12, first 2 shown]
.LBB29_16:                              ;   in Loop: Header=BB29_10 Depth=2
	s_or_b64 exec, exec, s[20:21]
	s_waitcnt vmcnt(3)
	v_lshrrev_b32_e32 v111, 16, v24
	v_lshrrev_b32_e32 v110, 16, v25
	s_waitcnt vmcnt(2)
	v_lshrrev_b32_e32 v81, 16, v12
	s_waitcnt vmcnt(1)
	v_lshrrev_b32_e32 v51, 16, v44
	v_lshrrev_b32_e32 v49, 16, v45
	s_waitcnt vmcnt(0)
	v_lshrrev_b32_e32 v22, 16, v32
	v_perm_b32 v113, v47, v35, s26
	v_perm_b32 v112, v46, v34, s26
	;; [unrolled: 1-line block ×8, first 2 shown]
.LBB29_17:                              ;   in Loop: Header=BB29_10 Depth=2
	s_or_b64 exec, exec, s[18:19]
	s_waitcnt vmcnt(3)
	v_lshrrev_b32_e32 v114, 16, v28
	v_lshrrev_b32_e32 v87, 16, v29
	;; [unrolled: 1-line block ×3, first 2 shown]
	s_waitcnt vmcnt(2)
	v_lshrrev_b32_e32 v85, 16, v16
	v_lshrrev_b32_e32 v84, 16, v17
	s_waitcnt vmcnt(1)
	v_lshrrev_b32_e32 v83, 16, v52
	v_lshrrev_b32_e32 v82, 16, v53
	;; [unrolled: 1-line block ×3, first 2 shown]
	s_waitcnt vmcnt(0)
	v_lshrrev_b32_e32 v27, 16, v36
	v_lshrrev_b32_e32 v26, 16, v37
	v_perm_b32 v115, v55, v39, s26
	v_perm_b32 v55, v55, v39, s27
	;; [unrolled: 1-line block ×4, first 2 shown]
.LBB29_18:                              ;   in Loop: Header=BB29_10 Depth=2
	s_or_b64 exec, exec, s[16:17]
	s_and_saveexec_b64 s[4:5], vcc
	s_cbranch_execz .LBB29_9
; %bb.19:                               ;   in Loop: Header=BB29_10 Depth=2
	v_lshlrev_b32_e32 v72, 16, v8
	v_lshlrev_b32_e32 v119, 16, v28
	;; [unrolled: 1-line block ×3, first 2 shown]
	v_and_b32_e32 v116, 0xffff0000, v8
	v_lshlrev_b32_e32 v121, 16, v114
	v_lshlrev_b32_e32 v122, 16, v9
	;; [unrolled: 1-line block ×3, first 2 shown]
	v_pk_mul_f32 v[118:119], v[72:73], v[118:119] op_sel_hi:[0,1]
	v_lshlrev_b32_e32 v135, 16, v29
	v_lshlrev_b32_e32 v134, 16, v17
	v_and_b32_e32 v124, 0xffff0000, v9
	v_pk_mul_f32 v[120:121], v[116:117], v[120:121] op_sel_hi:[0,1]
	v_pk_fma_f32 v[118:119], v[134:135], v[122:123], v[118:119] op_sel_hi:[1,0,1]
	v_lshlrev_b32_e32 v135, 16, v87
	v_lshlrev_b32_e32 v134, 16, v84
	;; [unrolled: 1-line block ×3, first 2 shown]
	v_pk_fma_f32 v[120:121], v[134:135], v[124:125], v[120:121] op_sel_hi:[1,0,1]
	v_lshlrev_b32_e32 v135, 16, v30
	v_lshlrev_b32_e32 v134, 16, v18
	v_and_b32_e32 v128, 0xffff0000, v10
	v_pk_fma_f32 v[118:119], v[134:135], v[126:127], v[118:119] op_sel_hi:[1,0,1]
	v_and_b32_e32 v134, 0xffff0000, v18
	v_lshlrev_b32_e32 v135, 16, v86
	v_lshlrev_b32_e32 v130, 16, v11
	v_pk_fma_f32 v[120:121], v[134:135], v[128:129], v[120:121] op_sel_hi:[1,0,1]
	v_and_b32_e32 v135, 0xffff0000, v39
	v_lshlrev_b32_e32 v134, 16, v39
	v_and_b32_e32 v132, 0xffff0000, v11
	v_pk_fma_f32 v[118:119], v[134:135], v[130:131], v[118:119] op_sel_hi:[1,0,1]
	v_and_b32_e32 v135, 0xffff0000, v19
	v_lshlrev_b32_e32 v134, 16, v19
	v_pk_fma_f32 v[120:121], v[134:135], v[132:133], v[120:121] op_sel_hi:[1,0,1]
	v_cmp_gt_u32_e32 vcc, s6, v80
	v_pk_add_f32 v[118:119], v[118:119], v[120:121]
	v_lshlrev_b32_e32 v121, 16, v83
	v_pk_add_f32 v[76:77], v[118:119], v[76:77]
	v_lshlrev_b32_e32 v119, 16, v52
	v_lshlrev_b32_e32 v118, 16, v36
	;; [unrolled: 1-line block ×3, first 2 shown]
	v_pk_mul_f32 v[118:119], v[72:73], v[118:119] op_sel_hi:[0,1]
	v_pk_mul_f32 v[116:117], v[116:117], v[120:121] op_sel_hi:[0,1]
	v_lshlrev_b32_e32 v121, 16, v53
	v_lshlrev_b32_e32 v120, 16, v37
	v_pk_fma_f32 v[118:119], v[120:121], v[122:123], v[118:119] op_sel_hi:[1,0,1]
	v_lshlrev_b32_e32 v121, 16, v82
	v_lshlrev_b32_e32 v120, 16, v26
	v_pk_fma_f32 v[116:117], v[120:121], v[124:125], v[116:117] op_sel_hi:[1,0,1]
	;; [unrolled: 3-line block ×3, first 2 shown]
	v_and_b32_e32 v120, 0xffff0000, v38
	v_lshlrev_b32_e32 v121, 16, v79
	v_pk_fma_f32 v[116:117], v[120:121], v[128:129], v[116:117] op_sel_hi:[1,0,1]
	v_and_b32_e32 v121, 0xffff0000, v115
	v_lshlrev_b32_e32 v120, 16, v115
	v_pk_fma_f32 v[118:119], v[120:121], v[130:131], v[118:119] op_sel_hi:[1,0,1]
	;; [unrolled: 3-line block ×3, first 2 shown]
	s_nop 0
	v_pk_add_f32 v[116:117], v[118:119], v[116:117]
	s_nop 0
	v_pk_add_f32 v[74:75], v[116:117], v[74:75]
	s_and_saveexec_b64 s[16:17], vcc
	s_cbranch_execz .LBB29_8
; %bb.20:                               ;   in Loop: Header=BB29_10 Depth=2
	v_lshlrev_b32_e32 v72, 16, v4
	v_lshlrev_b32_e32 v129, 16, v24
	;; [unrolled: 1-line block ×3, first 2 shown]
	v_and_b32_e32 v80, 0xffff0000, v4
	v_lshlrev_b32_e32 v116, 16, v5
	v_pk_mul_f32 v[128:129], v[72:73], v[128:129] op_sel_hi:[0,1]
	v_lshlrev_b32_e32 v131, 16, v111
	v_lshlrev_b32_e32 v130, 16, v81
	;; [unrolled: 1-line block ×4, first 2 shown]
	v_and_b32_e32 v118, 0xffff0000, v5
	v_pk_mul_f32 v[130:131], v[80:81], v[130:131] op_sel_hi:[0,1]
	v_pk_fma_f32 v[128:129], v[132:133], v[116:117], v[128:129] op_sel_hi:[1,0,1]
	v_and_b32_e32 v132, 0xffff0000, v13
	v_lshlrev_b32_e32 v133, 16, v110
	v_lshlrev_b32_e32 v120, 16, v6
	v_pk_fma_f32 v[130:131], v[132:133], v[118:119], v[130:131] op_sel_hi:[1,0,1]
	v_and_b32_e32 v133, 0xffff0000, v34
	v_lshlrev_b32_e32 v132, 16, v34
	v_and_b32_e32 v122, 0xffff0000, v6
	v_pk_fma_f32 v[128:129], v[132:133], v[120:121], v[128:129] op_sel_hi:[1,0,1]
	v_and_b32_e32 v133, 0xffff0000, v14
	v_lshlrev_b32_e32 v132, 16, v14
	v_lshlrev_b32_e32 v124, 16, v7
	v_pk_fma_f32 v[130:131], v[132:133], v[122:123], v[130:131] op_sel_hi:[1,0,1]
	v_and_b32_e32 v133, 0xffff0000, v46
	v_lshlrev_b32_e32 v132, 16, v46
	v_and_b32_e32 v126, 0xffff0000, v7
	v_pk_fma_f32 v[128:129], v[132:133], v[124:125], v[128:129] op_sel_hi:[1,0,1]
	v_and_b32_e32 v133, 0xffff0000, v15
	v_lshlrev_b32_e32 v132, 16, v15
	v_pk_fma_f32 v[130:131], v[132:133], v[126:127], v[130:131] op_sel_hi:[1,0,1]
	v_lshlrev_b32_e32 v133, 16, v45
	v_pk_add_f32 v[128:129], v[128:129], v[130:131]
	v_lshlrev_b32_e32 v131, 16, v51
	v_pk_add_f32 v[76:77], v[128:129], v[76:77]
	v_lshlrev_b32_e32 v129, 16, v44
	v_lshlrev_b32_e32 v128, 16, v32
	v_pk_mul_f32 v[128:129], v[72:73], v[128:129] op_sel_hi:[0,1]
	v_lshlrev_b32_e32 v130, 16, v22
	v_lshlrev_b32_e32 v132, 16, v33
	v_pk_mul_f32 v[130:131], v[80:81], v[130:131] op_sel_hi:[0,1]
	v_pk_fma_f32 v[116:117], v[132:133], v[116:117], v[128:129] op_sel_hi:[1,0,1]
	v_and_b32_e32 v128, 0xffff0000, v33
	v_lshlrev_b32_e32 v129, 16, v49
	v_pk_fma_f32 v[118:119], v[128:129], v[118:119], v[130:131] op_sel_hi:[1,0,1]
	v_and_b32_e32 v129, 0xffff0000, v112
	v_lshlrev_b32_e32 v128, 16, v112
	;; [unrolled: 3-line block ×5, first 2 shown]
	v_pk_fma_f32 v[118:119], v[120:121], v[126:127], v[118:119] op_sel_hi:[1,0,1]
	v_add_u32_e32 v31, 0x400, v78
	v_pk_add_f32 v[116:117], v[116:117], v[118:119]
	v_cmp_gt_u32_e32 vcc, s6, v31
	v_pk_add_f32 v[74:75], v[116:117], v[74:75]
	s_and_saveexec_b64 s[18:19], vcc
	s_cbranch_execz .LBB29_7
; %bb.21:                               ;   in Loop: Header=BB29_10 Depth=2
	v_lshlrev_b32_e32 v72, 16, v0
	v_lshlrev_b32_e32 v129, 16, v20
	;; [unrolled: 1-line block ×3, first 2 shown]
	v_and_b32_e32 v80, 0xffff0000, v0
	v_lshlrev_b32_e32 v116, 16, v1
	v_pk_mul_f32 v[128:129], v[72:73], v[128:129] op_sel_hi:[0,1]
	v_and_b32_e32 v130, 0xffff0000, v48
	v_lshlrev_b32_e32 v131, 16, v106
	v_and_b32_e32 v133, 0xffff0000, v42
	v_lshlrev_b32_e32 v132, 16, v42
	v_and_b32_e32 v118, 0xffff0000, v1
	v_pk_mul_f32 v[130:131], v[80:81], v[130:131] op_sel_hi:[0,1]
	v_pk_fma_f32 v[128:129], v[132:133], v[116:117], v[128:129] op_sel_hi:[1,0,1]
	v_and_b32_e32 v133, 0xffff0000, v21
	v_lshlrev_b32_e32 v132, 16, v21
	v_lshlrev_b32_e32 v120, 16, v2
	v_pk_fma_f32 v[130:131], v[132:133], v[118:119], v[130:131] op_sel_hi:[1,0,1]
	v_and_b32_e32 v133, 0xffff0000, v62
	v_lshlrev_b32_e32 v132, 16, v62
	v_and_b32_e32 v122, 0xffff0000, v2
	v_pk_fma_f32 v[128:129], v[132:133], v[120:121], v[128:129] op_sel_hi:[1,0,1]
	v_and_b32_e32 v133, 0xffff0000, v50
	v_lshlrev_b32_e32 v132, 16, v50
	v_lshlrev_b32_e32 v124, 16, v3
	v_pk_fma_f32 v[130:131], v[132:133], v[122:123], v[130:131] op_sel_hi:[1,0,1]
	v_and_b32_e32 v133, 0xffff0000, v41
	v_lshlrev_b32_e32 v132, 16, v41
	v_and_b32_e32 v126, 0xffff0000, v3
	v_pk_fma_f32 v[128:129], v[132:133], v[124:125], v[128:129] op_sel_hi:[1,0,1]
	v_and_b32_e32 v133, 0xffff0000, v23
	v_lshlrev_b32_e32 v132, 16, v23
	v_pk_fma_f32 v[130:131], v[132:133], v[126:127], v[130:131] op_sel_hi:[1,0,1]
	v_and_b32_e32 v133, 0xffff0000, v108
	v_pk_add_f32 v[128:129], v[128:129], v[130:131]
	v_and_b32_e32 v130, 0xffff0000, v60
	v_pk_add_f32 v[76:77], v[128:129], v[76:77]
	v_lshlrev_b32_e32 v129, 16, v40
	v_lshlrev_b32_e32 v128, 16, v60
	v_pk_mul_f32 v[128:129], v[72:73], v[128:129] op_sel_hi:[0,1]
	v_lshlrev_b32_e32 v131, 16, v88
	v_lshlrev_b32_e32 v132, 16, v108
	v_pk_mul_f32 v[130:131], v[80:81], v[130:131] op_sel_hi:[0,1]
	v_pk_fma_f32 v[116:117], v[132:133], v[116:117], v[128:129] op_sel_hi:[1,0,1]
	v_and_b32_e32 v129, 0xffff0000, v61
	v_lshlrev_b32_e32 v128, 16, v61
	v_pk_fma_f32 v[118:119], v[128:129], v[118:119], v[130:131] op_sel_hi:[1,0,1]
	v_and_b32_e32 v129, 0xffff0000, v109
	v_lshlrev_b32_e32 v128, 16, v109
	v_pk_fma_f32 v[116:117], v[128:129], v[120:121], v[116:117] op_sel_hi:[1,0,1]
	v_and_b32_e32 v121, 0xffff0000, v63
	v_lshlrev_b32_e32 v120, 16, v63
	v_pk_fma_f32 v[118:119], v[120:121], v[122:123], v[118:119] op_sel_hi:[1,0,1]
	v_and_b32_e32 v121, 0xffff0000, v107
	v_lshlrev_b32_e32 v120, 16, v107
	v_pk_fma_f32 v[116:117], v[120:121], v[124:125], v[116:117] op_sel_hi:[1,0,1]
	v_and_b32_e32 v121, 0xffff0000, v43
	v_lshlrev_b32_e32 v120, 16, v43
	v_pk_fma_f32 v[118:119], v[120:121], v[126:127], v[118:119] op_sel_hi:[1,0,1]
	v_add_u32_e32 v31, 0x600, v78
	v_pk_add_f32 v[116:117], v[116:117], v[118:119]
	v_cmp_gt_u32_e32 vcc, s6, v31
	v_pk_add_f32 v[74:75], v[116:117], v[74:75]
	s_and_saveexec_b64 s[20:21], vcc
	s_cbranch_execz .LBB29_6
; %bb.22:                               ;   in Loop: Header=BB29_10 Depth=2
	v_lshlrev_b32_e32 v72, 16, v56
	v_and_b32_e32 v127, 0xffff0000, v98
	v_lshlrev_b32_e32 v126, 16, v98
	v_and_b32_e32 v78, 0xffff0000, v56
	v_lshlrev_b32_e32 v80, 16, v57
	v_pk_mul_f32 v[126:127], v[72:73], v[126:127] op_sel_hi:[0,1]
	v_and_b32_e32 v129, 0xffff0000, v99
	v_lshlrev_b32_e32 v128, 16, v99
	v_and_b32_e32 v131, 0xffff0000, v100
	v_lshlrev_b32_e32 v130, 16, v100
	v_and_b32_e32 v116, 0xffff0000, v57
	v_pk_mul_f32 v[128:129], v[78:79], v[128:129] op_sel_hi:[0,1]
	v_pk_fma_f32 v[126:127], v[130:131], v[80:81], v[126:127] op_sel_hi:[1,0,1]
	v_and_b32_e32 v131, 0xffff0000, v102
	v_lshlrev_b32_e32 v130, 16, v102
	v_lshlrev_b32_e32 v118, 16, v58
	v_pk_fma_f32 v[128:129], v[130:131], v[116:117], v[128:129] op_sel_hi:[1,0,1]
	v_and_b32_e32 v131, 0xffff0000, v92
	v_lshlrev_b32_e32 v130, 16, v92
	v_and_b32_e32 v120, 0xffff0000, v58
	v_pk_fma_f32 v[126:127], v[130:131], v[118:119], v[126:127] op_sel_hi:[1,0,1]
	v_and_b32_e32 v131, 0xffff0000, v96
	v_lshlrev_b32_e32 v130, 16, v96
	v_lshlrev_b32_e32 v122, 16, v59
	v_pk_fma_f32 v[128:129], v[130:131], v[120:121], v[128:129] op_sel_hi:[1,0,1]
	v_and_b32_e32 v131, 0xffff0000, v89
	v_lshlrev_b32_e32 v130, 16, v89
	v_and_b32_e32 v124, 0xffff0000, v59
	v_pk_fma_f32 v[126:127], v[130:131], v[122:123], v[126:127] op_sel_hi:[1,0,1]
	v_and_b32_e32 v131, 0xffff0000, v94
	v_lshlrev_b32_e32 v130, 16, v94
	v_pk_fma_f32 v[128:129], v[130:131], v[124:125], v[128:129] op_sel_hi:[1,0,1]
	v_and_b32_e32 v131, 0xffff0000, v104
	v_pk_add_f32 v[126:127], v[126:127], v[128:129]
	v_and_b32_e32 v129, 0xffff0000, v103
	v_pk_add_f32 v[76:77], v[126:127], v[76:77]
	v_and_b32_e32 v127, 0xffff0000, v101
	v_lshlrev_b32_e32 v126, 16, v101
	v_pk_mul_f32 v[126:127], v[72:73], v[126:127] op_sel_hi:[0,1]
	v_lshlrev_b32_e32 v128, 16, v103
	v_lshlrev_b32_e32 v130, 16, v104
	v_pk_mul_f32 v[128:129], v[78:79], v[128:129] op_sel_hi:[0,1]
	v_pk_fma_f32 v[126:127], v[130:131], v[80:81], v[126:127] op_sel_hi:[1,0,1]
	v_and_b32_e32 v131, 0xffff0000, v105
	v_lshlrev_b32_e32 v130, 16, v105
	v_pk_fma_f32 v[116:117], v[130:131], v[116:117], v[128:129] op_sel_hi:[1,0,1]
	v_and_b32_e32 v129, 0xffff0000, v93
	v_lshlrev_b32_e32 v128, 16, v93
	;; [unrolled: 3-line block ×5, first 2 shown]
	v_pk_fma_f32 v[116:117], v[120:121], v[124:125], v[116:117] op_sel_hi:[1,0,1]
	s_nop 0
	v_pk_add_f32 v[116:117], v[118:119], v[116:117]
	s_nop 0
	v_pk_add_f32 v[74:75], v[116:117], v[74:75]
	s_branch .LBB29_6
.LBB29_23:                              ;   in Loop: Header=BB29_4 Depth=1
	v_lshrrev_b32_e32 v31, 16, v23
	v_lshrrev_b32_e32 v69, 16, v41
	;; [unrolled: 1-line block ×8, first 2 shown]
	s_branch .LBB29_25
.LBB29_24:                              ;   in Loop: Header=BB29_4 Depth=1
	v_lshrrev_b32_e32 v118, 16, v93
	v_lshrrev_b32_e32 v117, 16, v97
	;; [unrolled: 1-line block ×8, first 2 shown]
	v_mov_b32_e32 v77, v73
	v_mov_b32_e32 v76, v73
	;; [unrolled: 1-line block ×4, first 2 shown]
.LBB29_25:                              ;   in Loop: Header=BB29_4 Depth=1
	;;#ASMSTART
	s_nop 0
	v_add_f32 v77, v77, v77 row_shr:8 bound_ctrl:0 
	;;#ASMEND
	;;#ASMSTART
	s_nop 0
	v_add_f32 v76, v76, v76 row_shr:8 bound_ctrl:0 
	;;#ASMEND
	;;#ASMSTART
	s_nop 0
	v_add_f32 v75, v75, v75 row_shr:8 bound_ctrl:0 
	;;#ASMEND
	;;#ASMSTART
	s_nop 0
	v_add_f32 v74, v74, v74 row_shr:8 bound_ctrl:0 
	;;#ASMEND
	s_nop 0
	;;#ASMSTART
	s_nop 0
	v_add_f32 v77, v77, v77 row_shr:4 bound_ctrl:0 
	;;#ASMEND
	;;#ASMSTART
	s_nop 0
	v_add_f32 v76, v76, v76 row_shr:4 bound_ctrl:0 
	;;#ASMEND
	;;#ASMSTART
	s_nop 0
	v_add_f32 v75, v75, v75 row_shr:4 bound_ctrl:0 
	;;#ASMEND
	;;#ASMSTART
	s_nop 0
	v_add_f32 v74, v74, v74 row_shr:4 bound_ctrl:0 
	;;#ASMEND
	s_nop 0
	;; [unrolled: 17-line block ×3, first 2 shown]
	;;#ASMSTART
	s_nop 0
	v_add_f32 v77, v77, v77 wave_shr:1 bound_ctrl:0
	;;#ASMEND
	;;#ASMSTART
	s_nop 0
	v_add_f32 v76, v76, v76 wave_shr:1 bound_ctrl:0
	;;#ASMEND
	;; [unrolled: 4-line block ×4, first 2 shown]
	s_nop 0
	;;#ASMSTART
	s_nop 0
	v_add_f32 v77, v77, v77 row_bcast:15 bound_ctrl:0
	;;#ASMEND
	;;#ASMSTART
	s_nop 0
	v_add_f32 v76, v76, v76 row_bcast:15 bound_ctrl:0
	;;#ASMEND
	;; [unrolled: 4-line block ×4, first 2 shown]
	s_nop 0
	;;#ASMSTART
	s_nop 0
	v_add_f32 v77, v77, v77 row_bcast:31 bound_ctrl:0
	;;#ASMEND
	;;#ASMSTART
	s_nop 0
	v_add_f32 v76, v76, v76 row_bcast:31 bound_ctrl:0
	;;#ASMEND
	;; [unrolled: 4-line block ×4, first 2 shown]
	s_and_saveexec_b64 s[4:5], s[0:1]
	s_cbranch_execz .LBB29_3
; %bb.26:                               ;   in Loop: Header=BB29_4 Depth=1
	v_and_b32_e32 v65, 0x7f800000, v77
	v_cmp_ne_u32_e32 vcc, s28, v65
                                        ; implicit-def: $vgpr72
	s_and_saveexec_b64 s[16:17], vcc
	s_xor_b64 s[16:17], exec, s[16:17]
; %bb.27:                               ;   in Loop: Header=BB29_4 Depth=1
	v_bfe_u32 v65, v77, 16, 1
	v_add3_u32 v72, v77, v65, s29
; %bb.28:                               ;   in Loop: Header=BB29_4 Depth=1
	s_andn2_saveexec_b64 s[16:17], s[16:17]
; %bb.29:                               ;   in Loop: Header=BB29_4 Depth=1
	v_or_b32_e32 v65, 0x10000, v77
	v_cmp_eq_u32_sdwa vcc, v77, v73 src0_sel:WORD_0 src1_sel:DWORD
	s_nop 1
	v_cndmask_b32_e32 v72, v65, v77, vcc
; %bb.30:                               ;   in Loop: Header=BB29_4 Depth=1
	s_or_b64 exec, exec, s[16:17]
	v_mov_b32_e32 v65, v73
	s_waitcnt lgkmcnt(0)
	v_lshl_add_u64 v[120:121], v[64:65], 1, s[12:13]
	v_and_b32_e32 v65, 0x7f800000, v76
	v_cmp_ne_u32_e32 vcc, s28, v65
	global_store_short_d16_hi v[120:121], v72, off
                                        ; implicit-def: $vgpr65
	s_and_saveexec_b64 s[16:17], vcc
	s_xor_b64 s[16:17], exec, s[16:17]
; %bb.31:                               ;   in Loop: Header=BB29_4 Depth=1
	v_bfe_u32 v65, v76, 16, 1
	v_add3_u32 v65, v76, v65, s29
                                        ; implicit-def: $vgpr76
; %bb.32:                               ;   in Loop: Header=BB29_4 Depth=1
	s_andn2_saveexec_b64 s[16:17], s[16:17]
; %bb.33:                               ;   in Loop: Header=BB29_4 Depth=1
	v_or_b32_e32 v65, 0x10000, v76
	v_cmp_eq_u32_sdwa vcc, v76, v73 src0_sel:WORD_0 src1_sel:DWORD
	s_nop 1
	v_cndmask_b32_e32 v65, v65, v76, vcc
; %bb.34:                               ;   in Loop: Header=BB29_4 Depth=1
	s_or_b64 exec, exec, s[16:17]
	v_add_u32_e32 v72, s7, v64
	v_lshl_add_u64 v[76:77], v[72:73], 1, s[12:13]
	global_store_short_d16_hi v[76:77], v65, off
	v_and_b32_e32 v65, 0x7f800000, v75
	v_cmp_ne_u32_e32 vcc, s28, v65
                                        ; implicit-def: $vgpr65
	s_and_saveexec_b64 s[16:17], vcc
	s_xor_b64 s[16:17], exec, s[16:17]
; %bb.35:                               ;   in Loop: Header=BB29_4 Depth=1
	v_bfe_u32 v65, v75, 16, 1
	v_add3_u32 v65, v75, v65, s29
; %bb.36:                               ;   in Loop: Header=BB29_4 Depth=1
	s_andn2_saveexec_b64 s[16:17], s[16:17]
; %bb.37:                               ;   in Loop: Header=BB29_4 Depth=1
	v_or_b32_e32 v65, 0x10000, v75
	v_cmp_eq_u32_sdwa vcc, v75, v73 src0_sel:WORD_0 src1_sel:DWORD
	s_nop 1
	v_cndmask_b32_e32 v65, v65, v75, vcc
; %bb.38:                               ;   in Loop: Header=BB29_4 Depth=1
	s_or_b64 exec, exec, s[16:17]
	v_add_u32_e32 v72, s7, v72
	v_lshl_add_u64 v[76:77], v[72:73], 1, s[12:13]
	global_store_short_d16_hi v[76:77], v65, off
	v_and_b32_e32 v65, 0x7f800000, v74
	v_cmp_ne_u32_e32 vcc, s28, v65
                                        ; implicit-def: $vgpr65
	s_and_saveexec_b64 s[16:17], vcc
	s_xor_b64 s[16:17], exec, s[16:17]
; %bb.39:                               ;   in Loop: Header=BB29_4 Depth=1
	v_bfe_u32 v65, v74, 16, 1
	v_add3_u32 v65, v74, v65, s29
                                        ; implicit-def: $vgpr74
; %bb.40:                               ;   in Loop: Header=BB29_4 Depth=1
	s_andn2_saveexec_b64 s[16:17], s[16:17]
	s_cbranch_execz .LBB29_2
; %bb.41:                               ;   in Loop: Header=BB29_4 Depth=1
	v_or_b32_e32 v65, 0x10000, v74
	v_cmp_eq_u32_sdwa vcc, v74, v73 src0_sel:WORD_0 src1_sel:DWORD
	s_nop 1
	v_cndmask_b32_e32 v65, v65, v74, vcc
	s_branch .LBB29_2
.LBB29_42:
	s_endpgm
	.section	.rodata,"a",@progbits
	.p2align	6, 0x0
	.amdhsa_kernel _ZN5aiter32wv_splitk_small_fp16_bf16_kernelI14__hip_bfloat16Li64ELi1ELi1ELi8ELi4ELi4EEEviiPKT_S4_PS2_ii
		.amdhsa_group_segment_fixed_size 0
		.amdhsa_private_segment_fixed_size 0
		.amdhsa_kernarg_size 40
		.amdhsa_user_sgpr_count 2
		.amdhsa_user_sgpr_dispatch_ptr 0
		.amdhsa_user_sgpr_queue_ptr 0
		.amdhsa_user_sgpr_kernarg_segment_ptr 1
		.amdhsa_user_sgpr_dispatch_id 0
		.amdhsa_user_sgpr_kernarg_preload_length 0
		.amdhsa_user_sgpr_kernarg_preload_offset 0
		.amdhsa_user_sgpr_private_segment_size 0
		.amdhsa_uses_dynamic_stack 0
		.amdhsa_enable_private_segment 0
		.amdhsa_system_sgpr_workgroup_id_x 1
		.amdhsa_system_sgpr_workgroup_id_y 0
		.amdhsa_system_sgpr_workgroup_id_z 0
		.amdhsa_system_sgpr_workgroup_info 0
		.amdhsa_system_vgpr_workitem_id 1
		.amdhsa_next_free_vgpr 136
		.amdhsa_next_free_sgpr 31
		.amdhsa_accum_offset 136
		.amdhsa_reserve_vcc 1
		.amdhsa_float_round_mode_32 0
		.amdhsa_float_round_mode_16_64 0
		.amdhsa_float_denorm_mode_32 3
		.amdhsa_float_denorm_mode_16_64 3
		.amdhsa_dx10_clamp 1
		.amdhsa_ieee_mode 1
		.amdhsa_fp16_overflow 0
		.amdhsa_tg_split 0
		.amdhsa_exception_fp_ieee_invalid_op 0
		.amdhsa_exception_fp_denorm_src 0
		.amdhsa_exception_fp_ieee_div_zero 0
		.amdhsa_exception_fp_ieee_overflow 0
		.amdhsa_exception_fp_ieee_underflow 0
		.amdhsa_exception_fp_ieee_inexact 0
		.amdhsa_exception_int_div_zero 0
	.end_amdhsa_kernel
	.section	.text._ZN5aiter32wv_splitk_small_fp16_bf16_kernelI14__hip_bfloat16Li64ELi1ELi1ELi8ELi4ELi4EEEviiPKT_S4_PS2_ii,"axG",@progbits,_ZN5aiter32wv_splitk_small_fp16_bf16_kernelI14__hip_bfloat16Li64ELi1ELi1ELi8ELi4ELi4EEEviiPKT_S4_PS2_ii,comdat
.Lfunc_end29:
	.size	_ZN5aiter32wv_splitk_small_fp16_bf16_kernelI14__hip_bfloat16Li64ELi1ELi1ELi8ELi4ELi4EEEviiPKT_S4_PS2_ii, .Lfunc_end29-_ZN5aiter32wv_splitk_small_fp16_bf16_kernelI14__hip_bfloat16Li64ELi1ELi1ELi8ELi4ELi4EEEviiPKT_S4_PS2_ii
                                        ; -- End function
	.section	.AMDGPU.csdata,"",@progbits
; Kernel info:
; codeLenInByte = 3844
; NumSgprs: 37
; NumVgprs: 136
; NumAgprs: 0
; TotalNumVgprs: 136
; ScratchSize: 0
; MemoryBound: 0
; FloatMode: 240
; IeeeMode: 1
; LDSByteSize: 0 bytes/workgroup (compile time only)
; SGPRBlocks: 4
; VGPRBlocks: 16
; NumSGPRsForWavesPerEU: 37
; NumVGPRsForWavesPerEU: 136
; AccumOffset: 136
; Occupancy: 3
; WaveLimiterHint : 0
; COMPUTE_PGM_RSRC2:SCRATCH_EN: 0
; COMPUTE_PGM_RSRC2:USER_SGPR: 2
; COMPUTE_PGM_RSRC2:TRAP_HANDLER: 0
; COMPUTE_PGM_RSRC2:TGID_X_EN: 1
; COMPUTE_PGM_RSRC2:TGID_Y_EN: 0
; COMPUTE_PGM_RSRC2:TGID_Z_EN: 0
; COMPUTE_PGM_RSRC2:TIDIG_COMP_CNT: 1
; COMPUTE_PGM_RSRC3_GFX90A:ACCUM_OFFSET: 33
; COMPUTE_PGM_RSRC3_GFX90A:TG_SPLIT: 0
	.section	.text._ZN5aiter32wv_splitk_small_fp16_bf16_kernelI14__hip_bfloat16Li64ELi1ELi1ELi8ELi4ELi5EEEviiPKT_S4_PS2_ii,"axG",@progbits,_ZN5aiter32wv_splitk_small_fp16_bf16_kernelI14__hip_bfloat16Li64ELi1ELi1ELi8ELi4ELi5EEEviiPKT_S4_PS2_ii,comdat
	.protected	_ZN5aiter32wv_splitk_small_fp16_bf16_kernelI14__hip_bfloat16Li64ELi1ELi1ELi8ELi4ELi5EEEviiPKT_S4_PS2_ii ; -- Begin function _ZN5aiter32wv_splitk_small_fp16_bf16_kernelI14__hip_bfloat16Li64ELi1ELi1ELi8ELi4ELi5EEEviiPKT_S4_PS2_ii
	.globl	_ZN5aiter32wv_splitk_small_fp16_bf16_kernelI14__hip_bfloat16Li64ELi1ELi1ELi8ELi4ELi5EEEviiPKT_S4_PS2_ii
	.p2align	8
	.type	_ZN5aiter32wv_splitk_small_fp16_bf16_kernelI14__hip_bfloat16Li64ELi1ELi1ELi8ELi4ELi5EEEviiPKT_S4_PS2_ii,@function
_ZN5aiter32wv_splitk_small_fp16_bf16_kernelI14__hip_bfloat16Li64ELi1ELi1ELi8ELi4ELi5EEEviiPKT_S4_PS2_ii: ; @_ZN5aiter32wv_splitk_small_fp16_bf16_kernelI14__hip_bfloat16Li64ELi1ELi1ELi8ELi4ELi5EEEviiPKT_S4_PS2_ii
; %bb.0:
	s_load_dwordx2 s[4:5], s[0:1], 0x20
	s_load_dwordx2 s[6:7], s[0:1], 0x0
	v_bfe_u32 v1, v0, 10, 10
	s_waitcnt lgkmcnt(0)
	s_mul_i32 s2, s2, s4
	v_add_u32_e32 v80, s2, v1
	v_cmp_gt_u32_e32 vcc, s7, v80
	s_and_saveexec_b64 s[2:3], vcc
	s_cbranch_execz .LBB30_46
; %bb.1:
	s_load_dwordx4 s[8:11], s[0:1], 0x8
	s_load_dwordx2 s[12:13], s[0:1], 0x18
	s_cmp_lg_u32 s6, 0
	v_and_b32_e32 v0, 0x3ff, v0
	v_lshlrev_b32_e32 v82, 3, v0
	s_cselect_b64 s[2:3], -1, 0
	v_cmp_eq_u32_e64 s[0:1], 63, v0
	s_mul_i32 s24, s5, s4
	v_lshl_add_u32 v83, s6, 1, v82
	v_cndmask_b32_e64 v0, 0, 1, s[2:3]
	s_mul_i32 s25, s24, s6
	v_lshl_add_u32 v108, s6, 2, v82
	v_add_u32_e32 v109, s6, v82
	s_mov_b64 s[14:15], 0
	s_mov_b32 s26, 0x5040100
	s_mov_b32 s27, 0x7060302
	;; [unrolled: 1-line block ×3, first 2 shown]
	s_movk_i32 s29, 0x7fff
	v_cmp_ne_u32_e64 s[2:3], 1, v0
	v_mad_u64_u32 v[84:85], s[4:5], s6, v80, v[82:83]
	v_mad_u64_u32 v[86:87], s[4:5], s6, 3, v[82:83]
	v_mov_b32_e32 v89, 0
                                        ; implicit-def: $vgpr14
                                        ; implicit-def: $vgpr46
                                        ; implicit-def: $vgpr47
                                        ; implicit-def: $vgpr106
                                        ; implicit-def: $vgpr65
                                        ; implicit-def: $vgpr67
                                        ; implicit-def: $vgpr95
                                        ; implicit-def: $vgpr98
                                        ; implicit-def: $vgpr99
                                        ; implicit-def: $vgpr97
                                        ; implicit-def: $vgpr100
                                        ; implicit-def: $vgpr101
                                        ; implicit-def: $vgpr125
                                        ; implicit-def: $vgpr129
                                        ; implicit-def: $vgpr130
                                        ; implicit-def: $vgpr102
                                        ; implicit-def: $vgpr103
                                        ; implicit-def: $vgpr104
                                        ; implicit-def: $vgpr110
                                        ; implicit-def: $vgpr112
                                        ; implicit-def: $vgpr114
                                        ; implicit-def: $vgpr116
                                        ; implicit-def: $vgpr126
                                        ; implicit-def: $vgpr27
                                        ; implicit-def: $vgpr107
                                        ; implicit-def: $vgpr111
                                        ; implicit-def: $vgpr113
                                        ; implicit-def: $vgpr115
                                        ; implicit-def: $vgpr25
                                        ; implicit-def: $vgpr15
                                        ; implicit-def: $vgpr23
                                        ; implicit-def: $vgpr39
                                        ; implicit-def: $vgpr18
                                        ; implicit-def: $vgpr30
                                        ; implicit-def: $vgpr13
                                        ; implicit-def: $vgpr26
                                        ; implicit-def: $vgpr118
                                        ; implicit-def: $vgpr117
                                        ; implicit-def: $vgpr63
                                        ; implicit-def: $vgpr105
                                        ; implicit-def: $vgpr31
                                        ; implicit-def: $vgpr131
                                        ; implicit-def: $vgpr73
                                        ; implicit-def: $vgpr127
                                        ; implicit-def: $vgpr122
                                        ; implicit-def: $vgpr120
                                        ; implicit-def: $vgpr19
                                        ; implicit-def: $vgpr58
                                        ; implicit-def: $vgpr66
                                        ; implicit-def: $vgpr74
                                        ; implicit-def: $vgpr121
                                        ; implicit-def: $vgpr119
                                        ; implicit-def: $vgpr59
                                        ; implicit-def: $vgpr132
                                        ; implicit-def: $vgpr75
                                        ; implicit-def: $vgpr128
                                        ; implicit-def: $vgpr124
                                        ; implicit-def: $vgpr123
                                        ; implicit-def: $vgpr56
                                        ; implicit-def: $vgpr61
                                        ; implicit-def: $vgpr24
                                        ; implicit-def: $vgpr29
                                        ; implicit-def: $vgpr38
                                        ; implicit-def: $vgpr44
                                        ; implicit-def: $vgpr53
                                        ; implicit-def: $vgpr12
                                        ; implicit-def: $vgpr17
                                        ; implicit-def: $vgpr22
                                        ; implicit-def: $vgpr68_vgpr69_vgpr70_vgpr71
                                        ; implicit-def: $vgpr0_vgpr1_vgpr2_vgpr3
                                        ; implicit-def: $vgpr4_vgpr5_vgpr6_vgpr7
                                        ; implicit-def: $vgpr8_vgpr9_vgpr10_vgpr11
                                        ; implicit-def: $vgpr72
                                        ; implicit-def: $vgpr64
                                        ; implicit-def: $vgpr79
                                        ; implicit-def: $vgpr35
                                        ; implicit-def: $vgpr43
                                        ; implicit-def: $vgpr51
	s_branch .LBB30_4
.LBB30_2:                               ;   in Loop: Header=BB30_4 Depth=1
	s_or_b64 exec, exec, s[16:17]
	v_add_u32_e32 v88, s7, v88
	v_lshl_add_u64 v[90:91], v[88:89], 1, s[12:13]
	global_store_short_d16_hi v[90:91], v81, off
.LBB30_3:                               ;   in Loop: Header=BB30_4 Depth=1
	s_or_b64 exec, exec, s[4:5]
	v_add_u32_e32 v80, s24, v80
	v_cmp_le_u32_e32 vcc, s7, v80
	v_perm_b32 v112, v135, v112, s26
	v_perm_b32 v116, v134, v116, s26
	;; [unrolled: 1-line block ×8, first 2 shown]
	s_or_b64 s[14:15], vcc, s[14:15]
	v_add_u32_e32 v84, s25, v84
	s_andn2_b64 exec, exec, s[14:15]
	s_cbranch_execz .LBB30_46
.LBB30_4:                               ; =>This Loop Header: Depth=1
                                        ;     Child Loop BB30_10 Depth 2
	s_and_b64 vcc, exec, s[2:3]
	s_mov_b32 s30, 0
	s_cbranch_vccnz .LBB30_24
; %bb.5:                                ;   in Loop: Header=BB30_4 Depth=1
	v_mov_b32_e32 v81, 0
	v_mov_b32_e32 v90, 0
	v_mov_b32_e32 v91, v81
	v_mov_b32_e32 v92, 0
	v_mov_b32_e32 v93, v81
	s_branch .LBB30_10
.LBB30_6:                               ;   in Loop: Header=BB30_10 Depth=2
	s_or_b64 exec, exec, s[20:21]
.LBB30_7:                               ;   in Loop: Header=BB30_10 Depth=2
	s_or_b64 exec, exec, s[18:19]
.LBB30_8:                               ;   in Loop: Header=BB30_10 Depth=2
	s_or_b64 exec, exec, s[16:17]
.LBB30_9:                               ;   in Loop: Header=BB30_10 Depth=2
	s_or_b64 exec, exec, s[4:5]
	s_addk_i32 s30, 0x800
	s_cmp_ge_u32 s30, s6
	s_cbranch_scc1 .LBB30_23
.LBB30_10:                              ;   Parent Loop BB30_4 Depth=1
                                        ; =>  This Inner Loop Header: Depth=2
	v_add_u32_e32 v94, s30, v82
	v_cmp_gt_u32_e32 vcc, s6, v94
	v_add_u32_e32 v96, 0x200, v94
	s_and_saveexec_b64 s[16:17], vcc
	s_cbranch_execz .LBB30_18
; %bb.11:                               ;   in Loop: Header=BB30_10 Depth=2
	v_add_u32_e32 v88, s30, v84
	v_mov_b32_e32 v95, v89
	v_add_u32_e32 v98, s30, v109
	v_mov_b32_e32 v99, v89
	;; [unrolled: 2-line block ×3, first 2 shown]
	s_waitcnt lgkmcnt(0)
	v_lshl_add_u64 v[8:9], v[88:89], 1, s[8:9]
	v_lshl_add_u64 v[36:37], v[94:95], 1, s[10:11]
	;; [unrolled: 1-line block ×4, first 2 shown]
	v_add_u32_e32 v100, s30, v86
	v_mov_b32_e32 v101, v89
	v_add_u32_e32 v104, s30, v108
	v_mov_b32_e32 v105, v89
	global_load_dwordx4 v[8:11], v[8:9], off nt
	s_nop 0
	global_load_dwordx4 v[48:51], v[36:37], off
	global_load_dwordx4 v[20:23], v[38:39], off
	v_lshl_add_u64 v[60:61], v[100:101], 1, s[10:11]
	global_load_dwordx4 v[52:55], v[46:47], off
	global_load_dwordx4 v[36:39], v[60:61], off
	v_lshl_add_u64 v[46:47], v[104:105], 1, s[10:11]
	global_load_dwordx4 v[60:63], v[46:47], off
	v_cmp_gt_u32_e64 s[4:5], s6, v96
	s_and_saveexec_b64 s[18:19], s[4:5]
	s_cbranch_execz .LBB30_17
; %bb.12:                               ;   in Loop: Header=BB30_10 Depth=2
	v_add_u32_e32 v4, 0x200, v88
	v_mov_b32_e32 v5, v89
	v_mov_b32_e32 v97, v89
	v_lshl_add_u64 v[4:5], v[4:5], 1, s[8:9]
	v_lshl_add_u64 v[28:29], v[96:97], 1, s[10:11]
	v_add_u32_e32 v16, 0x200, v98
	v_mov_b32_e32 v17, v89
	global_load_dwordx4 v[4:7], v[4:5], off nt
	v_lshl_add_u64 v[30:31], v[16:17], 1, s[10:11]
	global_load_dwordx4 v[40:43], v[28:29], off
	global_load_dwordx4 v[16:19], v[30:31], off
	v_add_u32_e32 v28, 0x200, v102
	v_mov_b32_e32 v29, v89
	v_lshl_add_u64 v[56:57], v[28:29], 1, s[10:11]
	v_add_u32_e32 v28, 0x200, v100
	v_lshl_add_u64 v[58:59], v[28:29], 1, s[10:11]
	global_load_dwordx4 v[44:47], v[56:57], off
	global_load_dwordx4 v[28:31], v[58:59], off
	v_add_u32_e32 v56, 0x200, v104
	v_mov_b32_e32 v57, v89
	v_lshl_add_u64 v[56:57], v[56:57], 1, s[10:11]
	global_load_dwordx4 v[56:59], v[56:57], off
	v_add_u32_e32 v14, 0x400, v94
	v_cmp_gt_u32_e64 s[4:5], s6, v14
	s_and_saveexec_b64 s[20:21], s[4:5]
	s_cbranch_execz .LBB30_16
; %bb.13:                               ;   in Loop: Header=BB30_10 Depth=2
	v_add_u32_e32 v0, 0x400, v88
	v_mov_b32_e32 v1, v89
	v_mov_b32_e32 v15, v89
	v_lshl_add_u64 v[0:1], v[0:1], 1, s[8:9]
	v_lshl_add_u64 v[24:25], v[14:15], 1, s[10:11]
	v_add_u32_e32 v12, 0x400, v98
	v_mov_b32_e32 v13, v89
	global_load_dwordx4 v[0:3], v[0:1], off nt
	v_lshl_add_u64 v[26:27], v[12:13], 1, s[10:11]
	global_load_dwordx4 v[32:35], v[24:25], off
	global_load_dwordx4 v[12:15], v[26:27], off
	v_add_u32_e32 v24, 0x400, v102
	v_mov_b32_e32 v25, v89
	v_lshl_add_u64 v[72:73], v[24:25], 1, s[10:11]
	v_add_u32_e32 v24, 0x400, v100
	v_lshl_add_u64 v[74:75], v[24:25], 1, s[10:11]
	global_load_dwordx4 v[64:67], v[72:73], off
	global_load_dwordx4 v[24:27], v[74:75], off
	v_add_u32_e32 v72, 0x400, v104
	v_mov_b32_e32 v73, v89
	v_lshl_add_u64 v[72:73], v[72:73], 1, s[10:11]
	global_load_dwordx4 v[72:75], v[72:73], off
	v_add_u32_e32 v106, 0x600, v94
	v_cmp_gt_u32_e64 s[4:5], s6, v106
	s_and_saveexec_b64 s[22:23], s[4:5]
	s_cbranch_execz .LBB30_15
; %bb.14:                               ;   in Loop: Header=BB30_10 Depth=2
	v_add_u32_e32 v88, 0x600, v88
	v_lshl_add_u64 v[110:111], v[88:89], 1, s[8:9]
	v_add_u32_e32 v88, 0x600, v98
	v_lshl_add_u64 v[68:69], v[88:89], 1, s[10:11]
	v_add_u32_e32 v88, 0x600, v102
	global_load_dwordx4 v[126:129], v[68:69], off
	v_lshl_add_u64 v[68:69], v[88:89], 1, s[10:11]
	v_add_u32_e32 v88, 0x600, v100
	global_load_dwordx4 v[130:133], v[68:69], off
	v_lshl_add_u64 v[68:69], v[88:89], 1, s[10:11]
	v_add_u32_e32 v88, 0x600, v104
	global_load_dwordx4 v[98:101], v[68:69], off
	v_lshl_add_u64 v[68:69], v[88:89], 1, s[10:11]
	v_mov_b32_e32 v107, v89
	global_load_dwordx4 v[102:105], v[68:69], off
	v_lshl_add_u64 v[106:107], v[106:107], 1, s[10:11]
	global_load_dwordx4 v[76:79], v[106:107], off
	global_load_dwordx4 v[68:71], v[110:111], off nt
	s_waitcnt vmcnt(4)
	v_perm_b32 v107, v129, v133, s26
	v_perm_b32 v111, v128, v132, s26
	;; [unrolled: 1-line block ×7, first 2 shown]
	s_waitcnt vmcnt(2)
	v_perm_b32 v110, v101, v105, s26
	v_perm_b32 v112, v100, v104, s26
	;; [unrolled: 1-line block ×9, first 2 shown]
.LBB30_15:                              ;   in Loop: Header=BB30_10 Depth=2
	s_or_b64 exec, exec, s[22:23]
	s_waitcnt vmcnt(3)
	v_lshrrev_b32_e32 v125, 16, v12
	s_waitcnt vmcnt(1)
	v_lshrrev_b32_e32 v106, 16, v24
	s_waitcnt vmcnt(0)
	v_perm_b32 v126, v27, v75, s26
	v_perm_b32 v128, v26, v74, s26
	;; [unrolled: 1-line block ×12, first 2 shown]
.LBB30_16:                              ;   in Loop: Header=BB30_10 Depth=2
	s_or_b64 exec, exec, s[20:21]
	s_waitcnt vmcnt(3)
	v_lshrrev_b32_e32 v130, 16, v16
	v_lshrrev_b32_e32 v129, 16, v17
	s_waitcnt vmcnt(2)
	v_lshrrev_b32_e32 v97, 16, v44
	s_waitcnt vmcnt(1)
	v_lshrrev_b32_e32 v67, 16, v28
	v_lshrrev_b32_e32 v65, 16, v29
	s_waitcnt vmcnt(0)
	v_lshrrev_b32_e32 v14, 16, v56
	v_perm_b32 v132, v31, v59, s26
	v_perm_b32 v131, v30, v58, s26
	v_perm_b32 v59, v31, v59, s27
	v_perm_b32 v31, v30, v58, s27
	v_perm_b32 v58, v19, v47, s26
	v_perm_b32 v30, v18, v46, s26
	v_perm_b32 v19, v19, v47, s27
	v_perm_b32 v18, v18, v46, s27
.LBB30_17:                              ;   in Loop: Header=BB30_10 Depth=2
	s_or_b64 exec, exec, s[18:19]
	s_waitcnt vmcnt(3)
	v_lshrrev_b32_e32 v104, 16, v20
	v_lshrrev_b32_e32 v103, 16, v21
	;; [unrolled: 1-line block ×3, first 2 shown]
	s_waitcnt vmcnt(2)
	v_lshrrev_b32_e32 v101, 16, v52
	v_lshrrev_b32_e32 v100, 16, v53
	s_waitcnt vmcnt(1)
	v_lshrrev_b32_e32 v99, 16, v36
	v_lshrrev_b32_e32 v98, 16, v37
	v_lshrrev_b32_e32 v95, 16, v38
	s_waitcnt vmcnt(0)
	v_lshrrev_b32_e32 v47, 16, v60
	v_lshrrev_b32_e32 v46, 16, v61
	v_perm_b32 v105, v39, v63, s26
	v_perm_b32 v63, v39, v63, s27
	v_perm_b32 v39, v23, v55, s26
	v_perm_b32 v23, v23, v55, s27
.LBB30_18:                              ;   in Loop: Header=BB30_10 Depth=2
	s_or_b64 exec, exec, s[16:17]
	s_and_saveexec_b64 s[4:5], vcc
	s_cbranch_execz .LBB30_9
; %bb.19:                               ;   in Loop: Header=BB30_10 Depth=2
	v_and_b32_e32 v135, 0xffff0000, v8
	v_lshlrev_b32_e32 v134, 16, v8
	v_and_b32_e32 v137, 0xffff0000, v48
	v_lshlrev_b32_e32 v136, 16, v48
	v_pk_mul_f32 v[136:137], v[136:137], v[134:135]
	v_and_b32_e32 v139, 0xffff0000, v49
	v_lshlrev_b32_e32 v138, 16, v49
	v_and_b32_e32 v141, 0xffff0000, v9
	v_lshlrev_b32_e32 v140, 16, v9
	v_pk_fma_f32 v[136:137], v[138:139], v[140:141], v[136:137]
	v_and_b32_e32 v139, 0xffff0000, v50
	v_lshlrev_b32_e32 v138, 16, v50
	v_and_b32_e32 v143, 0xffff0000, v10
	v_lshlrev_b32_e32 v142, 16, v10
	v_pk_fma_f32 v[136:137], v[138:139], v[142:143], v[136:137]
	;; [unrolled: 5-line block ×3, first 2 shown]
	v_lshlrev_b32_e32 v139, 16, v104
	v_add_f32_e32 v55, v136, v137
	v_lshlrev_b32_e32 v137, 16, v20
	v_lshlrev_b32_e32 v136, 16, v52
	;; [unrolled: 1-line block ×3, first 2 shown]
	v_pk_mul_f32 v[136:137], v[134:135], v[136:137] op_sel_hi:[0,1]
	v_mov_b32_e32 v88, v135
	v_lshlrev_b32_e32 v147, 16, v21
	v_lshlrev_b32_e32 v146, 16, v53
	v_pk_mul_f32 v[138:139], v[88:89], v[138:139] op_sel_hi:[0,1]
	v_pk_fma_f32 v[136:137], v[146:147], v[140:141], v[136:137] op_sel_hi:[1,0,1]
	v_lshlrev_b32_e32 v147, 16, v103
	v_lshlrev_b32_e32 v146, 16, v100
	v_mov_b32_e32 v148, v141
	v_pk_fma_f32 v[138:139], v[146:147], v[148:149], v[138:139] op_sel_hi:[1,0,1]
	v_lshlrev_b32_e32 v147, 16, v22
	v_lshlrev_b32_e32 v146, 16, v54
	v_pk_fma_f32 v[136:137], v[146:147], v[142:143], v[136:137] op_sel_hi:[1,0,1]
	v_and_b32_e32 v146, 0xffff0000, v54
	v_lshlrev_b32_e32 v147, 16, v102
	v_mov_b32_e32 v150, v143
	v_pk_fma_f32 v[138:139], v[146:147], v[150:151], v[138:139] op_sel_hi:[1,0,1]
	v_and_b32_e32 v147, 0xffff0000, v39
	v_lshlrev_b32_e32 v146, 16, v39
	v_pk_fma_f32 v[136:137], v[146:147], v[144:145], v[136:137] op_sel_hi:[1,0,1]
	v_and_b32_e32 v147, 0xffff0000, v23
	v_lshlrev_b32_e32 v146, 16, v23
	v_mov_b32_e32 v152, v145
	v_pk_fma_f32 v[138:139], v[146:147], v[152:153], v[138:139] op_sel_hi:[1,0,1]
	v_add_f32_e32 v81, v55, v81
	v_pk_add_f32 v[136:137], v[136:137], v[138:139]
	v_lshlrev_b32_e32 v139, 16, v99
	v_pk_add_f32 v[92:93], v[136:137], v[92:93]
	v_lshlrev_b32_e32 v137, 16, v36
	v_lshlrev_b32_e32 v136, 16, v60
	;; [unrolled: 1-line block ×3, first 2 shown]
	v_pk_mul_f32 v[134:135], v[134:135], v[136:137] op_sel_hi:[0,1]
	v_pk_mul_f32 v[136:137], v[88:89], v[138:139] op_sel_hi:[0,1]
	v_lshlrev_b32_e32 v139, 16, v37
	v_lshlrev_b32_e32 v138, 16, v61
	v_pk_fma_f32 v[134:135], v[138:139], v[140:141], v[134:135] op_sel_hi:[1,0,1]
	v_lshlrev_b32_e32 v139, 16, v98
	v_lshlrev_b32_e32 v138, 16, v46
	v_pk_fma_f32 v[136:137], v[138:139], v[148:149], v[136:137] op_sel_hi:[1,0,1]
	;; [unrolled: 3-line block ×3, first 2 shown]
	v_and_b32_e32 v138, 0xffff0000, v62
	v_lshlrev_b32_e32 v139, 16, v95
	v_pk_fma_f32 v[136:137], v[138:139], v[150:151], v[136:137] op_sel_hi:[1,0,1]
	v_and_b32_e32 v139, 0xffff0000, v105
	v_lshlrev_b32_e32 v138, 16, v105
	v_pk_fma_f32 v[134:135], v[138:139], v[144:145], v[134:135] op_sel_hi:[1,0,1]
	v_and_b32_e32 v139, 0xffff0000, v63
	v_lshlrev_b32_e32 v138, 16, v63
	v_pk_fma_f32 v[136:137], v[138:139], v[152:153], v[136:137] op_sel_hi:[1,0,1]
	v_cmp_gt_u32_e32 vcc, s6, v96
	v_pk_add_f32 v[134:135], v[134:135], v[136:137]
	s_nop 0
	v_pk_add_f32 v[90:91], v[134:135], v[90:91]
	s_and_saveexec_b64 s[16:17], vcc
	s_cbranch_execz .LBB30_8
; %bb.20:                               ;   in Loop: Header=BB30_10 Depth=2
	v_and_b32_e32 v135, 0xffff0000, v4
	v_lshlrev_b32_e32 v134, 16, v4
	v_and_b32_e32 v137, 0xffff0000, v40
	v_lshlrev_b32_e32 v136, 16, v40
	v_pk_mul_f32 v[136:137], v[136:137], v[134:135]
	v_and_b32_e32 v139, 0xffff0000, v41
	v_lshlrev_b32_e32 v138, 16, v41
	v_and_b32_e32 v141, 0xffff0000, v5
	v_lshlrev_b32_e32 v140, 16, v5
	v_pk_fma_f32 v[136:137], v[138:139], v[140:141], v[136:137]
	v_and_b32_e32 v139, 0xffff0000, v42
	v_lshlrev_b32_e32 v138, 16, v42
	v_and_b32_e32 v143, 0xffff0000, v6
	v_lshlrev_b32_e32 v142, 16, v6
	v_pk_fma_f32 v[136:137], v[138:139], v[142:143], v[136:137]
	v_and_b32_e32 v139, 0xffff0000, v43
	v_lshlrev_b32_e32 v138, 16, v43
	v_and_b32_e32 v145, 0xffff0000, v7
	v_lshlrev_b32_e32 v144, 16, v7
	v_pk_fma_f32 v[136:137], v[138:139], v[144:145], v[136:137]
	v_lshlrev_b32_e32 v139, 16, v130
	v_add_f32_e32 v55, v136, v137
	v_lshlrev_b32_e32 v137, 16, v16
	v_lshlrev_b32_e32 v136, 16, v44
	v_pk_mul_f32 v[136:137], v[134:135], v[136:137] op_sel_hi:[0,1]
	v_lshlrev_b32_e32 v138, 16, v97
	v_mov_b32_e32 v88, v135
	v_lshlrev_b32_e32 v147, 16, v17
	v_lshlrev_b32_e32 v146, 16, v45
	v_pk_mul_f32 v[138:139], v[88:89], v[138:139] op_sel_hi:[0,1]
	v_pk_fma_f32 v[136:137], v[146:147], v[140:141], v[136:137] op_sel_hi:[1,0,1]
	v_and_b32_e32 v146, 0xffff0000, v45
	v_lshlrev_b32_e32 v147, 16, v129
	v_mov_b32_e32 v96, v141
	v_pk_fma_f32 v[138:139], v[146:147], v[96:97], v[138:139] op_sel_hi:[1,0,1]
	v_and_b32_e32 v147, 0xffff0000, v30
	v_lshlrev_b32_e32 v146, 16, v30
	v_pk_fma_f32 v[136:137], v[146:147], v[142:143], v[136:137] op_sel_hi:[1,0,1]
	v_and_b32_e32 v147, 0xffff0000, v18
	v_lshlrev_b32_e32 v146, 16, v18
	v_mov_b32_e32 v148, v143
	v_pk_fma_f32 v[138:139], v[146:147], v[148:149], v[138:139] op_sel_hi:[1,0,1]
	v_and_b32_e32 v147, 0xffff0000, v58
	v_lshlrev_b32_e32 v146, 16, v58
	v_pk_fma_f32 v[136:137], v[146:147], v[144:145], v[136:137] op_sel_hi:[1,0,1]
	v_and_b32_e32 v147, 0xffff0000, v19
	v_lshlrev_b32_e32 v146, 16, v19
	v_mov_b32_e32 v150, v145
	v_pk_fma_f32 v[138:139], v[146:147], v[150:151], v[138:139] op_sel_hi:[1,0,1]
	v_add_f32_e32 v81, v55, v81
	v_pk_add_f32 v[136:137], v[136:137], v[138:139]
	v_lshlrev_b32_e32 v139, 16, v29
	v_pk_add_f32 v[92:93], v[136:137], v[92:93]
	v_lshlrev_b32_e32 v137, 16, v28
	v_lshlrev_b32_e32 v136, 16, v56
	v_pk_mul_f32 v[134:135], v[134:135], v[136:137] op_sel_hi:[0,1]
	v_lshlrev_b32_e32 v137, 16, v67
	v_lshlrev_b32_e32 v136, 16, v14
	;; [unrolled: 1-line block ×3, first 2 shown]
	v_pk_mul_f32 v[136:137], v[88:89], v[136:137] op_sel_hi:[0,1]
	v_pk_fma_f32 v[134:135], v[138:139], v[140:141], v[134:135] op_sel_hi:[1,0,1]
	v_and_b32_e32 v138, 0xffff0000, v57
	v_lshlrev_b32_e32 v139, 16, v65
	v_pk_fma_f32 v[136:137], v[138:139], v[96:97], v[136:137] op_sel_hi:[1,0,1]
	v_and_b32_e32 v139, 0xffff0000, v131
	v_lshlrev_b32_e32 v138, 16, v131
	;; [unrolled: 3-line block ×5, first 2 shown]
	v_pk_fma_f32 v[136:137], v[138:139], v[150:151], v[136:137] op_sel_hi:[1,0,1]
	v_add_u32_e32 v55, 0x400, v94
	v_pk_add_f32 v[134:135], v[134:135], v[136:137]
	v_cmp_gt_u32_e32 vcc, s6, v55
	v_pk_add_f32 v[90:91], v[134:135], v[90:91]
	s_and_saveexec_b64 s[18:19], vcc
	s_cbranch_execz .LBB30_7
; %bb.21:                               ;   in Loop: Header=BB30_10 Depth=2
	v_and_b32_e32 v135, 0xffff0000, v0
	v_lshlrev_b32_e32 v134, 16, v0
	v_and_b32_e32 v137, 0xffff0000, v32
	v_lshlrev_b32_e32 v136, 16, v32
	v_pk_mul_f32 v[136:137], v[136:137], v[134:135]
	v_and_b32_e32 v139, 0xffff0000, v33
	v_lshlrev_b32_e32 v138, 16, v33
	v_and_b32_e32 v141, 0xffff0000, v1
	v_lshlrev_b32_e32 v140, 16, v1
	v_pk_fma_f32 v[136:137], v[138:139], v[140:141], v[136:137]
	v_and_b32_e32 v139, 0xffff0000, v34
	v_lshlrev_b32_e32 v138, 16, v34
	v_and_b32_e32 v143, 0xffff0000, v2
	v_lshlrev_b32_e32 v142, 16, v2
	v_pk_fma_f32 v[136:137], v[138:139], v[142:143], v[136:137]
	;; [unrolled: 5-line block ×3, first 2 shown]
	v_and_b32_e32 v138, 0xffff0000, v64
	v_add_f32_e32 v55, v136, v137
	v_lshlrev_b32_e32 v137, 16, v12
	v_lshlrev_b32_e32 v136, 16, v64
	v_pk_mul_f32 v[136:137], v[134:135], v[136:137] op_sel_hi:[0,1]
	v_lshlrev_b32_e32 v139, 16, v125
	v_mov_b32_e32 v88, v135
	v_and_b32_e32 v147, 0xffff0000, v26
	v_lshlrev_b32_e32 v146, 16, v26
	v_pk_mul_f32 v[138:139], v[88:89], v[138:139] op_sel_hi:[0,1]
	v_pk_fma_f32 v[136:137], v[146:147], v[140:141], v[136:137] op_sel_hi:[1,0,1]
	v_and_b32_e32 v147, 0xffff0000, v13
	v_lshlrev_b32_e32 v146, 16, v13
	v_mov_b32_e32 v96, v141
	v_pk_fma_f32 v[138:139], v[146:147], v[96:97], v[138:139] op_sel_hi:[1,0,1]
	v_and_b32_e32 v147, 0xffff0000, v74
	v_lshlrev_b32_e32 v146, 16, v74
	v_pk_fma_f32 v[136:137], v[146:147], v[142:143], v[136:137] op_sel_hi:[1,0,1]
	v_and_b32_e32 v147, 0xffff0000, v66
	v_lshlrev_b32_e32 v146, 16, v66
	v_mov_b32_e32 v148, v143
	v_pk_fma_f32 v[138:139], v[146:147], v[148:149], v[138:139] op_sel_hi:[1,0,1]
	v_and_b32_e32 v147, 0xffff0000, v25
	v_lshlrev_b32_e32 v146, 16, v25
	v_pk_fma_f32 v[136:137], v[146:147], v[144:145], v[136:137] op_sel_hi:[1,0,1]
	v_and_b32_e32 v147, 0xffff0000, v15
	v_lshlrev_b32_e32 v146, 16, v15
	v_mov_b32_e32 v150, v145
	v_pk_fma_f32 v[138:139], v[146:147], v[150:151], v[138:139] op_sel_hi:[1,0,1]
	v_add_f32_e32 v81, v55, v81
	v_pk_add_f32 v[136:137], v[136:137], v[138:139]
	v_and_b32_e32 v139, 0xffff0000, v127
	v_pk_add_f32 v[92:93], v[136:137], v[92:93]
	v_lshlrev_b32_e32 v137, 16, v24
	v_lshlrev_b32_e32 v136, 16, v72
	v_pk_mul_f32 v[134:135], v[134:135], v[136:137] op_sel_hi:[0,1]
	v_and_b32_e32 v136, 0xffff0000, v72
	v_lshlrev_b32_e32 v137, 16, v106
	v_lshlrev_b32_e32 v138, 16, v127
	v_pk_mul_f32 v[136:137], v[88:89], v[136:137] op_sel_hi:[0,1]
	v_pk_fma_f32 v[134:135], v[138:139], v[140:141], v[134:135] op_sel_hi:[1,0,1]
	v_and_b32_e32 v139, 0xffff0000, v73
	v_lshlrev_b32_e32 v138, 16, v73
	v_pk_fma_f32 v[136:137], v[138:139], v[96:97], v[136:137] op_sel_hi:[1,0,1]
	v_and_b32_e32 v139, 0xffff0000, v128
	v_lshlrev_b32_e32 v138, 16, v128
	;; [unrolled: 3-line block ×5, first 2 shown]
	v_pk_fma_f32 v[136:137], v[138:139], v[150:151], v[136:137] op_sel_hi:[1,0,1]
	v_add_u32_e32 v55, 0x600, v94
	v_pk_add_f32 v[134:135], v[134:135], v[136:137]
	v_cmp_gt_u32_e32 vcc, s6, v55
	v_pk_add_f32 v[90:91], v[134:135], v[90:91]
	s_and_saveexec_b64 s[20:21], vcc
	s_cbranch_execz .LBB30_6
; %bb.22:                               ;   in Loop: Header=BB30_10 Depth=2
	v_and_b32_e32 v135, 0xffff0000, v68
	v_lshlrev_b32_e32 v134, 16, v68
	v_and_b32_e32 v137, 0xffff0000, v76
	v_lshlrev_b32_e32 v136, 16, v76
	v_pk_mul_f32 v[136:137], v[136:137], v[134:135]
	v_and_b32_e32 v139, 0xffff0000, v77
	v_lshlrev_b32_e32 v138, 16, v77
	v_and_b32_e32 v141, 0xffff0000, v69
	v_lshlrev_b32_e32 v140, 16, v69
	v_pk_fma_f32 v[136:137], v[138:139], v[140:141], v[136:137]
	v_and_b32_e32 v139, 0xffff0000, v78
	v_lshlrev_b32_e32 v138, 16, v78
	v_and_b32_e32 v143, 0xffff0000, v70
	v_lshlrev_b32_e32 v142, 16, v70
	v_pk_fma_f32 v[136:137], v[138:139], v[142:143], v[136:137]
	;; [unrolled: 5-line block ×3, first 2 shown]
	v_and_b32_e32 v139, 0xffff0000, v118
	v_add_f32_e32 v55, v136, v137
	v_and_b32_e32 v137, 0xffff0000, v117
	v_lshlrev_b32_e32 v136, 16, v117
	v_pk_mul_f32 v[136:137], v[134:135], v[136:137] op_sel_hi:[0,1]
	v_lshlrev_b32_e32 v138, 16, v118
	v_mov_b32_e32 v88, v135
	v_and_b32_e32 v147, 0xffff0000, v119
	v_lshlrev_b32_e32 v146, 16, v119
	v_pk_mul_f32 v[138:139], v[88:89], v[138:139] op_sel_hi:[0,1]
	v_pk_fma_f32 v[136:137], v[146:147], v[140:141], v[136:137] op_sel_hi:[1,0,1]
	v_and_b32_e32 v147, 0xffff0000, v121
	v_lshlrev_b32_e32 v146, 16, v121
	v_mov_b32_e32 v94, v141
	v_pk_fma_f32 v[138:139], v[146:147], v[94:95], v[138:139] op_sel_hi:[1,0,1]
	v_and_b32_e32 v147, 0xffff0000, v111
	v_lshlrev_b32_e32 v146, 16, v111
	v_pk_fma_f32 v[136:137], v[146:147], v[142:143], v[136:137] op_sel_hi:[1,0,1]
	v_and_b32_e32 v147, 0xffff0000, v115
	v_lshlrev_b32_e32 v146, 16, v115
	v_mov_b32_e32 v96, v143
	v_pk_fma_f32 v[138:139], v[146:147], v[96:97], v[138:139] op_sel_hi:[1,0,1]
	v_and_b32_e32 v147, 0xffff0000, v107
	v_lshlrev_b32_e32 v146, 16, v107
	v_pk_fma_f32 v[136:137], v[146:147], v[144:145], v[136:137] op_sel_hi:[1,0,1]
	v_and_b32_e32 v147, 0xffff0000, v113
	v_lshlrev_b32_e32 v146, 16, v113
	v_mov_b32_e32 v148, v145
	v_pk_fma_f32 v[138:139], v[146:147], v[148:149], v[138:139] op_sel_hi:[1,0,1]
	v_add_f32_e32 v81, v55, v81
	v_pk_add_f32 v[136:137], v[136:137], v[138:139]
	v_and_b32_e32 v139, 0xffff0000, v123
	v_pk_add_f32 v[92:93], v[136:137], v[92:93]
	v_and_b32_e32 v137, 0xffff0000, v120
	v_lshlrev_b32_e32 v136, 16, v120
	v_pk_mul_f32 v[134:135], v[134:135], v[136:137] op_sel_hi:[0,1]
	v_and_b32_e32 v137, 0xffff0000, v122
	v_lshlrev_b32_e32 v136, 16, v122
	v_lshlrev_b32_e32 v138, 16, v123
	v_pk_mul_f32 v[136:137], v[88:89], v[136:137] op_sel_hi:[0,1]
	v_pk_fma_f32 v[134:135], v[138:139], v[140:141], v[134:135] op_sel_hi:[1,0,1]
	v_and_b32_e32 v139, 0xffff0000, v124
	v_lshlrev_b32_e32 v138, 16, v124
	v_pk_fma_f32 v[136:137], v[138:139], v[94:95], v[136:137] op_sel_hi:[1,0,1]
	v_and_b32_e32 v139, 0xffff0000, v112
	v_lshlrev_b32_e32 v138, 16, v112
	;; [unrolled: 3-line block ×5, first 2 shown]
	v_pk_fma_f32 v[136:137], v[138:139], v[148:149], v[136:137] op_sel_hi:[1,0,1]
	s_nop 0
	v_pk_add_f32 v[134:135], v[134:135], v[136:137]
	s_nop 0
	v_pk_add_f32 v[90:91], v[134:135], v[90:91]
	s_branch .LBB30_6
.LBB30_23:                              ;   in Loop: Header=BB30_4 Depth=1
	v_lshrrev_b32_e32 v55, 16, v15
	v_lshrrev_b32_e32 v85, 16, v25
	;; [unrolled: 1-line block ×8, first 2 shown]
	s_branch .LBB30_25
.LBB30_24:                              ;   in Loop: Header=BB30_4 Depth=1
	v_lshrrev_b32_e32 v135, 16, v112
	v_lshrrev_b32_e32 v134, 16, v116
	;; [unrolled: 1-line block ×8, first 2 shown]
	v_mov_b32_e32 v93, v89
	v_mov_b32_e32 v92, v89
	v_mov_b32_e32 v91, v89
	v_mov_b32_e32 v90, v89
	v_mov_b32_e32 v81, v89
.LBB30_25:                              ;   in Loop: Header=BB30_4 Depth=1
	;;#ASMSTART
	s_nop 0
	v_add_f32 v81, v81, v81 row_shr:8 bound_ctrl:0 
	;;#ASMEND
	;;#ASMSTART
	s_nop 0
	v_add_f32 v93, v93, v93 row_shr:8 bound_ctrl:0 
	;;#ASMEND
	;;#ASMSTART
	s_nop 0
	v_add_f32 v92, v92, v92 row_shr:8 bound_ctrl:0 
	;;#ASMEND
	;;#ASMSTART
	s_nop 0
	v_add_f32 v91, v91, v91 row_shr:8 bound_ctrl:0 
	;;#ASMEND
	;;#ASMSTART
	s_nop 0
	v_add_f32 v90, v90, v90 row_shr:8 bound_ctrl:0 
	;;#ASMEND
	s_nop 0
	;;#ASMSTART
	s_nop 0
	v_add_f32 v81, v81, v81 row_shr:4 bound_ctrl:0 
	;;#ASMEND
	;;#ASMSTART
	s_nop 0
	v_add_f32 v93, v93, v93 row_shr:4 bound_ctrl:0 
	;;#ASMEND
	;;#ASMSTART
	s_nop 0
	v_add_f32 v92, v92, v92 row_shr:4 bound_ctrl:0 
	;;#ASMEND
	;;#ASMSTART
	s_nop 0
	v_add_f32 v91, v91, v91 row_shr:4 bound_ctrl:0 
	;;#ASMEND
	;;#ASMSTART
	s_nop 0
	v_add_f32 v90, v90, v90 row_shr:4 bound_ctrl:0 
	;;#ASMEND
	s_nop 0
	;; [unrolled: 21-line block ×3, first 2 shown]
	;;#ASMSTART
	s_nop 0
	v_add_f32 v81, v81, v81 wave_shr:1 bound_ctrl:0
	;;#ASMEND
	;;#ASMSTART
	s_nop 0
	v_add_f32 v93, v93, v93 wave_shr:1 bound_ctrl:0
	;;#ASMEND
	;; [unrolled: 4-line block ×5, first 2 shown]
	s_nop 0
	;;#ASMSTART
	s_nop 0
	v_add_f32 v81, v81, v81 row_bcast:15 bound_ctrl:0
	;;#ASMEND
	;;#ASMSTART
	s_nop 0
	v_add_f32 v93, v93, v93 row_bcast:15 bound_ctrl:0
	;;#ASMEND
	;; [unrolled: 4-line block ×5, first 2 shown]
	s_nop 0
	;;#ASMSTART
	s_nop 0
	v_add_f32 v81, v81, v81 row_bcast:31 bound_ctrl:0
	;;#ASMEND
	;;#ASMSTART
	s_nop 0
	v_add_f32 v93, v93, v93 row_bcast:31 bound_ctrl:0
	;;#ASMEND
	;; [unrolled: 4-line block ×5, first 2 shown]
	s_and_saveexec_b64 s[4:5], s[0:1]
	s_cbranch_execz .LBB30_3
; %bb.26:                               ;   in Loop: Header=BB30_4 Depth=1
	v_and_b32_e32 v88, 0x7f800000, v81
	v_cmp_ne_u32_e32 vcc, s28, v88
                                        ; implicit-def: $vgpr88
	s_and_saveexec_b64 s[16:17], vcc
	s_xor_b64 s[16:17], exec, s[16:17]
; %bb.27:                               ;   in Loop: Header=BB30_4 Depth=1
	v_bfe_u32 v88, v81, 16, 1
	v_add3_u32 v88, v81, v88, s29
                                        ; implicit-def: $vgpr81
; %bb.28:                               ;   in Loop: Header=BB30_4 Depth=1
	s_andn2_saveexec_b64 s[16:17], s[16:17]
; %bb.29:                               ;   in Loop: Header=BB30_4 Depth=1
	v_or_b32_e32 v88, 0x10000, v81
	v_cmp_eq_u32_sdwa vcc, v81, v89 src0_sel:WORD_0 src1_sel:DWORD
	s_nop 1
	v_cndmask_b32_e32 v88, v88, v81, vcc
; %bb.30:                               ;   in Loop: Header=BB30_4 Depth=1
	s_or_b64 exec, exec, s[16:17]
	v_mov_b32_e32 v81, v89
	s_waitcnt lgkmcnt(0)
	v_lshl_add_u64 v[136:137], v[80:81], 1, s[12:13]
	v_and_b32_e32 v81, 0x7f800000, v93
	v_cmp_ne_u32_e32 vcc, s28, v81
	global_store_short_d16_hi v[136:137], v88, off
                                        ; implicit-def: $vgpr81
	s_and_saveexec_b64 s[16:17], vcc
	s_xor_b64 s[16:17], exec, s[16:17]
; %bb.31:                               ;   in Loop: Header=BB30_4 Depth=1
	v_bfe_u32 v81, v93, 16, 1
	v_add3_u32 v81, v93, v81, s29
; %bb.32:                               ;   in Loop: Header=BB30_4 Depth=1
	s_andn2_saveexec_b64 s[16:17], s[16:17]
; %bb.33:                               ;   in Loop: Header=BB30_4 Depth=1
	v_or_b32_e32 v81, 0x10000, v93
	v_cmp_eq_u32_sdwa vcc, v93, v89 src0_sel:WORD_0 src1_sel:DWORD
	s_nop 1
	v_cndmask_b32_e32 v81, v81, v93, vcc
; %bb.34:                               ;   in Loop: Header=BB30_4 Depth=1
	s_or_b64 exec, exec, s[16:17]
	v_add_u32_e32 v88, s7, v80
	v_lshl_add_u64 v[136:137], v[88:89], 1, s[12:13]
	global_store_short_d16_hi v[136:137], v81, off
	v_and_b32_e32 v81, 0x7f800000, v92
	v_cmp_ne_u32_e32 vcc, s28, v81
                                        ; implicit-def: $vgpr81
	s_and_saveexec_b64 s[16:17], vcc
	s_xor_b64 s[16:17], exec, s[16:17]
; %bb.35:                               ;   in Loop: Header=BB30_4 Depth=1
	v_bfe_u32 v81, v92, 16, 1
	v_add3_u32 v81, v92, v81, s29
                                        ; implicit-def: $vgpr92
; %bb.36:                               ;   in Loop: Header=BB30_4 Depth=1
	s_andn2_saveexec_b64 s[16:17], s[16:17]
; %bb.37:                               ;   in Loop: Header=BB30_4 Depth=1
	v_or_b32_e32 v81, 0x10000, v92
	v_cmp_eq_u32_sdwa vcc, v92, v89 src0_sel:WORD_0 src1_sel:DWORD
	s_nop 1
	v_cndmask_b32_e32 v81, v81, v92, vcc
; %bb.38:                               ;   in Loop: Header=BB30_4 Depth=1
	s_or_b64 exec, exec, s[16:17]
	v_add_u32_e32 v88, s7, v88
	v_lshl_add_u64 v[92:93], v[88:89], 1, s[12:13]
	global_store_short_d16_hi v[92:93], v81, off
	v_and_b32_e32 v81, 0x7f800000, v91
	v_cmp_ne_u32_e32 vcc, s28, v81
                                        ; implicit-def: $vgpr81
	s_and_saveexec_b64 s[16:17], vcc
	s_xor_b64 s[16:17], exec, s[16:17]
; %bb.39:                               ;   in Loop: Header=BB30_4 Depth=1
	v_bfe_u32 v81, v91, 16, 1
	v_add3_u32 v81, v91, v81, s29
; %bb.40:                               ;   in Loop: Header=BB30_4 Depth=1
	s_andn2_saveexec_b64 s[16:17], s[16:17]
; %bb.41:                               ;   in Loop: Header=BB30_4 Depth=1
	v_or_b32_e32 v81, 0x10000, v91
	v_cmp_eq_u32_sdwa vcc, v91, v89 src0_sel:WORD_0 src1_sel:DWORD
	s_nop 1
	v_cndmask_b32_e32 v81, v81, v91, vcc
; %bb.42:                               ;   in Loop: Header=BB30_4 Depth=1
	s_or_b64 exec, exec, s[16:17]
	v_add_u32_e32 v88, s7, v88
	v_lshl_add_u64 v[92:93], v[88:89], 1, s[12:13]
	global_store_short_d16_hi v[92:93], v81, off
	v_and_b32_e32 v81, 0x7f800000, v90
	v_cmp_ne_u32_e32 vcc, s28, v81
                                        ; implicit-def: $vgpr81
	s_and_saveexec_b64 s[16:17], vcc
	s_xor_b64 s[16:17], exec, s[16:17]
; %bb.43:                               ;   in Loop: Header=BB30_4 Depth=1
	v_bfe_u32 v81, v90, 16, 1
	v_add3_u32 v81, v90, v81, s29
                                        ; implicit-def: $vgpr90
; %bb.44:                               ;   in Loop: Header=BB30_4 Depth=1
	s_andn2_saveexec_b64 s[16:17], s[16:17]
	s_cbranch_execz .LBB30_2
; %bb.45:                               ;   in Loop: Header=BB30_4 Depth=1
	v_or_b32_e32 v81, 0x10000, v90
	v_cmp_eq_u32_sdwa vcc, v90, v89 src0_sel:WORD_0 src1_sel:DWORD
	s_nop 1
	v_cndmask_b32_e32 v81, v81, v90, vcc
	s_branch .LBB30_2
.LBB30_46:
	s_endpgm
	.section	.rodata,"a",@progbits
	.p2align	6, 0x0
	.amdhsa_kernel _ZN5aiter32wv_splitk_small_fp16_bf16_kernelI14__hip_bfloat16Li64ELi1ELi1ELi8ELi4ELi5EEEviiPKT_S4_PS2_ii
		.amdhsa_group_segment_fixed_size 0
		.amdhsa_private_segment_fixed_size 0
		.amdhsa_kernarg_size 40
		.amdhsa_user_sgpr_count 2
		.amdhsa_user_sgpr_dispatch_ptr 0
		.amdhsa_user_sgpr_queue_ptr 0
		.amdhsa_user_sgpr_kernarg_segment_ptr 1
		.amdhsa_user_sgpr_dispatch_id 0
		.amdhsa_user_sgpr_kernarg_preload_length 0
		.amdhsa_user_sgpr_kernarg_preload_offset 0
		.amdhsa_user_sgpr_private_segment_size 0
		.amdhsa_uses_dynamic_stack 0
		.amdhsa_enable_private_segment 0
		.amdhsa_system_sgpr_workgroup_id_x 1
		.amdhsa_system_sgpr_workgroup_id_y 0
		.amdhsa_system_sgpr_workgroup_id_z 0
		.amdhsa_system_sgpr_workgroup_info 0
		.amdhsa_system_vgpr_workitem_id 1
		.amdhsa_next_free_vgpr 154
		.amdhsa_next_free_sgpr 31
		.amdhsa_accum_offset 156
		.amdhsa_reserve_vcc 1
		.amdhsa_float_round_mode_32 0
		.amdhsa_float_round_mode_16_64 0
		.amdhsa_float_denorm_mode_32 3
		.amdhsa_float_denorm_mode_16_64 3
		.amdhsa_dx10_clamp 1
		.amdhsa_ieee_mode 1
		.amdhsa_fp16_overflow 0
		.amdhsa_tg_split 0
		.amdhsa_exception_fp_ieee_invalid_op 0
		.amdhsa_exception_fp_denorm_src 0
		.amdhsa_exception_fp_ieee_div_zero 0
		.amdhsa_exception_fp_ieee_overflow 0
		.amdhsa_exception_fp_ieee_underflow 0
		.amdhsa_exception_fp_ieee_inexact 0
		.amdhsa_exception_int_div_zero 0
	.end_amdhsa_kernel
	.section	.text._ZN5aiter32wv_splitk_small_fp16_bf16_kernelI14__hip_bfloat16Li64ELi1ELi1ELi8ELi4ELi5EEEviiPKT_S4_PS2_ii,"axG",@progbits,_ZN5aiter32wv_splitk_small_fp16_bf16_kernelI14__hip_bfloat16Li64ELi1ELi1ELi8ELi4ELi5EEEviiPKT_S4_PS2_ii,comdat
.Lfunc_end30:
	.size	_ZN5aiter32wv_splitk_small_fp16_bf16_kernelI14__hip_bfloat16Li64ELi1ELi1ELi8ELi4ELi5EEEviiPKT_S4_PS2_ii, .Lfunc_end30-_ZN5aiter32wv_splitk_small_fp16_bf16_kernelI14__hip_bfloat16Li64ELi1ELi1ELi8ELi4ELi5EEEviiPKT_S4_PS2_ii
                                        ; -- End function
	.section	.AMDGPU.csdata,"",@progbits
; Kernel info:
; codeLenInByte = 4564
; NumSgprs: 37
; NumVgprs: 154
; NumAgprs: 0
; TotalNumVgprs: 154
; ScratchSize: 0
; MemoryBound: 0
; FloatMode: 240
; IeeeMode: 1
; LDSByteSize: 0 bytes/workgroup (compile time only)
; SGPRBlocks: 4
; VGPRBlocks: 19
; NumSGPRsForWavesPerEU: 37
; NumVGPRsForWavesPerEU: 154
; AccumOffset: 156
; Occupancy: 3
; WaveLimiterHint : 0
; COMPUTE_PGM_RSRC2:SCRATCH_EN: 0
; COMPUTE_PGM_RSRC2:USER_SGPR: 2
; COMPUTE_PGM_RSRC2:TRAP_HANDLER: 0
; COMPUTE_PGM_RSRC2:TGID_X_EN: 1
; COMPUTE_PGM_RSRC2:TGID_Y_EN: 0
; COMPUTE_PGM_RSRC2:TGID_Z_EN: 0
; COMPUTE_PGM_RSRC2:TIDIG_COMP_CNT: 1
; COMPUTE_PGM_RSRC3_GFX90A:ACCUM_OFFSET: 38
; COMPUTE_PGM_RSRC3_GFX90A:TG_SPLIT: 0
	.section	.text._ZN5aiter32wv_splitk_small_fp16_bf16_kernelI14__hip_bfloat16Li64ELi1ELi1ELi8ELi4ELi6EEEviiPKT_S4_PS2_ii,"axG",@progbits,_ZN5aiter32wv_splitk_small_fp16_bf16_kernelI14__hip_bfloat16Li64ELi1ELi1ELi8ELi4ELi6EEEviiPKT_S4_PS2_ii,comdat
	.protected	_ZN5aiter32wv_splitk_small_fp16_bf16_kernelI14__hip_bfloat16Li64ELi1ELi1ELi8ELi4ELi6EEEviiPKT_S4_PS2_ii ; -- Begin function _ZN5aiter32wv_splitk_small_fp16_bf16_kernelI14__hip_bfloat16Li64ELi1ELi1ELi8ELi4ELi6EEEviiPKT_S4_PS2_ii
	.globl	_ZN5aiter32wv_splitk_small_fp16_bf16_kernelI14__hip_bfloat16Li64ELi1ELi1ELi8ELi4ELi6EEEviiPKT_S4_PS2_ii
	.p2align	8
	.type	_ZN5aiter32wv_splitk_small_fp16_bf16_kernelI14__hip_bfloat16Li64ELi1ELi1ELi8ELi4ELi6EEEviiPKT_S4_PS2_ii,@function
_ZN5aiter32wv_splitk_small_fp16_bf16_kernelI14__hip_bfloat16Li64ELi1ELi1ELi8ELi4ELi6EEEviiPKT_S4_PS2_ii: ; @_ZN5aiter32wv_splitk_small_fp16_bf16_kernelI14__hip_bfloat16Li64ELi1ELi1ELi8ELi4ELi6EEEviiPKT_S4_PS2_ii
; %bb.0:
	s_load_dwordx2 s[4:5], s[0:1], 0x20
	s_load_dwordx2 s[6:7], s[0:1], 0x0
	v_bfe_u32 v1, v0, 10, 10
	s_waitcnt lgkmcnt(0)
	s_mul_i32 s2, s2, s4
	v_add_u32_e32 v88, s2, v1
	v_cmp_gt_u32_e32 vcc, s7, v88
	s_and_saveexec_b64 s[2:3], vcc
	s_cbranch_execz .LBB31_50
; %bb.1:
	s_load_dwordx4 s[8:11], s[0:1], 0x8
	s_load_dwordx2 s[12:13], s[0:1], 0x18
	s_cmp_lg_u32 s6, 0
	v_and_b32_e32 v0, 0x3ff, v0
	v_lshlrev_b32_e32 v90, 3, v0
	s_cselect_b64 s[2:3], -1, 0
	v_cmp_eq_u32_e64 s[0:1], 63, v0
	s_mul_i32 s24, s5, s4
	v_lshl_add_u32 v91, s6, 1, v90
	v_cndmask_b32_e64 v0, 0, 1, s[2:3]
	s_mul_i32 s25, s24, s6
	v_lshl_add_u32 v122, s6, 2, v90
	v_add_u32_e32 v123, s6, v90
	s_mov_b64 s[14:15], 0
	s_mov_b32 s26, 0x5040100
	s_mov_b32 s27, 0x7060302
	;; [unrolled: 1-line block ×3, first 2 shown]
	s_movk_i32 s29, 0x7fff
	v_cmp_ne_u32_e64 s[2:3], 1, v0
	v_mad_u64_u32 v[92:93], s[4:5], s6, v88, v[90:91]
	v_mad_u64_u32 v[94:95], s[4:5], s6, 3, v[90:91]
	;; [unrolled: 1-line block ×3, first 2 shown]
	v_mov_b32_e32 v99, 0
                                        ; implicit-def: $vgpr22
                                        ; implicit-def: $vgpr26
                                        ; implicit-def: $vgpr27
                                        ; implicit-def: $vgpr120
                                        ; implicit-def: $vgpr53
                                        ; implicit-def: $vgpr55
                                        ; implicit-def: $vgpr107
                                        ; implicit-def: $vgpr110
                                        ; implicit-def: $vgpr111
                                        ; implicit-def: $vgpr109
                                        ; implicit-def: $vgpr112
                                        ; implicit-def: $vgpr113
                                        ; implicit-def: $vgpr147
                                        ; implicit-def: $vgpr152
                                        ; implicit-def: $vgpr153
                                        ; implicit-def: $vgpr114
                                        ; implicit-def: $vgpr115
                                        ; implicit-def: $vgpr116
                                        ; implicit-def: $vgpr154
                                        ; implicit-def: $vgpr117
                                        ; implicit-def: $vgpr118
                                        ; implicit-def: $vgpr148
                                        ; implicit-def: $vgpr155
                                        ; implicit-def: $vgpr156
                                        ; implicit-def: $vgpr119
                                        ; implicit-def: $vgpr159
                                        ; implicit-def: $vgpr160
                                        ; implicit-def: $vgpr126
                                        ; implicit-def: $vgpr128
                                        ; implicit-def: $vgpr132
                                        ; implicit-def: $vgpr134
                                        ; implicit-def: $vgpr149
                                        ; implicit-def: $vgpr71
                                        ; implicit-def: $vgpr124
                                        ; implicit-def: $vgpr127
                                        ; implicit-def: $vgpr130
                                        ; implicit-def: $vgpr133
                                        ; implicit-def: $vgpr69
                                        ; implicit-def: $vgpr47
                                        ; implicit-def: $vgpr121
                                        ; implicit-def: $vgpr125
                                        ; implicit-def: $vgpr129
                                        ; implicit-def: $vgpr131
                                        ; implicit-def: $vgpr45
                                        ; implicit-def: $vgpr23
                                        ; implicit-def: $vgpr19
                                        ; implicit-def: $vgpr35
                                        ; implicit-def: $vgpr14
                                        ; implicit-def: $vgpr38
                                        ; implicit-def: $vgpr21
                                        ; implicit-def: $vgpr46
                                        ; implicit-def: $vgpr138
                                        ; implicit-def: $vgpr135
                                        ; implicit-def: $vgpr43
                                        ; implicit-def: $vgpr59
                                        ; implicit-def: $vgpr39
                                        ; implicit-def: $vgpr62
                                        ; implicit-def: $vgpr77
                                        ; implicit-def: $vgpr70
                                        ; implicit-def: $vgpr137
                                        ; implicit-def: $vgpr136
                                        ; implicit-def: $vgpr67
                                        ; implicit-def: $vgpr161
                                        ; implicit-def: $vgpr63
                                        ; implicit-def: $vgpr157
                                        ; implicit-def: $vgpr85
                                        ; implicit-def: $vgpr150
                                        ; implicit-def: $vgpr142
                                        ; implicit-def: $vgpr141
                                        ; implicit-def: $vgpr15
                                        ; implicit-def: $vgpr50
                                        ; implicit-def: $vgpr54
                                        ; implicit-def: $vgpr78
                                        ; implicit-def: $vgpr140
                                        ; implicit-def: $vgpr139
                                        ; implicit-def: $vgpr51
                                        ; implicit-def: $vgpr74
                                        ; implicit-def: $vgpr79
                                        ; implicit-def: $vgpr86
                                        ; implicit-def: $vgpr144
                                        ; implicit-def: $vgpr143
                                        ; implicit-def: $vgpr75
                                        ; implicit-def: $vgpr158
                                        ; implicit-def: $vgpr87
                                        ; implicit-def: $vgpr151
                                        ; implicit-def: $vgpr146
                                        ; implicit-def: $vgpr145
                                        ; implicit-def: $vgpr60
                                        ; implicit-def: $vgpr57
                                        ; implicit-def: $vgpr68
                                        ; implicit-def: $vgpr73
                                        ; implicit-def: $vgpr66
                                        ; implicit-def: $vgpr36
                                        ; implicit-def: $vgpr33
                                        ; implicit-def: $vgpr44
                                        ; implicit-def: $vgpr49
                                        ; implicit-def: $vgpr42
                                        ; implicit-def: $vgpr12
                                        ; implicit-def: $vgpr17
                                        ; implicit-def: $vgpr20
                                        ; implicit-def: $vgpr25
                                        ; implicit-def: $vgpr30
                                        ; implicit-def: $vgpr80_vgpr81_vgpr82_vgpr83
                                        ; implicit-def: $vgpr0_vgpr1_vgpr2_vgpr3
                                        ; implicit-def: $vgpr4_vgpr5_vgpr6_vgpr7
                                        ; implicit-def: $vgpr8_vgpr9_vgpr10_vgpr11
                                        ; implicit-def: $vgpr84
                                        ; implicit-def: $vgpr76
                                        ; implicit-def: $vgpr52
	s_branch .LBB31_4
.LBB31_2:                               ;   in Loop: Header=BB31_4 Depth=1
	s_or_b64 exec, exec, s[16:17]
	v_add_u32_e32 v98, s7, v98
	v_lshl_add_u64 v[100:101], v[98:99], 1, s[12:13]
	global_store_short_d16_hi v[100:101], v89, off
.LBB31_3:                               ;   in Loop: Header=BB31_4 Depth=1
	s_or_b64 exec, exec, s[4:5]
	v_add_u32_e32 v88, s24, v88
	v_cmp_le_u32_e32 vcc, s7, v88
	v_perm_b32 v128, v167, v128, s26
	v_perm_b32 v134, v166, v134, s26
	;; [unrolled: 1-line block ×12, first 2 shown]
	s_or_b64 s[14:15], vcc, s[14:15]
	v_add_u32_e32 v92, s25, v92
	s_andn2_b64 exec, exec, s[14:15]
	s_cbranch_execz .LBB31_50
.LBB31_4:                               ; =>This Loop Header: Depth=1
                                        ;     Child Loop BB31_10 Depth 2
	s_and_b64 vcc, exec, s[2:3]
	s_cbranch_vccnz .LBB31_24
; %bb.5:                                ;   in Loop: Header=BB31_4 Depth=1
	v_mov_b32_e32 v100, 0
	s_mov_b32 s30, 0
	v_mov_b32_e32 v101, v100
	v_mov_b32_e32 v102, v100
	;; [unrolled: 1-line block ×5, first 2 shown]
	s_branch .LBB31_10
.LBB31_6:                               ;   in Loop: Header=BB31_10 Depth=2
	s_or_b64 exec, exec, s[20:21]
.LBB31_7:                               ;   in Loop: Header=BB31_10 Depth=2
	s_or_b64 exec, exec, s[18:19]
.LBB31_8:                               ;   in Loop: Header=BB31_10 Depth=2
	s_or_b64 exec, exec, s[16:17]
.LBB31_9:                               ;   in Loop: Header=BB31_10 Depth=2
	s_or_b64 exec, exec, s[4:5]
	s_addk_i32 s30, 0x800
	s_cmp_ge_u32 s30, s6
	s_cbranch_scc1 .LBB31_23
.LBB31_10:                              ;   Parent Loop BB31_4 Depth=1
                                        ; =>  This Inner Loop Header: Depth=2
	v_add_u32_e32 v106, s30, v90
	v_cmp_gt_u32_e32 vcc, s6, v106
	v_add_u32_e32 v108, 0x200, v106
	s_and_saveexec_b64 s[16:17], vcc
	s_cbranch_execz .LBB31_18
; %bb.11:                               ;   in Loop: Header=BB31_10 Depth=2
	v_add_u32_e32 v98, s30, v92
	v_mov_b32_e32 v107, v99
	v_add_u32_e32 v118, s30, v123
	v_mov_b32_e32 v119, v99
	;; [unrolled: 2-line block ×4, first 2 shown]
	s_waitcnt lgkmcnt(0)
	v_lshl_add_u64 v[8:9], v[98:99], 1, s[8:9]
	v_lshl_add_u64 v[16:17], v[106:107], 1, s[10:11]
	;; [unrolled: 1-line block ×5, first 2 shown]
	v_add_u32_e32 v112, s30, v122
	v_mov_b32_e32 v113, v99
	v_add_u32_e32 v110, s30, v96
	v_mov_b32_e32 v111, v99
	global_load_dwordx4 v[8:11], v[8:9], off nt
	s_nop 0
	global_load_dwordx4 v[28:31], v[16:17], off
	s_nop 0
	global_load_dwordx4 v[16:19], v[18:19], off
	;; [unrolled: 2-line block ×4, first 2 shown]
	v_lshl_add_u64 v[26:27], v[112:113], 1, s[10:11]
	v_lshl_add_u64 v[56:57], v[110:111], 1, s[10:11]
	global_load_dwordx4 v[64:67], v[26:27], off
	s_nop 0
	global_load_dwordx4 v[56:59], v[56:57], off
	v_cmp_gt_u32_e64 s[4:5], s6, v108
	s_and_saveexec_b64 s[18:19], s[4:5]
	s_cbranch_execz .LBB31_17
; %bb.12:                               ;   in Loop: Header=BB31_10 Depth=2
	v_add_u32_e32 v4, 0x200, v98
	v_mov_b32_e32 v5, v99
	v_mov_b32_e32 v109, v99
	v_add_u32_e32 v12, 0x200, v118
	v_mov_b32_e32 v13, v99
	v_lshl_add_u64 v[4:5], v[4:5], 1, s[8:9]
	v_lshl_add_u64 v[36:37], v[108:109], 1, s[10:11]
	;; [unrolled: 1-line block ×3, first 2 shown]
	global_load_dwordx4 v[4:7], v[4:5], off nt
	s_nop 0
	global_load_dwordx4 v[24:27], v[36:37], off
	global_load_dwordx4 v[12:15], v[38:39], off
	v_add_u32_e32 v36, 0x200, v116
	v_mov_b32_e32 v37, v99
	v_add_u32_e32 v38, 0x200, v114
	v_mov_b32_e32 v39, v99
	;; [unrolled: 2-line block ×4, first 2 shown]
	v_lshl_add_u64 v[36:37], v[36:37], 1, s[10:11]
	v_lshl_add_u64 v[38:39], v[38:39], 1, s[10:11]
	;; [unrolled: 1-line block ×4, first 2 shown]
	global_load_dwordx4 v[48:51], v[36:37], off
	s_nop 0
	global_load_dwordx4 v[36:39], v[38:39], off
	s_nop 0
	;; [unrolled: 2-line block ×3, first 2 shown]
	global_load_dwordx4 v[60:63], v[62:63], off
	v_add_u32_e32 v22, 0x400, v106
	v_cmp_gt_u32_e64 s[4:5], s6, v22
	s_and_saveexec_b64 s[20:21], s[4:5]
	s_cbranch_execz .LBB31_16
; %bb.13:                               ;   in Loop: Header=BB31_10 Depth=2
	v_add_u32_e32 v0, 0x400, v98
	v_mov_b32_e32 v1, v99
	v_mov_b32_e32 v23, v99
	v_add_u32_e32 v20, 0x400, v118
	v_mov_b32_e32 v21, v99
	v_lshl_add_u64 v[0:1], v[0:1], 1, s[8:9]
	v_lshl_add_u64 v[44:45], v[22:23], 1, s[10:11]
	v_lshl_add_u64 v[46:47], v[20:21], 1, s[10:11]
	global_load_dwordx4 v[0:3], v[0:1], off nt
	s_nop 0
	global_load_dwordx4 v[20:23], v[44:45], off
	global_load_dwordx4 v[52:55], v[46:47], off
	v_add_u32_e32 v44, 0x400, v116
	v_mov_b32_e32 v45, v99
	v_add_u32_e32 v46, 0x400, v114
	v_mov_b32_e32 v47, v99
	v_lshl_add_u64 v[44:45], v[44:45], 1, s[10:11]
	v_lshl_add_u64 v[68:69], v[46:47], 1, s[10:11]
	global_load_dwordx4 v[44:47], v[44:45], off
	s_nop 0
	global_load_dwordx4 v[76:79], v[68:69], off
	v_add_u32_e32 v68, 0x400, v112
	v_mov_b32_e32 v69, v99
	v_add_u32_e32 v70, 0x400, v110
	v_mov_b32_e32 v71, v99
	v_lshl_add_u64 v[68:69], v[68:69], 1, s[10:11]
	v_lshl_add_u64 v[84:85], v[70:71], 1, s[10:11]
	global_load_dwordx4 v[68:71], v[68:69], off
	s_nop 0
	global_load_dwordx4 v[84:87], v[84:85], off
	v_add_u32_e32 v120, 0x600, v106
	v_cmp_gt_u32_e64 s[4:5], s6, v120
	s_and_saveexec_b64 s[22:23], s[4:5]
	s_cbranch_execz .LBB31_15
; %bb.14:                               ;   in Loop: Header=BB31_10 Depth=2
	v_add_u32_e32 v98, 0x600, v98
	v_lshl_add_u64 v[80:81], v[98:99], 1, s[8:9]
	v_mov_b32_e32 v121, v99
	v_add_u32_e32 v98, 0x600, v118
	v_lshl_add_u64 v[82:83], v[120:121], 1, s[10:11]
	v_lshl_add_u64 v[118:119], v[98:99], 1, s[10:11]
	v_add_u32_e32 v98, 0x600, v116
	global_load_dwordx4 v[148:151], v[82:83], off
	global_load_dwordx4 v[152:155], v[118:119], off
	v_lshl_add_u64 v[82:83], v[98:99], 1, s[10:11]
	v_add_u32_e32 v98, 0x600, v114
	v_lshl_add_u64 v[118:119], v[98:99], 1, s[10:11]
	v_add_u32_e32 v98, 0x600, v112
	global_load_dwordx4 v[114:117], v[82:83], off
	global_load_dwordx4 v[156:159], v[118:119], off
	v_lshl_add_u64 v[82:83], v[98:99], 1, s[10:11]
	v_add_u32_e32 v98, 0x600, v110
	v_lshl_add_u64 v[118:119], v[98:99], 1, s[10:11]
	global_load_dwordx4 v[110:113], v[82:83], off
	global_load_dwordx4 v[160:163], v[118:119], off
	s_nop 0
	global_load_dwordx4 v[80:83], v[80:81], off nt
	s_waitcnt vmcnt(5)
	v_perm_b32 v121, v151, v155, s26
	v_perm_b32 v125, v150, v154, s26
	;; [unrolled: 1-line block ×7, first 2 shown]
	s_waitcnt vmcnt(3)
	v_perm_b32 v124, v117, v159, s26
	v_perm_b32 v127, v116, v158, s26
	;; [unrolled: 1-line block ×8, first 2 shown]
	s_waitcnt vmcnt(1)
	v_perm_b32 v126, v113, v163, s26
	v_perm_b32 v128, v112, v162, s26
	;; [unrolled: 1-line block ×9, first 2 shown]
.LBB31_15:                              ;   in Loop: Header=BB31_10 Depth=2
	s_or_b64 exec, exec, s[22:23]
	s_waitcnt vmcnt(5)
	v_lshrrev_b32_e32 v148, 16, v20
	s_waitcnt vmcnt(3)
	v_lshrrev_b32_e32 v147, 16, v44
	;; [unrolled: 2-line block ×3, first 2 shown]
	s_waitcnt vmcnt(0)
	v_perm_b32 v149, v71, v87, s26
	v_perm_b32 v151, v70, v86, s26
	v_perm_b32 v150, v69, v85, s26
	v_perm_b32 v71, v71, v87, s27
	v_perm_b32 v87, v70, v86, s27
	v_perm_b32 v85, v69, v85, s27
	v_perm_b32 v69, v47, v79, s26
	v_perm_b32 v86, v46, v78, s26
	v_perm_b32 v70, v45, v77, s26
	v_perm_b32 v47, v47, v79, s27
	v_perm_b32 v79, v46, v78, s27
	v_perm_b32 v77, v45, v77, s27
	v_perm_b32 v45, v23, v55, s26
	v_perm_b32 v78, v22, v54, s26
	v_perm_b32 v46, v21, v53, s26
	v_perm_b32 v23, v23, v55, s27
	v_perm_b32 v54, v22, v54, s27
	v_perm_b32 v21, v21, v53, s27
.LBB31_16:                              ;   in Loop: Header=BB31_10 Depth=2
	s_or_b64 exec, exec, s[20:21]
	s_waitcnt vmcnt(5)
	v_lshrrev_b32_e32 v156, 16, v24
	v_lshrrev_b32_e32 v155, 16, v25
	s_waitcnt vmcnt(4)
	v_lshrrev_b32_e32 v154, 16, v12
	s_waitcnt vmcnt(3)
	v_lshrrev_b32_e32 v153, 16, v48
	v_lshrrev_b32_e32 v152, 16, v49
	s_waitcnt vmcnt(2)
	v_lshrrev_b32_e32 v109, 16, v36
	;; [unrolled: 5-line block ×3, first 2 shown]
	v_perm_b32 v158, v75, v63, s26
	v_perm_b32 v157, v74, v62, s26
	;; [unrolled: 1-line block ×12, first 2 shown]
.LBB31_17:                              ;   in Loop: Header=BB31_10 Depth=2
	s_or_b64 exec, exec, s[18:19]
	s_waitcnt vmcnt(5)
	v_lshrrev_b32_e32 v160, 16, v28
	v_lshrrev_b32_e32 v159, 16, v29
	v_lshrrev_b32_e32 v119, 16, v30
	s_waitcnt vmcnt(4)
	v_lshrrev_b32_e32 v118, 16, v16
	v_lshrrev_b32_e32 v117, 16, v17
	s_waitcnt vmcnt(3)
	v_lshrrev_b32_e32 v116, 16, v40
	v_lshrrev_b32_e32 v115, 16, v41
	v_lshrrev_b32_e32 v114, 16, v42
	s_waitcnt vmcnt(2)
	v_lshrrev_b32_e32 v113, 16, v32
	v_lshrrev_b32_e32 v112, 16, v33
	;; [unrolled: 7-line block ×3, first 2 shown]
	v_perm_b32 v161, v67, v59, s26
	v_perm_b32 v67, v67, v59, s27
	;; [unrolled: 1-line block ×6, first 2 shown]
.LBB31_18:                              ;   in Loop: Header=BB31_10 Depth=2
	s_or_b64 exec, exec, s[16:17]
	s_and_saveexec_b64 s[4:5], vcc
	s_cbranch_execz .LBB31_9
; %bb.19:                               ;   in Loop: Header=BB31_10 Depth=2
	v_lshlrev_b32_e32 v98, 16, v8
	v_lshlrev_b32_e32 v165, 16, v28
	;; [unrolled: 1-line block ×3, first 2 shown]
	v_and_b32_e32 v162, 0xffff0000, v8
	v_lshlrev_b32_e32 v167, 16, v160
	v_lshlrev_b32_e32 v168, 16, v9
	;; [unrolled: 1-line block ×3, first 2 shown]
	v_pk_mul_f32 v[164:165], v[98:99], v[164:165] op_sel_hi:[0,1]
	v_lshlrev_b32_e32 v181, 16, v29
	v_lshlrev_b32_e32 v180, 16, v17
	v_and_b32_e32 v170, 0xffff0000, v9
	v_pk_mul_f32 v[166:167], v[162:163], v[166:167] op_sel_hi:[0,1]
	v_pk_fma_f32 v[164:165], v[180:181], v[168:169], v[164:165] op_sel_hi:[1,0,1]
	v_lshlrev_b32_e32 v181, 16, v159
	v_lshlrev_b32_e32 v180, 16, v117
	;; [unrolled: 1-line block ×3, first 2 shown]
	v_pk_fma_f32 v[166:167], v[180:181], v[170:171], v[166:167] op_sel_hi:[1,0,1]
	v_lshlrev_b32_e32 v181, 16, v30
	v_lshlrev_b32_e32 v180, 16, v18
	v_and_b32_e32 v174, 0xffff0000, v10
	v_pk_fma_f32 v[164:165], v[180:181], v[172:173], v[164:165] op_sel_hi:[1,0,1]
	v_and_b32_e32 v180, 0xffff0000, v18
	v_lshlrev_b32_e32 v181, 16, v119
	v_lshlrev_b32_e32 v176, 16, v11
	v_pk_fma_f32 v[166:167], v[180:181], v[174:175], v[166:167] op_sel_hi:[1,0,1]
	v_and_b32_e32 v181, 0xffff0000, v35
	v_lshlrev_b32_e32 v180, 16, v35
	v_and_b32_e32 v178, 0xffff0000, v11
	v_pk_fma_f32 v[164:165], v[180:181], v[176:177], v[164:165] op_sel_hi:[1,0,1]
	v_and_b32_e32 v181, 0xffff0000, v19
	v_lshlrev_b32_e32 v180, 16, v19
	v_pk_fma_f32 v[166:167], v[180:181], v[178:179], v[166:167] op_sel_hi:[1,0,1]
	v_lshlrev_b32_e32 v181, 16, v41
	v_pk_add_f32 v[164:165], v[164:165], v[166:167]
	v_lshlrev_b32_e32 v167, 16, v116
	v_pk_add_f32 v[104:105], v[164:165], v[104:105]
	v_lshlrev_b32_e32 v165, 16, v40
	v_lshlrev_b32_e32 v164, 16, v32
	;; [unrolled: 1-line block ×3, first 2 shown]
	v_pk_mul_f32 v[164:165], v[98:99], v[164:165] op_sel_hi:[0,1]
	v_lshlrev_b32_e32 v180, 16, v33
	v_pk_mul_f32 v[166:167], v[162:163], v[166:167] op_sel_hi:[0,1]
	v_pk_fma_f32 v[164:165], v[180:181], v[168:169], v[164:165] op_sel_hi:[1,0,1]
	v_lshlrev_b32_e32 v181, 16, v115
	v_lshlrev_b32_e32 v180, 16, v112
	v_pk_fma_f32 v[166:167], v[180:181], v[170:171], v[166:167] op_sel_hi:[1,0,1]
	v_lshlrev_b32_e32 v181, 16, v42
	v_lshlrev_b32_e32 v180, 16, v34
	v_pk_fma_f32 v[164:165], v[180:181], v[172:173], v[164:165] op_sel_hi:[1,0,1]
	v_and_b32_e32 v180, 0xffff0000, v34
	v_lshlrev_b32_e32 v181, 16, v114
	v_pk_fma_f32 v[166:167], v[180:181], v[174:175], v[166:167] op_sel_hi:[1,0,1]
	v_and_b32_e32 v181, 0xffff0000, v59
	;; [unrolled: 3-line block ×3, first 2 shown]
	v_lshlrev_b32_e32 v180, 16, v43
	v_pk_fma_f32 v[166:167], v[180:181], v[178:179], v[166:167] op_sel_hi:[1,0,1]
	v_cmp_gt_u32_e32 vcc, s6, v108
	v_pk_add_f32 v[164:165], v[164:165], v[166:167]
	v_lshlrev_b32_e32 v167, 16, v111
	v_pk_add_f32 v[102:103], v[164:165], v[102:103]
	v_lshlrev_b32_e32 v165, 16, v64
	v_lshlrev_b32_e32 v164, 16, v56
	;; [unrolled: 1-line block ×3, first 2 shown]
	v_pk_mul_f32 v[164:165], v[98:99], v[164:165] op_sel_hi:[0,1]
	v_pk_mul_f32 v[162:163], v[162:163], v[166:167] op_sel_hi:[0,1]
	v_lshlrev_b32_e32 v167, 16, v65
	v_lshlrev_b32_e32 v166, 16, v57
	v_pk_fma_f32 v[164:165], v[166:167], v[168:169], v[164:165] op_sel_hi:[1,0,1]
	v_lshlrev_b32_e32 v167, 16, v110
	v_lshlrev_b32_e32 v166, 16, v26
	v_pk_fma_f32 v[162:163], v[166:167], v[170:171], v[162:163] op_sel_hi:[1,0,1]
	;; [unrolled: 3-line block ×3, first 2 shown]
	v_and_b32_e32 v166, 0xffff0000, v58
	v_lshlrev_b32_e32 v167, 16, v107
	v_pk_fma_f32 v[162:163], v[166:167], v[174:175], v[162:163] op_sel_hi:[1,0,1]
	v_and_b32_e32 v167, 0xffff0000, v161
	v_lshlrev_b32_e32 v166, 16, v161
	v_pk_fma_f32 v[164:165], v[166:167], v[176:177], v[164:165] op_sel_hi:[1,0,1]
	;; [unrolled: 3-line block ×3, first 2 shown]
	s_nop 0
	v_pk_add_f32 v[162:163], v[164:165], v[162:163]
	s_nop 0
	v_pk_add_f32 v[100:101], v[162:163], v[100:101]
	s_and_saveexec_b64 s[16:17], vcc
	s_cbranch_execz .LBB31_8
; %bb.20:                               ;   in Loop: Header=BB31_10 Depth=2
	v_lshlrev_b32_e32 v98, 16, v4
	v_lshlrev_b32_e32 v175, 16, v24
	;; [unrolled: 1-line block ×3, first 2 shown]
	v_and_b32_e32 v108, 0xffff0000, v4
	v_lshlrev_b32_e32 v162, 16, v5
	v_pk_mul_f32 v[174:175], v[98:99], v[174:175] op_sel_hi:[0,1]
	v_lshlrev_b32_e32 v177, 16, v156
	v_lshlrev_b32_e32 v176, 16, v154
	v_lshlrev_b32_e32 v179, 16, v25
	v_lshlrev_b32_e32 v178, 16, v13
	v_and_b32_e32 v164, 0xffff0000, v5
	v_pk_mul_f32 v[176:177], v[108:109], v[176:177] op_sel_hi:[0,1]
	v_pk_fma_f32 v[174:175], v[178:179], v[162:163], v[174:175] op_sel_hi:[1,0,1]
	v_and_b32_e32 v178, 0xffff0000, v13
	v_lshlrev_b32_e32 v179, 16, v155
	v_lshlrev_b32_e32 v166, 16, v6
	v_pk_fma_f32 v[176:177], v[178:179], v[164:165], v[176:177] op_sel_hi:[1,0,1]
	v_and_b32_e32 v179, 0xffff0000, v38
	v_lshlrev_b32_e32 v178, 16, v38
	v_and_b32_e32 v168, 0xffff0000, v6
	v_pk_fma_f32 v[174:175], v[178:179], v[166:167], v[174:175] op_sel_hi:[1,0,1]
	v_and_b32_e32 v179, 0xffff0000, v14
	v_lshlrev_b32_e32 v178, 16, v14
	v_lshlrev_b32_e32 v170, 16, v7
	v_pk_fma_f32 v[176:177], v[178:179], v[168:169], v[176:177] op_sel_hi:[1,0,1]
	v_and_b32_e32 v179, 0xffff0000, v50
	v_lshlrev_b32_e32 v178, 16, v50
	v_and_b32_e32 v172, 0xffff0000, v7
	v_pk_fma_f32 v[174:175], v[178:179], v[170:171], v[174:175] op_sel_hi:[1,0,1]
	v_and_b32_e32 v179, 0xffff0000, v15
	v_lshlrev_b32_e32 v178, 16, v15
	v_pk_fma_f32 v[176:177], v[178:179], v[172:173], v[176:177] op_sel_hi:[1,0,1]
	v_lshlrev_b32_e32 v179, 16, v49
	v_pk_add_f32 v[174:175], v[174:175], v[176:177]
	v_lshlrev_b32_e32 v177, 16, v153
	v_pk_add_f32 v[104:105], v[174:175], v[104:105]
	v_lshlrev_b32_e32 v175, 16, v48
	v_lshlrev_b32_e32 v174, 16, v36
	v_pk_mul_f32 v[174:175], v[98:99], v[174:175] op_sel_hi:[0,1]
	v_lshlrev_b32_e32 v176, 16, v109
	v_lshlrev_b32_e32 v178, 16, v37
	v_pk_mul_f32 v[176:177], v[108:109], v[176:177] op_sel_hi:[0,1]
	v_pk_fma_f32 v[174:175], v[178:179], v[162:163], v[174:175] op_sel_hi:[1,0,1]
	v_and_b32_e32 v178, 0xffff0000, v37
	v_lshlrev_b32_e32 v179, 16, v152
	v_pk_fma_f32 v[176:177], v[178:179], v[164:165], v[176:177] op_sel_hi:[1,0,1]
	v_and_b32_e32 v179, 0xffff0000, v62
	v_lshlrev_b32_e32 v178, 16, v62
	;; [unrolled: 3-line block ×5, first 2 shown]
	v_pk_fma_f32 v[176:177], v[178:179], v[172:173], v[176:177] op_sel_hi:[1,0,1]
	v_lshlrev_b32_e32 v179, 16, v73
	v_pk_add_f32 v[174:175], v[174:175], v[176:177]
	v_lshlrev_b32_e32 v177, 16, v55
	v_pk_add_f32 v[102:103], v[174:175], v[102:103]
	v_lshlrev_b32_e32 v175, 16, v72
	v_lshlrev_b32_e32 v174, 16, v60
	v_pk_mul_f32 v[174:175], v[98:99], v[174:175] op_sel_hi:[0,1]
	v_lshlrev_b32_e32 v176, 16, v22
	v_lshlrev_b32_e32 v178, 16, v61
	v_pk_mul_f32 v[176:177], v[108:109], v[176:177] op_sel_hi:[0,1]
	v_pk_fma_f32 v[162:163], v[178:179], v[162:163], v[174:175] op_sel_hi:[1,0,1]
	v_and_b32_e32 v174, 0xffff0000, v61
	v_lshlrev_b32_e32 v175, 16, v53
	v_pk_fma_f32 v[164:165], v[174:175], v[164:165], v[176:177] op_sel_hi:[1,0,1]
	v_and_b32_e32 v175, 0xffff0000, v157
	v_lshlrev_b32_e32 v174, 16, v157
	;; [unrolled: 3-line block ×5, first 2 shown]
	v_pk_fma_f32 v[164:165], v[166:167], v[172:173], v[164:165] op_sel_hi:[1,0,1]
	v_add_u32_e32 v31, 0x400, v106
	v_pk_add_f32 v[162:163], v[162:163], v[164:165]
	v_cmp_gt_u32_e32 vcc, s6, v31
	v_pk_add_f32 v[100:101], v[162:163], v[100:101]
	s_and_saveexec_b64 s[18:19], vcc
	s_cbranch_execz .LBB31_7
; %bb.21:                               ;   in Loop: Header=BB31_10 Depth=2
	v_lshlrev_b32_e32 v98, 16, v0
	v_lshlrev_b32_e32 v175, 16, v20
	;; [unrolled: 1-line block ×3, first 2 shown]
	v_and_b32_e32 v108, 0xffff0000, v0
	v_lshlrev_b32_e32 v162, 16, v1
	v_pk_mul_f32 v[174:175], v[98:99], v[174:175] op_sel_hi:[0,1]
	v_and_b32_e32 v176, 0xffff0000, v52
	v_lshlrev_b32_e32 v177, 16, v148
	v_and_b32_e32 v179, 0xffff0000, v46
	v_lshlrev_b32_e32 v178, 16, v46
	v_and_b32_e32 v164, 0xffff0000, v1
	v_pk_mul_f32 v[176:177], v[108:109], v[176:177] op_sel_hi:[0,1]
	v_pk_fma_f32 v[174:175], v[178:179], v[162:163], v[174:175] op_sel_hi:[1,0,1]
	v_and_b32_e32 v179, 0xffff0000, v21
	v_lshlrev_b32_e32 v178, 16, v21
	v_lshlrev_b32_e32 v166, 16, v2
	v_pk_fma_f32 v[176:177], v[178:179], v[164:165], v[176:177] op_sel_hi:[1,0,1]
	v_and_b32_e32 v179, 0xffff0000, v78
	v_lshlrev_b32_e32 v178, 16, v78
	v_and_b32_e32 v168, 0xffff0000, v2
	v_pk_fma_f32 v[174:175], v[178:179], v[166:167], v[174:175] op_sel_hi:[1,0,1]
	v_and_b32_e32 v179, 0xffff0000, v54
	v_lshlrev_b32_e32 v178, 16, v54
	v_lshlrev_b32_e32 v170, 16, v3
	v_pk_fma_f32 v[176:177], v[178:179], v[168:169], v[176:177] op_sel_hi:[1,0,1]
	v_and_b32_e32 v179, 0xffff0000, v45
	v_lshlrev_b32_e32 v178, 16, v45
	v_and_b32_e32 v172, 0xffff0000, v3
	v_pk_fma_f32 v[174:175], v[178:179], v[170:171], v[174:175] op_sel_hi:[1,0,1]
	v_and_b32_e32 v179, 0xffff0000, v23
	v_lshlrev_b32_e32 v178, 16, v23
	v_pk_fma_f32 v[176:177], v[178:179], v[172:173], v[176:177] op_sel_hi:[1,0,1]
	v_and_b32_e32 v179, 0xffff0000, v70
	v_pk_add_f32 v[174:175], v[174:175], v[176:177]
	v_and_b32_e32 v176, 0xffff0000, v76
	v_pk_add_f32 v[104:105], v[174:175], v[104:105]
	v_lshlrev_b32_e32 v175, 16, v44
	v_lshlrev_b32_e32 v174, 16, v76
	v_pk_mul_f32 v[174:175], v[98:99], v[174:175] op_sel_hi:[0,1]
	v_lshlrev_b32_e32 v177, 16, v147
	v_lshlrev_b32_e32 v178, 16, v70
	v_pk_mul_f32 v[176:177], v[108:109], v[176:177] op_sel_hi:[0,1]
	v_pk_fma_f32 v[174:175], v[178:179], v[162:163], v[174:175] op_sel_hi:[1,0,1]
	v_and_b32_e32 v179, 0xffff0000, v77
	v_lshlrev_b32_e32 v178, 16, v77
	v_pk_fma_f32 v[176:177], v[178:179], v[164:165], v[176:177] op_sel_hi:[1,0,1]
	v_and_b32_e32 v179, 0xffff0000, v86
	v_lshlrev_b32_e32 v178, 16, v86
	;; [unrolled: 3-line block ×5, first 2 shown]
	v_pk_fma_f32 v[176:177], v[178:179], v[172:173], v[176:177] op_sel_hi:[1,0,1]
	v_and_b32_e32 v179, 0xffff0000, v150
	v_pk_add_f32 v[174:175], v[174:175], v[176:177]
	v_and_b32_e32 v176, 0xffff0000, v84
	v_pk_add_f32 v[102:103], v[174:175], v[102:103]
	v_lshlrev_b32_e32 v175, 16, v68
	v_lshlrev_b32_e32 v174, 16, v84
	v_pk_mul_f32 v[174:175], v[98:99], v[174:175] op_sel_hi:[0,1]
	v_lshlrev_b32_e32 v177, 16, v120
	v_lshlrev_b32_e32 v178, 16, v150
	v_pk_mul_f32 v[176:177], v[108:109], v[176:177] op_sel_hi:[0,1]
	v_pk_fma_f32 v[162:163], v[178:179], v[162:163], v[174:175] op_sel_hi:[1,0,1]
	v_and_b32_e32 v175, 0xffff0000, v85
	v_lshlrev_b32_e32 v174, 16, v85
	v_pk_fma_f32 v[164:165], v[174:175], v[164:165], v[176:177] op_sel_hi:[1,0,1]
	v_and_b32_e32 v175, 0xffff0000, v151
	v_lshlrev_b32_e32 v174, 16, v151
	;; [unrolled: 3-line block ×5, first 2 shown]
	v_pk_fma_f32 v[164:165], v[166:167], v[172:173], v[164:165] op_sel_hi:[1,0,1]
	v_add_u32_e32 v31, 0x600, v106
	v_pk_add_f32 v[162:163], v[162:163], v[164:165]
	v_cmp_gt_u32_e32 vcc, s6, v31
	v_pk_add_f32 v[100:101], v[162:163], v[100:101]
	s_and_saveexec_b64 s[20:21], vcc
	s_cbranch_execz .LBB31_6
; %bb.22:                               ;   in Loop: Header=BB31_10 Depth=2
	v_lshlrev_b32_e32 v98, 16, v80
	v_and_b32_e32 v173, 0xffff0000, v135
	v_lshlrev_b32_e32 v172, 16, v135
	v_and_b32_e32 v106, 0xffff0000, v80
	v_lshlrev_b32_e32 v108, 16, v81
	v_pk_mul_f32 v[172:173], v[98:99], v[172:173] op_sel_hi:[0,1]
	v_and_b32_e32 v175, 0xffff0000, v138
	v_lshlrev_b32_e32 v174, 16, v138
	v_and_b32_e32 v177, 0xffff0000, v139
	v_lshlrev_b32_e32 v176, 16, v139
	v_and_b32_e32 v162, 0xffff0000, v81
	v_pk_mul_f32 v[174:175], v[106:107], v[174:175] op_sel_hi:[0,1]
	v_pk_fma_f32 v[172:173], v[176:177], v[108:109], v[172:173] op_sel_hi:[1,0,1]
	v_and_b32_e32 v177, 0xffff0000, v140
	v_lshlrev_b32_e32 v176, 16, v140
	v_lshlrev_b32_e32 v164, 16, v82
	v_pk_fma_f32 v[174:175], v[176:177], v[162:163], v[174:175] op_sel_hi:[1,0,1]
	v_and_b32_e32 v177, 0xffff0000, v125
	v_lshlrev_b32_e32 v176, 16, v125
	v_and_b32_e32 v166, 0xffff0000, v82
	v_pk_fma_f32 v[172:173], v[176:177], v[164:165], v[172:173] op_sel_hi:[1,0,1]
	v_and_b32_e32 v177, 0xffff0000, v131
	v_lshlrev_b32_e32 v176, 16, v131
	v_lshlrev_b32_e32 v168, 16, v83
	v_pk_fma_f32 v[174:175], v[176:177], v[166:167], v[174:175] op_sel_hi:[1,0,1]
	v_and_b32_e32 v177, 0xffff0000, v121
	v_lshlrev_b32_e32 v176, 16, v121
	v_and_b32_e32 v170, 0xffff0000, v83
	v_pk_fma_f32 v[172:173], v[176:177], v[168:169], v[172:173] op_sel_hi:[1,0,1]
	v_and_b32_e32 v177, 0xffff0000, v129
	v_lshlrev_b32_e32 v176, 16, v129
	v_pk_fma_f32 v[174:175], v[176:177], v[170:171], v[174:175] op_sel_hi:[1,0,1]
	v_and_b32_e32 v177, 0xffff0000, v143
	v_pk_add_f32 v[172:173], v[172:173], v[174:175]
	v_and_b32_e32 v175, 0xffff0000, v137
	v_pk_add_f32 v[104:105], v[172:173], v[104:105]
	v_and_b32_e32 v173, 0xffff0000, v136
	v_lshlrev_b32_e32 v172, 16, v136
	v_pk_mul_f32 v[172:173], v[98:99], v[172:173] op_sel_hi:[0,1]
	v_lshlrev_b32_e32 v174, 16, v137
	v_lshlrev_b32_e32 v176, 16, v143
	v_pk_mul_f32 v[174:175], v[106:107], v[174:175] op_sel_hi:[0,1]
	v_pk_fma_f32 v[172:173], v[176:177], v[108:109], v[172:173] op_sel_hi:[1,0,1]
	v_and_b32_e32 v177, 0xffff0000, v144
	v_lshlrev_b32_e32 v176, 16, v144
	v_pk_fma_f32 v[174:175], v[176:177], v[162:163], v[174:175] op_sel_hi:[1,0,1]
	v_and_b32_e32 v177, 0xffff0000, v127
	v_lshlrev_b32_e32 v176, 16, v127
	v_pk_fma_f32 v[172:173], v[176:177], v[164:165], v[172:173] op_sel_hi:[1,0,1]
	v_and_b32_e32 v177, 0xffff0000, v133
	v_lshlrev_b32_e32 v176, 16, v133
	v_pk_fma_f32 v[174:175], v[176:177], v[166:167], v[174:175] op_sel_hi:[1,0,1]
	v_and_b32_e32 v177, 0xffff0000, v124
	v_lshlrev_b32_e32 v176, 16, v124
	v_pk_fma_f32 v[172:173], v[176:177], v[168:169], v[172:173] op_sel_hi:[1,0,1]
	v_and_b32_e32 v177, 0xffff0000, v130
	v_lshlrev_b32_e32 v176, 16, v130
	v_pk_fma_f32 v[174:175], v[176:177], v[170:171], v[174:175] op_sel_hi:[1,0,1]
	v_and_b32_e32 v177, 0xffff0000, v145
	v_pk_add_f32 v[172:173], v[172:173], v[174:175]
	v_and_b32_e32 v175, 0xffff0000, v142
	v_pk_add_f32 v[102:103], v[172:173], v[102:103]
	v_and_b32_e32 v173, 0xffff0000, v141
	v_lshlrev_b32_e32 v172, 16, v141
	v_pk_mul_f32 v[172:173], v[98:99], v[172:173] op_sel_hi:[0,1]
	v_lshlrev_b32_e32 v174, 16, v142
	v_lshlrev_b32_e32 v176, 16, v145
	v_pk_mul_f32 v[174:175], v[106:107], v[174:175] op_sel_hi:[0,1]
	v_pk_fma_f32 v[172:173], v[176:177], v[108:109], v[172:173] op_sel_hi:[1,0,1]
	v_and_b32_e32 v177, 0xffff0000, v146
	v_lshlrev_b32_e32 v176, 16, v146
	v_pk_fma_f32 v[162:163], v[176:177], v[162:163], v[174:175] op_sel_hi:[1,0,1]
	v_and_b32_e32 v175, 0xffff0000, v128
	v_lshlrev_b32_e32 v174, 16, v128
	;; [unrolled: 3-line block ×5, first 2 shown]
	v_pk_fma_f32 v[162:163], v[166:167], v[170:171], v[162:163] op_sel_hi:[1,0,1]
	s_nop 0
	v_pk_add_f32 v[162:163], v[164:165], v[162:163]
	s_nop 0
	v_pk_add_f32 v[100:101], v[162:163], v[100:101]
	s_branch .LBB31_6
.LBB31_23:                              ;   in Loop: Header=BB31_4 Depth=1
	v_lshrrev_b32_e32 v31, 16, v23
	v_lshrrev_b32_e32 v93, 16, v45
	;; [unrolled: 1-line block ×12, first 2 shown]
	s_branch .LBB31_25
.LBB31_24:                              ;   in Loop: Header=BB31_4 Depth=1
	v_lshrrev_b32_e32 v167, 16, v128
	v_lshrrev_b32_e32 v166, 16, v134
	;; [unrolled: 1-line block ×12, first 2 shown]
	v_mov_b32_e32 v105, v99
	v_mov_b32_e32 v104, v99
	v_mov_b32_e32 v103, v99
	v_mov_b32_e32 v102, v99
	v_mov_b32_e32 v101, v99
	v_mov_b32_e32 v100, v99
.LBB31_25:                              ;   in Loop: Header=BB31_4 Depth=1
	;;#ASMSTART
	s_nop 0
	v_add_f32 v105, v105, v105 row_shr:8 bound_ctrl:0 
	;;#ASMEND
	;;#ASMSTART
	s_nop 0
	v_add_f32 v104, v104, v104 row_shr:8 bound_ctrl:0 
	;;#ASMEND
	;;#ASMSTART
	s_nop 0
	v_add_f32 v103, v103, v103 row_shr:8 bound_ctrl:0 
	;;#ASMEND
	;;#ASMSTART
	s_nop 0
	v_add_f32 v102, v102, v102 row_shr:8 bound_ctrl:0 
	;;#ASMEND
	;;#ASMSTART
	s_nop 0
	v_add_f32 v101, v101, v101 row_shr:8 bound_ctrl:0 
	;;#ASMEND
	;;#ASMSTART
	s_nop 0
	v_add_f32 v100, v100, v100 row_shr:8 bound_ctrl:0 
	;;#ASMEND
	s_nop 0
	;;#ASMSTART
	s_nop 0
	v_add_f32 v105, v105, v105 row_shr:4 bound_ctrl:0 
	;;#ASMEND
	;;#ASMSTART
	s_nop 0
	v_add_f32 v104, v104, v104 row_shr:4 bound_ctrl:0 
	;;#ASMEND
	;;#ASMSTART
	s_nop 0
	v_add_f32 v103, v103, v103 row_shr:4 bound_ctrl:0 
	;;#ASMEND
	;;#ASMSTART
	s_nop 0
	v_add_f32 v102, v102, v102 row_shr:4 bound_ctrl:0 
	;;#ASMEND
	;;#ASMSTART
	s_nop 0
	v_add_f32 v101, v101, v101 row_shr:4 bound_ctrl:0 
	;;#ASMEND
	;;#ASMSTART
	s_nop 0
	v_add_f32 v100, v100, v100 row_shr:4 bound_ctrl:0 
	;;#ASMEND
	s_nop 0
	;; [unrolled: 25-line block ×3, first 2 shown]
	;;#ASMSTART
	s_nop 0
	v_add_f32 v105, v105, v105 wave_shr:1 bound_ctrl:0
	;;#ASMEND
	;;#ASMSTART
	s_nop 0
	v_add_f32 v104, v104, v104 wave_shr:1 bound_ctrl:0
	;;#ASMEND
	;; [unrolled: 4-line block ×6, first 2 shown]
	s_nop 0
	;;#ASMSTART
	s_nop 0
	v_add_f32 v105, v105, v105 row_bcast:15 bound_ctrl:0
	;;#ASMEND
	;;#ASMSTART
	s_nop 0
	v_add_f32 v104, v104, v104 row_bcast:15 bound_ctrl:0
	;;#ASMEND
	;;#ASMSTART
	s_nop 0
	v_add_f32 v103, v103, v103 row_bcast:15 bound_ctrl:0
	;;#ASMEND
	;;#ASMSTART
	s_nop 0
	v_add_f32 v102, v102, v102 row_bcast:15 bound_ctrl:0
	;;#ASMEND
	;;#ASMSTART
	s_nop 0
	v_add_f32 v101, v101, v101 row_bcast:15 bound_ctrl:0
	;;#ASMEND
	;;#ASMSTART
	s_nop 0
	v_add_f32 v100, v100, v100 row_bcast:15 bound_ctrl:0
	;;#ASMEND
	s_nop 0
	;;#ASMSTART
	s_nop 0
	v_add_f32 v105, v105, v105 row_bcast:31 bound_ctrl:0
	;;#ASMEND
	;;#ASMSTART
	s_nop 0
	v_add_f32 v104, v104, v104 row_bcast:31 bound_ctrl:0
	;;#ASMEND
	;; [unrolled: 4-line block ×6, first 2 shown]
	s_and_saveexec_b64 s[4:5], s[0:1]
	s_cbranch_execz .LBB31_3
; %bb.26:                               ;   in Loop: Header=BB31_4 Depth=1
	v_and_b32_e32 v89, 0x7f800000, v105
	v_cmp_ne_u32_e32 vcc, s28, v89
                                        ; implicit-def: $vgpr98
	s_and_saveexec_b64 s[16:17], vcc
	s_xor_b64 s[16:17], exec, s[16:17]
; %bb.27:                               ;   in Loop: Header=BB31_4 Depth=1
	v_bfe_u32 v89, v105, 16, 1
	v_add3_u32 v98, v105, v89, s29
; %bb.28:                               ;   in Loop: Header=BB31_4 Depth=1
	s_andn2_saveexec_b64 s[16:17], s[16:17]
; %bb.29:                               ;   in Loop: Header=BB31_4 Depth=1
	v_or_b32_e32 v89, 0x10000, v105
	v_cmp_eq_u32_sdwa vcc, v105, v99 src0_sel:WORD_0 src1_sel:DWORD
	s_nop 1
	v_cndmask_b32_e32 v98, v89, v105, vcc
; %bb.30:                               ;   in Loop: Header=BB31_4 Depth=1
	s_or_b64 exec, exec, s[16:17]
	v_mov_b32_e32 v89, v99
	s_waitcnt lgkmcnt(0)
	v_lshl_add_u64 v[168:169], v[88:89], 1, s[12:13]
	v_and_b32_e32 v89, 0x7f800000, v104
	v_cmp_ne_u32_e32 vcc, s28, v89
	global_store_short_d16_hi v[168:169], v98, off
                                        ; implicit-def: $vgpr89
	s_and_saveexec_b64 s[16:17], vcc
	s_xor_b64 s[16:17], exec, s[16:17]
; %bb.31:                               ;   in Loop: Header=BB31_4 Depth=1
	v_bfe_u32 v89, v104, 16, 1
	v_add3_u32 v89, v104, v89, s29
                                        ; implicit-def: $vgpr104
; %bb.32:                               ;   in Loop: Header=BB31_4 Depth=1
	s_andn2_saveexec_b64 s[16:17], s[16:17]
; %bb.33:                               ;   in Loop: Header=BB31_4 Depth=1
	v_or_b32_e32 v89, 0x10000, v104
	v_cmp_eq_u32_sdwa vcc, v104, v99 src0_sel:WORD_0 src1_sel:DWORD
	s_nop 1
	v_cndmask_b32_e32 v89, v89, v104, vcc
; %bb.34:                               ;   in Loop: Header=BB31_4 Depth=1
	s_or_b64 exec, exec, s[16:17]
	v_add_u32_e32 v98, s7, v88
	v_lshl_add_u64 v[104:105], v[98:99], 1, s[12:13]
	global_store_short_d16_hi v[104:105], v89, off
	v_and_b32_e32 v89, 0x7f800000, v103
	v_cmp_ne_u32_e32 vcc, s28, v89
                                        ; implicit-def: $vgpr89
	s_and_saveexec_b64 s[16:17], vcc
	s_xor_b64 s[16:17], exec, s[16:17]
; %bb.35:                               ;   in Loop: Header=BB31_4 Depth=1
	v_bfe_u32 v89, v103, 16, 1
	v_add3_u32 v89, v103, v89, s29
; %bb.36:                               ;   in Loop: Header=BB31_4 Depth=1
	s_andn2_saveexec_b64 s[16:17], s[16:17]
; %bb.37:                               ;   in Loop: Header=BB31_4 Depth=1
	v_or_b32_e32 v89, 0x10000, v103
	v_cmp_eq_u32_sdwa vcc, v103, v99 src0_sel:WORD_0 src1_sel:DWORD
	s_nop 1
	v_cndmask_b32_e32 v89, v89, v103, vcc
; %bb.38:                               ;   in Loop: Header=BB31_4 Depth=1
	s_or_b64 exec, exec, s[16:17]
	v_add_u32_e32 v98, s7, v98
	v_lshl_add_u64 v[104:105], v[98:99], 1, s[12:13]
	global_store_short_d16_hi v[104:105], v89, off
	v_and_b32_e32 v89, 0x7f800000, v102
	v_cmp_ne_u32_e32 vcc, s28, v89
                                        ; implicit-def: $vgpr89
	s_and_saveexec_b64 s[16:17], vcc
	s_xor_b64 s[16:17], exec, s[16:17]
; %bb.39:                               ;   in Loop: Header=BB31_4 Depth=1
	v_bfe_u32 v89, v102, 16, 1
	v_add3_u32 v89, v102, v89, s29
                                        ; implicit-def: $vgpr102
; %bb.40:                               ;   in Loop: Header=BB31_4 Depth=1
	s_andn2_saveexec_b64 s[16:17], s[16:17]
; %bb.41:                               ;   in Loop: Header=BB31_4 Depth=1
	v_or_b32_e32 v89, 0x10000, v102
	v_cmp_eq_u32_sdwa vcc, v102, v99 src0_sel:WORD_0 src1_sel:DWORD
	s_nop 1
	v_cndmask_b32_e32 v89, v89, v102, vcc
; %bb.42:                               ;   in Loop: Header=BB31_4 Depth=1
	s_or_b64 exec, exec, s[16:17]
	v_add_u32_e32 v98, s7, v98
	v_lshl_add_u64 v[102:103], v[98:99], 1, s[12:13]
	global_store_short_d16_hi v[102:103], v89, off
	v_and_b32_e32 v89, 0x7f800000, v101
	v_cmp_ne_u32_e32 vcc, s28, v89
                                        ; implicit-def: $vgpr89
	s_and_saveexec_b64 s[16:17], vcc
	s_xor_b64 s[16:17], exec, s[16:17]
; %bb.43:                               ;   in Loop: Header=BB31_4 Depth=1
	v_bfe_u32 v89, v101, 16, 1
	v_add3_u32 v89, v101, v89, s29
; %bb.44:                               ;   in Loop: Header=BB31_4 Depth=1
	s_andn2_saveexec_b64 s[16:17], s[16:17]
; %bb.45:                               ;   in Loop: Header=BB31_4 Depth=1
	v_or_b32_e32 v89, 0x10000, v101
	v_cmp_eq_u32_sdwa vcc, v101, v99 src0_sel:WORD_0 src1_sel:DWORD
	s_nop 1
	v_cndmask_b32_e32 v89, v89, v101, vcc
; %bb.46:                               ;   in Loop: Header=BB31_4 Depth=1
	s_or_b64 exec, exec, s[16:17]
	v_add_u32_e32 v98, s7, v98
	v_lshl_add_u64 v[102:103], v[98:99], 1, s[12:13]
	global_store_short_d16_hi v[102:103], v89, off
	v_and_b32_e32 v89, 0x7f800000, v100
	v_cmp_ne_u32_e32 vcc, s28, v89
                                        ; implicit-def: $vgpr89
	s_and_saveexec_b64 s[16:17], vcc
	s_xor_b64 s[16:17], exec, s[16:17]
; %bb.47:                               ;   in Loop: Header=BB31_4 Depth=1
	v_bfe_u32 v89, v100, 16, 1
	v_add3_u32 v89, v100, v89, s29
                                        ; implicit-def: $vgpr100
; %bb.48:                               ;   in Loop: Header=BB31_4 Depth=1
	s_andn2_saveexec_b64 s[16:17], s[16:17]
	s_cbranch_execz .LBB31_2
; %bb.49:                               ;   in Loop: Header=BB31_4 Depth=1
	v_or_b32_e32 v89, 0x10000, v100
	v_cmp_eq_u32_sdwa vcc, v100, v99 src0_sel:WORD_0 src1_sel:DWORD
	s_nop 1
	v_cndmask_b32_e32 v89, v89, v100, vcc
	s_branch .LBB31_2
.LBB31_50:
	s_endpgm
	.section	.rodata,"a",@progbits
	.p2align	6, 0x0
	.amdhsa_kernel _ZN5aiter32wv_splitk_small_fp16_bf16_kernelI14__hip_bfloat16Li64ELi1ELi1ELi8ELi4ELi6EEEviiPKT_S4_PS2_ii
		.amdhsa_group_segment_fixed_size 0
		.amdhsa_private_segment_fixed_size 0
		.amdhsa_kernarg_size 40
		.amdhsa_user_sgpr_count 2
		.amdhsa_user_sgpr_dispatch_ptr 0
		.amdhsa_user_sgpr_queue_ptr 0
		.amdhsa_user_sgpr_kernarg_segment_ptr 1
		.amdhsa_user_sgpr_dispatch_id 0
		.amdhsa_user_sgpr_kernarg_preload_length 0
		.amdhsa_user_sgpr_kernarg_preload_offset 0
		.amdhsa_user_sgpr_private_segment_size 0
		.amdhsa_uses_dynamic_stack 0
		.amdhsa_enable_private_segment 0
		.amdhsa_system_sgpr_workgroup_id_x 1
		.amdhsa_system_sgpr_workgroup_id_y 0
		.amdhsa_system_sgpr_workgroup_id_z 0
		.amdhsa_system_sgpr_workgroup_info 0
		.amdhsa_system_vgpr_workitem_id 1
		.amdhsa_next_free_vgpr 182
		.amdhsa_next_free_sgpr 31
		.amdhsa_accum_offset 184
		.amdhsa_reserve_vcc 1
		.amdhsa_float_round_mode_32 0
		.amdhsa_float_round_mode_16_64 0
		.amdhsa_float_denorm_mode_32 3
		.amdhsa_float_denorm_mode_16_64 3
		.amdhsa_dx10_clamp 1
		.amdhsa_ieee_mode 1
		.amdhsa_fp16_overflow 0
		.amdhsa_tg_split 0
		.amdhsa_exception_fp_ieee_invalid_op 0
		.amdhsa_exception_fp_denorm_src 0
		.amdhsa_exception_fp_ieee_div_zero 0
		.amdhsa_exception_fp_ieee_overflow 0
		.amdhsa_exception_fp_ieee_underflow 0
		.amdhsa_exception_fp_ieee_inexact 0
		.amdhsa_exception_int_div_zero 0
	.end_amdhsa_kernel
	.section	.text._ZN5aiter32wv_splitk_small_fp16_bf16_kernelI14__hip_bfloat16Li64ELi1ELi1ELi8ELi4ELi6EEEviiPKT_S4_PS2_ii,"axG",@progbits,_ZN5aiter32wv_splitk_small_fp16_bf16_kernelI14__hip_bfloat16Li64ELi1ELi1ELi8ELi4ELi6EEEviiPKT_S4_PS2_ii,comdat
.Lfunc_end31:
	.size	_ZN5aiter32wv_splitk_small_fp16_bf16_kernelI14__hip_bfloat16Li64ELi1ELi1ELi8ELi4ELi6EEEviiPKT_S4_PS2_ii, .Lfunc_end31-_ZN5aiter32wv_splitk_small_fp16_bf16_kernelI14__hip_bfloat16Li64ELi1ELi1ELi8ELi4ELi6EEEviiPKT_S4_PS2_ii
                                        ; -- End function
	.section	.AMDGPU.csdata,"",@progbits
; Kernel info:
; codeLenInByte = 5464
; NumSgprs: 37
; NumVgprs: 182
; NumAgprs: 0
; TotalNumVgprs: 182
; ScratchSize: 0
; MemoryBound: 0
; FloatMode: 240
; IeeeMode: 1
; LDSByteSize: 0 bytes/workgroup (compile time only)
; SGPRBlocks: 4
; VGPRBlocks: 22
; NumSGPRsForWavesPerEU: 37
; NumVGPRsForWavesPerEU: 182
; AccumOffset: 184
; Occupancy: 2
; WaveLimiterHint : 0
; COMPUTE_PGM_RSRC2:SCRATCH_EN: 0
; COMPUTE_PGM_RSRC2:USER_SGPR: 2
; COMPUTE_PGM_RSRC2:TRAP_HANDLER: 0
; COMPUTE_PGM_RSRC2:TGID_X_EN: 1
; COMPUTE_PGM_RSRC2:TGID_Y_EN: 0
; COMPUTE_PGM_RSRC2:TGID_Z_EN: 0
; COMPUTE_PGM_RSRC2:TIDIG_COMP_CNT: 1
; COMPUTE_PGM_RSRC3_GFX90A:ACCUM_OFFSET: 45
; COMPUTE_PGM_RSRC3_GFX90A:TG_SPLIT: 0
	.section	.text._ZN5aiter32wv_splitk_small_fp16_bf16_kernelI14__hip_bfloat16Li64ELi1ELi1ELi8ELi4ELi7EEEviiPKT_S4_PS2_ii,"axG",@progbits,_ZN5aiter32wv_splitk_small_fp16_bf16_kernelI14__hip_bfloat16Li64ELi1ELi1ELi8ELi4ELi7EEEviiPKT_S4_PS2_ii,comdat
	.protected	_ZN5aiter32wv_splitk_small_fp16_bf16_kernelI14__hip_bfloat16Li64ELi1ELi1ELi8ELi4ELi7EEEviiPKT_S4_PS2_ii ; -- Begin function _ZN5aiter32wv_splitk_small_fp16_bf16_kernelI14__hip_bfloat16Li64ELi1ELi1ELi8ELi4ELi7EEEviiPKT_S4_PS2_ii
	.globl	_ZN5aiter32wv_splitk_small_fp16_bf16_kernelI14__hip_bfloat16Li64ELi1ELi1ELi8ELi4ELi7EEEviiPKT_S4_PS2_ii
	.p2align	8
	.type	_ZN5aiter32wv_splitk_small_fp16_bf16_kernelI14__hip_bfloat16Li64ELi1ELi1ELi8ELi4ELi7EEEviiPKT_S4_PS2_ii,@function
_ZN5aiter32wv_splitk_small_fp16_bf16_kernelI14__hip_bfloat16Li64ELi1ELi1ELi8ELi4ELi7EEEviiPKT_S4_PS2_ii: ; @_ZN5aiter32wv_splitk_small_fp16_bf16_kernelI14__hip_bfloat16Li64ELi1ELi1ELi8ELi4ELi7EEEviiPKT_S4_PS2_ii
; %bb.0:
	s_load_dwordx2 s[4:5], s[0:1], 0x20
	s_load_dwordx2 s[6:7], s[0:1], 0x0
	v_bfe_u32 v1, v0, 10, 10
	s_waitcnt lgkmcnt(0)
	s_mul_i32 s2, s2, s4
	v_add_u32_e32 v104, s2, v1
	v_cmp_gt_u32_e32 vcc, s7, v104
	s_and_saveexec_b64 s[2:3], vcc
	s_cbranch_execz .LBB32_54
; %bb.1:
	s_load_dwordx4 s[8:11], s[0:1], 0x8
	s_load_dwordx2 s[12:13], s[0:1], 0x18
	s_cmp_lg_u32 s6, 0
	v_and_b32_e32 v0, 0x3ff, v0
	v_lshlrev_b32_e32 v106, 3, v0
	s_cselect_b64 s[2:3], -1, 0
	v_cmp_eq_u32_e64 s[0:1], 63, v0
	s_mul_i32 s24, s5, s4
	v_lshl_add_u32 v107, s6, 1, v106
	v_cndmask_b32_e64 v0, 0, 1, s[2:3]
	s_mul_i32 s25, s24, s6
	v_lshl_add_u32 v142, s6, 2, v106
	v_add_u32_e32 v143, s6, v106
	s_mov_b64 s[14:15], 0
	s_mov_b32 s26, 0x5040100
	s_mov_b32 s27, 0x7060302
	s_mov_b32 s28, 0x7f800000
	s_movk_i32 s29, 0x7fff
	v_cmp_ne_u32_e64 s[2:3], 1, v0
	v_mad_u64_u32 v[108:109], s[4:5], s6, v104, v[106:107]
	v_mad_u64_u32 v[110:111], s[4:5], s6, 3, v[106:107]
	;; [unrolled: 1-line block ×4, first 2 shown]
	v_mov_b32_e32 v117, 0
                                        ; implicit-def: $vgpr14
                                        ; implicit-def: $vgpr38
                                        ; implicit-def: $vgpr39
                                        ; implicit-def: $vgpr140
                                        ; implicit-def: $vgpr85
                                        ; implicit-def: $vgpr87
                                        ; implicit-def: $vgpr125
                                        ; implicit-def: $vgpr128
                                        ; implicit-def: $vgpr129
                                        ; implicit-def: $vgpr127
                                        ; implicit-def: $vgpr130
                                        ; implicit-def: $vgpr131
                                        ; implicit-def: $vgpr167
                                        ; implicit-def: $vgpr172
                                        ; implicit-def: $vgpr173
                                        ; implicit-def: $vgpr132
                                        ; implicit-def: $vgpr133
                                        ; implicit-def: $vgpr134
                                        ; implicit-def: $vgpr174
                                        ; implicit-def: $vgpr135
                                        ; implicit-def: $vgpr136
                                        ; implicit-def: $vgpr168
                                        ; implicit-def: $vgpr175
                                        ; implicit-def: $vgpr176
                                        ; implicit-def: $vgpr137
                                        ; implicit-def: $vgpr138
                                        ; implicit-def: $vgpr139
                                        ; implicit-def: $vgpr146
                                        ; implicit-def: $vgpr148
                                        ; implicit-def: $vgpr152
                                        ; implicit-def: $vgpr154
                                        ; implicit-def: $vgpr169
                                        ; implicit-def: $vgpr59
                                        ; implicit-def: $vgpr144
                                        ; implicit-def: $vgpr147
                                        ; implicit-def: $vgpr150
                                        ; implicit-def: $vgpr153
                                        ; implicit-def: $vgpr57
                                        ; implicit-def: $vgpr27
                                        ; implicit-def: $vgpr141
                                        ; implicit-def: $vgpr145
                                        ; implicit-def: $vgpr149
                                        ; implicit-def: $vgpr151
                                        ; implicit-def: $vgpr25
                                        ; implicit-def: $vgpr15
                                        ; implicit-def: $vgpr23
                                        ; implicit-def: $vgpr35
                                        ; implicit-def: $vgpr18
                                        ; implicit-def: $vgpr30
                                        ; implicit-def: $vgpr13
                                        ; implicit-def: $vgpr26
                                        ; implicit-def: $vgpr158
                                        ; implicit-def: $vgpr155
                                        ; implicit-def: $vgpr75
                                        ; implicit-def: $vgpr67
                                        ; implicit-def: $vgpr31
                                        ; implicit-def: $vgpr62
                                        ; implicit-def: $vgpr89
                                        ; implicit-def: $vgpr58
                                        ; implicit-def: $vgpr157
                                        ; implicit-def: $vgpr156
                                        ; implicit-def: $vgpr83
                                        ; implicit-def: $vgpr179
                                        ; implicit-def: $vgpr63
                                        ; implicit-def: $vgpr177
                                        ; implicit-def: $vgpr93
                                        ; implicit-def: $vgpr170
                                        ; implicit-def: $vgpr162
                                        ; implicit-def: $vgpr161
                                        ; implicit-def: $vgpr19
                                        ; implicit-def: $vgpr70
                                        ; implicit-def: $vgpr86
                                        ; implicit-def: $vgpr90
                                        ; implicit-def: $vgpr160
                                        ; implicit-def: $vgpr159
                                        ; implicit-def: $vgpr71
                                        ; implicit-def: $vgpr78
                                        ; implicit-def: $vgpr91
                                        ; implicit-def: $vgpr94
                                        ; implicit-def: $vgpr164
                                        ; implicit-def: $vgpr163
                                        ; implicit-def: $vgpr79
                                        ; implicit-def: $vgpr178
                                        ; implicit-def: $vgpr95
                                        ; implicit-def: $vgpr171
                                        ; implicit-def: $vgpr166
                                        ; implicit-def: $vgpr165
                                        ; implicit-def: $vgpr76
                                        ; implicit-def: $vgpr81
                                        ; implicit-def: $vgpr56
                                        ; implicit-def: $vgpr61
                                        ; implicit-def: $vgpr66
                                        ; implicit-def: $vgpr68
                                        ; implicit-def: $vgpr73
                                        ; implicit-def: $vgpr24
                                        ; implicit-def: $vgpr29
                                        ; implicit-def: $vgpr34
                                        ; implicit-def: $vgpr36
                                        ; implicit-def: $vgpr41
                                        ; implicit-def: $vgpr12
                                        ; implicit-def: $vgpr17
                                        ; implicit-def: $vgpr22
                                        ; implicit-def: $vgpr96_vgpr97_vgpr98_vgpr99
                                        ; implicit-def: $vgpr0_vgpr1_vgpr2_vgpr3
                                        ; implicit-def: $vgpr4_vgpr5_vgpr6_vgpr7
                                        ; implicit-def: $vgpr8_vgpr9_vgpr10_vgpr11
                                        ; implicit-def: $vgpr92
                                        ; implicit-def: $vgpr88
                                        ; implicit-def: $vgpr84
                                        ; implicit-def: $vgpr103
                                        ; implicit-def: $vgpr47
                                        ; implicit-def: $vgpr51
                                        ; implicit-def: $vgpr55
	s_branch .LBB32_4
.LBB32_2:                               ;   in Loop: Header=BB32_4 Depth=1
	s_or_b64 exec, exec, s[16:17]
	v_add_u32_e32 v116, s7, v116
	v_lshl_add_u64 v[118:119], v[116:117], 1, s[12:13]
	global_store_short_d16_hi v[118:119], v105, off
.LBB32_3:                               ;   in Loop: Header=BB32_4 Depth=1
	s_or_b64 exec, exec, s[4:5]
	v_add_u32_e32 v104, s24, v104
	v_cmp_le_u32_e32 vcc, s7, v104
	v_perm_b32 v148, v184, v148, s26
	v_perm_b32 v154, v183, v154, s26
	;; [unrolled: 1-line block ×12, first 2 shown]
	s_or_b64 s[14:15], vcc, s[14:15]
	v_add_u32_e32 v108, s25, v108
	s_andn2_b64 exec, exec, s[14:15]
	s_cbranch_execz .LBB32_54
.LBB32_4:                               ; =>This Loop Header: Depth=1
                                        ;     Child Loop BB32_10 Depth 2
	s_and_b64 vcc, exec, s[2:3]
	s_mov_b32 s30, 0
	s_cbranch_vccnz .LBB32_24
; %bb.5:                                ;   in Loop: Header=BB32_4 Depth=1
	v_mov_b32_e32 v105, 0
	v_mov_b32_e32 v118, 0
	;; [unrolled: 1-line block ×7, first 2 shown]
	s_branch .LBB32_10
.LBB32_6:                               ;   in Loop: Header=BB32_10 Depth=2
	s_or_b64 exec, exec, s[20:21]
.LBB32_7:                               ;   in Loop: Header=BB32_10 Depth=2
	s_or_b64 exec, exec, s[18:19]
.LBB32_8:                               ;   in Loop: Header=BB32_10 Depth=2
	s_or_b64 exec, exec, s[16:17]
.LBB32_9:                               ;   in Loop: Header=BB32_10 Depth=2
	s_or_b64 exec, exec, s[4:5]
	s_addk_i32 s30, 0x800
	s_cmp_ge_u32 s30, s6
	s_cbranch_scc1 .LBB32_23
.LBB32_10:                              ;   Parent Loop BB32_4 Depth=1
                                        ; =>  This Inner Loop Header: Depth=2
	v_add_u32_e32 v124, s30, v106
	v_cmp_gt_u32_e32 vcc, s6, v124
	v_add_u32_e32 v126, 0x200, v124
	s_and_saveexec_b64 s[16:17], vcc
	s_cbranch_execz .LBB32_18
; %bb.11:                               ;   in Loop: Header=BB32_10 Depth=2
	v_add_u32_e32 v116, s30, v108
	v_mov_b32_e32 v125, v117
	v_add_u32_e32 v128, s30, v143
	v_mov_b32_e32 v129, v117
	v_add_u32_e32 v132, s30, v107
	v_mov_b32_e32 v133, v117
	v_add_u32_e32 v130, s30, v110
	v_mov_b32_e32 v131, v117
	v_add_u32_e32 v136, s30, v142
	v_mov_b32_e32 v137, v117
	v_add_u32_e32 v134, s30, v112
	v_mov_b32_e32 v135, v117
	s_waitcnt lgkmcnt(0)
	v_lshl_add_u64 v[8:9], v[116:117], 1, s[8:9]
	v_lshl_add_u64 v[20:21], v[124:125], 1, s[10:11]
	;; [unrolled: 1-line block ×7, first 2 shown]
	v_add_u32_e32 v138, s30, v114
	v_mov_b32_e32 v139, v117
	global_load_dwordx4 v[8:11], v[8:9], off nt
	s_nop 0
	global_load_dwordx4 v[52:55], v[20:21], off
	s_nop 0
	global_load_dwordx4 v[20:23], v[22:23], off
	;; [unrolled: 2-line block ×6, first 2 shown]
	v_lshl_add_u64 v[38:39], v[138:139], 1, s[10:11]
	global_load_dwordx4 v[80:83], v[38:39], off
	v_cmp_gt_u32_e64 s[4:5], s6, v126
	s_and_saveexec_b64 s[18:19], s[4:5]
	s_cbranch_execz .LBB32_17
; %bb.12:                               ;   in Loop: Header=BB32_10 Depth=2
	v_add_u32_e32 v4, 0x200, v116
	v_mov_b32_e32 v5, v117
	v_mov_b32_e32 v127, v117
	v_add_u32_e32 v18, 0x200, v128
	v_mov_b32_e32 v19, v117
	v_add_u32_e32 v28, 0x200, v132
	;; [unrolled: 2-line block ×6, first 2 shown]
	v_mov_b32_e32 v77, v117
	v_lshl_add_u64 v[4:5], v[4:5], 1, s[8:9]
	v_lshl_add_u64 v[16:17], v[126:127], 1, s[10:11]
	;; [unrolled: 1-line block ×8, first 2 shown]
	global_load_dwordx4 v[4:7], v[4:5], off nt
	s_nop 0
	global_load_dwordx4 v[48:51], v[16:17], off
	s_nop 0
	global_load_dwordx4 v[16:19], v[18:19], off
	;; [unrolled: 2-line block ×6, first 2 shown]
	v_add_u32_e32 v14, 0x400, v124
	global_load_dwordx4 v[76:79], v[76:77], off
	v_cmp_gt_u32_e64 s[4:5], s6, v14
	s_and_saveexec_b64 s[20:21], s[4:5]
	s_cbranch_execz .LBB32_16
; %bb.13:                               ;   in Loop: Header=BB32_10 Depth=2
	v_mov_b32_e32 v15, v117
	v_add_u32_e32 v0, 0x400, v116
	v_mov_b32_e32 v1, v117
	v_lshl_add_u64 v[12:13], v[14:15], 1, s[10:11]
	v_add_u32_e32 v14, 0x400, v128
	v_add_u32_e32 v24, 0x400, v132
	v_mov_b32_e32 v25, v117
	v_add_u32_e32 v26, 0x400, v130
	v_mov_b32_e32 v27, v117
	;; [unrolled: 2-line block ×5, first 2 shown]
	v_lshl_add_u64 v[0:1], v[0:1], 1, s[8:9]
	v_lshl_add_u64 v[14:15], v[14:15], 1, s[10:11]
	;; [unrolled: 1-line block ×7, first 2 shown]
	global_load_dwordx4 v[0:3], v[0:1], off nt
	s_nop 0
	global_load_dwordx4 v[44:47], v[12:13], off
	s_nop 0
	global_load_dwordx4 v[12:15], v[14:15], off
	s_nop 0
	global_load_dwordx4 v[84:87], v[24:25], off
	s_nop 0
	global_load_dwordx4 v[24:27], v[26:27], off
	s_nop 0
	global_load_dwordx4 v[88:91], v[56:57], off
	s_nop 0
	global_load_dwordx4 v[56:59], v[58:59], off
	v_add_u32_e32 v140, 0x600, v124
	global_load_dwordx4 v[92:95], v[92:93], off
	v_cmp_gt_u32_e64 s[4:5], s6, v140
	s_and_saveexec_b64 s[22:23], s[4:5]
	s_cbranch_execz .LBB32_15
; %bb.14:                               ;   in Loop: Header=BB32_10 Depth=2
	v_add_u32_e32 v116, 0x600, v116
	v_lshl_add_u64 v[96:97], v[116:117], 1, s[8:9]
	v_add_u32_e32 v116, 0x600, v128
	v_lshl_add_u64 v[98:99], v[116:117], 1, s[10:11]
	v_add_u32_e32 v116, 0x600, v132
	global_load_dwordx4 v[168:171], v[98:99], off
	v_lshl_add_u64 v[98:99], v[116:117], 1, s[10:11]
	v_add_u32_e32 v116, 0x600, v130
	global_load_dwordx4 v[172:175], v[98:99], off
	v_lshl_add_u64 v[98:99], v[116:117], 1, s[10:11]
	v_add_u32_e32 v116, 0x600, v136
	global_load_dwordx4 v[128:131], v[98:99], off
	v_lshl_add_u64 v[98:99], v[116:117], 1, s[10:11]
	v_add_u32_e32 v116, 0x600, v134
	global_load_dwordx4 v[176:179], v[98:99], off
	v_lshl_add_u64 v[98:99], v[116:117], 1, s[10:11]
	v_add_u32_e32 v116, 0x600, v138
	global_load_dwordx4 v[132:135], v[98:99], off
	v_lshl_add_u64 v[98:99], v[116:117], 1, s[10:11]
	v_mov_b32_e32 v141, v117
	global_load_dwordx4 v[136:139], v[98:99], off
	v_lshl_add_u64 v[98:99], v[140:141], 1, s[10:11]
	global_load_dwordx4 v[100:103], v[98:99], off
	s_nop 0
	global_load_dwordx4 v[96:99], v[96:97], off nt
	s_waitcnt vmcnt(6)
	v_perm_b32 v141, v171, v175, s26
	v_perm_b32 v145, v170, v174, s26
	;; [unrolled: 1-line block ×7, first 2 shown]
	s_waitcnt vmcnt(4)
	v_perm_b32 v144, v131, v179, s26
	v_perm_b32 v147, v130, v178, s26
	;; [unrolled: 1-line block ×8, first 2 shown]
	s_waitcnt vmcnt(2)
	v_perm_b32 v146, v135, v139, s26
	v_perm_b32 v148, v134, v138, s26
	;; [unrolled: 1-line block ×9, first 2 shown]
.LBB32_15:                              ;   in Loop: Header=BB32_10 Depth=2
	s_or_b64 exec, exec, s[22:23]
	s_waitcnt vmcnt(5)
	v_lshrrev_b32_e32 v168, 16, v12
	s_waitcnt vmcnt(3)
	v_lshrrev_b32_e32 v167, 16, v24
	;; [unrolled: 2-line block ×3, first 2 shown]
	s_waitcnt vmcnt(0)
	v_perm_b32 v169, v59, v95, s26
	v_perm_b32 v171, v58, v94, s26
	v_perm_b32 v170, v57, v93, s26
	v_perm_b32 v59, v59, v95, s27
	v_perm_b32 v95, v58, v94, s27
	v_perm_b32 v93, v57, v93, s27
	v_perm_b32 v57, v27, v91, s26
	v_perm_b32 v94, v26, v90, s26
	v_perm_b32 v58, v25, v89, s26
	v_perm_b32 v27, v27, v91, s27
	v_perm_b32 v91, v26, v90, s27
	v_perm_b32 v89, v25, v89, s27
	v_perm_b32 v25, v15, v87, s26
	v_perm_b32 v90, v14, v86, s26
	v_perm_b32 v26, v13, v85, s26
	v_perm_b32 v15, v15, v87, s27
	v_perm_b32 v86, v14, v86, s27
	v_perm_b32 v13, v13, v85, s27
.LBB32_16:                              ;   in Loop: Header=BB32_10 Depth=2
	s_or_b64 exec, exec, s[20:21]
	s_waitcnt vmcnt(5)
	v_lshrrev_b32_e32 v176, 16, v16
	v_lshrrev_b32_e32 v175, 16, v17
	s_waitcnt vmcnt(4)
	v_lshrrev_b32_e32 v174, 16, v36
	s_waitcnt vmcnt(3)
	v_lshrrev_b32_e32 v173, 16, v28
	v_lshrrev_b32_e32 v172, 16, v29
	s_waitcnt vmcnt(2)
	v_lshrrev_b32_e32 v127, 16, v68
	;; [unrolled: 5-line block ×3, first 2 shown]
	v_perm_b32 v178, v63, v79, s26
	v_perm_b32 v177, v62, v78, s26
	v_perm_b32 v79, v63, v79, s27
	v_perm_b32 v63, v62, v78, s27
	v_perm_b32 v78, v31, v71, s26
	v_perm_b32 v62, v30, v70, s26
	v_perm_b32 v71, v31, v71, s27
	v_perm_b32 v31, v30, v70, s27
	v_perm_b32 v70, v19, v39, s26
	v_perm_b32 v30, v18, v38, s26
	v_perm_b32 v19, v19, v39, s27
	v_perm_b32 v18, v18, v38, s27
.LBB32_17:                              ;   in Loop: Header=BB32_10 Depth=2
	s_or_b64 exec, exec, s[18:19]
	s_waitcnt vmcnt(5)
	v_lshrrev_b32_e32 v139, 16, v20
	v_lshrrev_b32_e32 v138, 16, v21
	v_lshrrev_b32_e32 v137, 16, v22
	s_waitcnt vmcnt(4)
	v_lshrrev_b32_e32 v136, 16, v40
	v_lshrrev_b32_e32 v135, 16, v41
	s_waitcnt vmcnt(3)
	v_lshrrev_b32_e32 v134, 16, v32
	v_lshrrev_b32_e32 v133, 16, v33
	v_lshrrev_b32_e32 v132, 16, v34
	s_waitcnt vmcnt(2)
	v_lshrrev_b32_e32 v131, 16, v72
	v_lshrrev_b32_e32 v130, 16, v73
	s_waitcnt vmcnt(1)
	v_lshrrev_b32_e32 v129, 16, v64
	v_lshrrev_b32_e32 v128, 16, v65
	v_lshrrev_b32_e32 v125, 16, v66
	s_waitcnt vmcnt(0)
	v_lshrrev_b32_e32 v39, 16, v80
	v_lshrrev_b32_e32 v38, 16, v81
	v_perm_b32 v179, v67, v83, s26
	v_perm_b32 v83, v67, v83, s27
	;; [unrolled: 1-line block ×6, first 2 shown]
.LBB32_18:                              ;   in Loop: Header=BB32_10 Depth=2
	s_or_b64 exec, exec, s[16:17]
	s_and_saveexec_b64 s[4:5], vcc
	s_cbranch_execz .LBB32_9
; %bb.19:                               ;   in Loop: Header=BB32_10 Depth=2
	v_and_b32_e32 v181, 0xffff0000, v8
	v_lshlrev_b32_e32 v180, 16, v8
	v_and_b32_e32 v183, 0xffff0000, v52
	v_lshlrev_b32_e32 v182, 16, v52
	v_pk_mul_f32 v[182:183], v[182:183], v[180:181]
	v_and_b32_e32 v185, 0xffff0000, v53
	v_lshlrev_b32_e32 v184, 16, v53
	v_and_b32_e32 v187, 0xffff0000, v9
	v_lshlrev_b32_e32 v186, 16, v9
	v_pk_fma_f32 v[182:183], v[184:185], v[186:187], v[182:183]
	v_and_b32_e32 v185, 0xffff0000, v54
	v_lshlrev_b32_e32 v184, 16, v54
	v_and_b32_e32 v189, 0xffff0000, v10
	v_lshlrev_b32_e32 v188, 16, v10
	v_pk_fma_f32 v[182:183], v[184:185], v[188:189], v[182:183]
	;; [unrolled: 5-line block ×3, first 2 shown]
	v_lshlrev_b32_e32 v185, 16, v139
	v_add_f32_e32 v43, v182, v183
	v_lshlrev_b32_e32 v183, 16, v20
	v_lshlrev_b32_e32 v182, 16, v40
	v_lshlrev_b32_e32 v184, 16, v136
	v_pk_mul_f32 v[182:183], v[180:181], v[182:183] op_sel_hi:[0,1]
	v_mov_b32_e32 v116, v181
	v_lshlrev_b32_e32 v193, 16, v21
	v_lshlrev_b32_e32 v192, 16, v41
	v_pk_mul_f32 v[184:185], v[116:117], v[184:185] op_sel_hi:[0,1]
	v_pk_fma_f32 v[182:183], v[192:193], v[186:187], v[182:183] op_sel_hi:[1,0,1]
	v_lshlrev_b32_e32 v193, 16, v138
	v_lshlrev_b32_e32 v192, 16, v135
	v_mov_b32_e32 v194, v187
	v_pk_fma_f32 v[184:185], v[192:193], v[194:195], v[184:185] op_sel_hi:[1,0,1]
	v_lshlrev_b32_e32 v193, 16, v22
	v_lshlrev_b32_e32 v192, 16, v42
	v_pk_fma_f32 v[182:183], v[192:193], v[188:189], v[182:183] op_sel_hi:[1,0,1]
	v_and_b32_e32 v192, 0xffff0000, v42
	v_lshlrev_b32_e32 v193, 16, v137
	v_mov_b32_e32 v196, v189
	v_pk_fma_f32 v[184:185], v[192:193], v[196:197], v[184:185] op_sel_hi:[1,0,1]
	v_and_b32_e32 v193, 0xffff0000, v35
	v_lshlrev_b32_e32 v192, 16, v35
	v_pk_fma_f32 v[182:183], v[192:193], v[190:191], v[182:183] op_sel_hi:[1,0,1]
	v_and_b32_e32 v193, 0xffff0000, v23
	v_lshlrev_b32_e32 v192, 16, v23
	v_mov_b32_e32 v198, v191
	v_pk_fma_f32 v[184:185], v[192:193], v[198:199], v[184:185] op_sel_hi:[1,0,1]
	v_lshlrev_b32_e32 v193, 16, v33
	v_pk_add_f32 v[182:183], v[182:183], v[184:185]
	v_lshlrev_b32_e32 v185, 16, v134
	v_pk_add_f32 v[122:123], v[182:183], v[122:123]
	v_lshlrev_b32_e32 v183, 16, v32
	v_lshlrev_b32_e32 v182, 16, v72
	;; [unrolled: 1-line block ×3, first 2 shown]
	v_pk_mul_f32 v[182:183], v[180:181], v[182:183] op_sel_hi:[0,1]
	v_lshlrev_b32_e32 v192, 16, v73
	v_pk_mul_f32 v[184:185], v[116:117], v[184:185] op_sel_hi:[0,1]
	v_pk_fma_f32 v[182:183], v[192:193], v[186:187], v[182:183] op_sel_hi:[1,0,1]
	v_lshlrev_b32_e32 v193, 16, v133
	v_lshlrev_b32_e32 v192, 16, v130
	v_pk_fma_f32 v[184:185], v[192:193], v[194:195], v[184:185] op_sel_hi:[1,0,1]
	v_lshlrev_b32_e32 v193, 16, v34
	v_lshlrev_b32_e32 v192, 16, v74
	v_pk_fma_f32 v[182:183], v[192:193], v[188:189], v[182:183] op_sel_hi:[1,0,1]
	v_and_b32_e32 v192, 0xffff0000, v74
	v_lshlrev_b32_e32 v193, 16, v132
	v_pk_fma_f32 v[184:185], v[192:193], v[196:197], v[184:185] op_sel_hi:[1,0,1]
	v_and_b32_e32 v193, 0xffff0000, v67
	;; [unrolled: 3-line block ×3, first 2 shown]
	v_lshlrev_b32_e32 v192, 16, v75
	v_pk_fma_f32 v[184:185], v[192:193], v[198:199], v[184:185] op_sel_hi:[1,0,1]
	v_add_f32_e32 v105, v43, v105
	v_pk_add_f32 v[182:183], v[182:183], v[184:185]
	v_lshlrev_b32_e32 v185, 16, v129
	v_pk_add_f32 v[120:121], v[182:183], v[120:121]
	v_lshlrev_b32_e32 v183, 16, v64
	v_lshlrev_b32_e32 v182, 16, v80
	;; [unrolled: 1-line block ×3, first 2 shown]
	v_pk_mul_f32 v[180:181], v[180:181], v[182:183] op_sel_hi:[0,1]
	v_pk_mul_f32 v[182:183], v[116:117], v[184:185] op_sel_hi:[0,1]
	v_lshlrev_b32_e32 v185, 16, v65
	v_lshlrev_b32_e32 v184, 16, v81
	v_pk_fma_f32 v[180:181], v[184:185], v[186:187], v[180:181] op_sel_hi:[1,0,1]
	v_lshlrev_b32_e32 v185, 16, v128
	v_lshlrev_b32_e32 v184, 16, v38
	v_pk_fma_f32 v[182:183], v[184:185], v[194:195], v[182:183] op_sel_hi:[1,0,1]
	;; [unrolled: 3-line block ×3, first 2 shown]
	v_and_b32_e32 v184, 0xffff0000, v82
	v_lshlrev_b32_e32 v185, 16, v125
	v_pk_fma_f32 v[182:183], v[184:185], v[196:197], v[182:183] op_sel_hi:[1,0,1]
	v_and_b32_e32 v185, 0xffff0000, v179
	v_lshlrev_b32_e32 v184, 16, v179
	v_pk_fma_f32 v[180:181], v[184:185], v[190:191], v[180:181] op_sel_hi:[1,0,1]
	;; [unrolled: 3-line block ×3, first 2 shown]
	v_cmp_gt_u32_e32 vcc, s6, v126
	v_pk_add_f32 v[180:181], v[180:181], v[182:183]
	s_nop 0
	v_pk_add_f32 v[118:119], v[180:181], v[118:119]
	s_and_saveexec_b64 s[16:17], vcc
	s_cbranch_execz .LBB32_8
; %bb.20:                               ;   in Loop: Header=BB32_10 Depth=2
	v_and_b32_e32 v181, 0xffff0000, v4
	v_lshlrev_b32_e32 v180, 16, v4
	v_and_b32_e32 v183, 0xffff0000, v48
	v_lshlrev_b32_e32 v182, 16, v48
	v_pk_mul_f32 v[182:183], v[182:183], v[180:181]
	v_and_b32_e32 v185, 0xffff0000, v49
	v_lshlrev_b32_e32 v184, 16, v49
	v_and_b32_e32 v187, 0xffff0000, v5
	v_lshlrev_b32_e32 v186, 16, v5
	v_pk_fma_f32 v[182:183], v[184:185], v[186:187], v[182:183]
	v_and_b32_e32 v185, 0xffff0000, v50
	v_lshlrev_b32_e32 v184, 16, v50
	v_and_b32_e32 v189, 0xffff0000, v6
	v_lshlrev_b32_e32 v188, 16, v6
	v_pk_fma_f32 v[182:183], v[184:185], v[188:189], v[182:183]
	;; [unrolled: 5-line block ×3, first 2 shown]
	v_lshlrev_b32_e32 v185, 16, v176
	v_add_f32_e32 v43, v182, v183
	v_lshlrev_b32_e32 v183, 16, v16
	v_lshlrev_b32_e32 v182, 16, v36
	v_pk_mul_f32 v[182:183], v[180:181], v[182:183] op_sel_hi:[0,1]
	v_lshlrev_b32_e32 v184, 16, v174
	v_mov_b32_e32 v116, v181
	v_lshlrev_b32_e32 v193, 16, v17
	v_lshlrev_b32_e32 v192, 16, v37
	v_pk_mul_f32 v[184:185], v[116:117], v[184:185] op_sel_hi:[0,1]
	v_pk_fma_f32 v[182:183], v[192:193], v[186:187], v[182:183] op_sel_hi:[1,0,1]
	v_and_b32_e32 v192, 0xffff0000, v37
	v_lshlrev_b32_e32 v193, 16, v175
	v_mov_b32_e32 v126, v187
	v_pk_fma_f32 v[184:185], v[192:193], v[126:127], v[184:185] op_sel_hi:[1,0,1]
	v_and_b32_e32 v193, 0xffff0000, v30
	v_lshlrev_b32_e32 v192, 16, v30
	v_pk_fma_f32 v[182:183], v[192:193], v[188:189], v[182:183] op_sel_hi:[1,0,1]
	v_and_b32_e32 v193, 0xffff0000, v18
	v_lshlrev_b32_e32 v192, 16, v18
	v_mov_b32_e32 v194, v189
	v_pk_fma_f32 v[184:185], v[192:193], v[194:195], v[184:185] op_sel_hi:[1,0,1]
	v_and_b32_e32 v193, 0xffff0000, v70
	v_lshlrev_b32_e32 v192, 16, v70
	v_pk_fma_f32 v[182:183], v[192:193], v[190:191], v[182:183] op_sel_hi:[1,0,1]
	v_and_b32_e32 v193, 0xffff0000, v19
	v_lshlrev_b32_e32 v192, 16, v19
	v_mov_b32_e32 v196, v191
	v_pk_fma_f32 v[184:185], v[192:193], v[196:197], v[184:185] op_sel_hi:[1,0,1]
	v_lshlrev_b32_e32 v193, 16, v29
	v_pk_add_f32 v[182:183], v[182:183], v[184:185]
	v_lshlrev_b32_e32 v185, 16, v173
	v_pk_add_f32 v[122:123], v[182:183], v[122:123]
	v_lshlrev_b32_e32 v183, 16, v28
	v_lshlrev_b32_e32 v182, 16, v68
	v_pk_mul_f32 v[182:183], v[180:181], v[182:183] op_sel_hi:[0,1]
	v_lshlrev_b32_e32 v184, 16, v127
	v_lshlrev_b32_e32 v192, 16, v69
	v_pk_mul_f32 v[184:185], v[116:117], v[184:185] op_sel_hi:[0,1]
	v_pk_fma_f32 v[182:183], v[192:193], v[186:187], v[182:183] op_sel_hi:[1,0,1]
	v_and_b32_e32 v192, 0xffff0000, v69
	v_lshlrev_b32_e32 v193, 16, v172
	v_pk_fma_f32 v[184:185], v[192:193], v[126:127], v[184:185] op_sel_hi:[1,0,1]
	v_and_b32_e32 v193, 0xffff0000, v62
	v_lshlrev_b32_e32 v192, 16, v62
	;; [unrolled: 3-line block ×5, first 2 shown]
	v_pk_fma_f32 v[184:185], v[192:193], v[196:197], v[184:185] op_sel_hi:[1,0,1]
	v_add_f32_e32 v105, v43, v105
	v_pk_add_f32 v[182:183], v[182:183], v[184:185]
	v_lshlrev_b32_e32 v185, 16, v61
	v_pk_add_f32 v[120:121], v[182:183], v[120:121]
	v_lshlrev_b32_e32 v183, 16, v60
	v_lshlrev_b32_e32 v182, 16, v76
	v_pk_mul_f32 v[180:181], v[180:181], v[182:183] op_sel_hi:[0,1]
	v_lshlrev_b32_e32 v183, 16, v87
	v_lshlrev_b32_e32 v182, 16, v14
	;; [unrolled: 1-line block ×3, first 2 shown]
	v_pk_mul_f32 v[182:183], v[116:117], v[182:183] op_sel_hi:[0,1]
	v_pk_fma_f32 v[180:181], v[184:185], v[186:187], v[180:181] op_sel_hi:[1,0,1]
	v_and_b32_e32 v184, 0xffff0000, v77
	v_lshlrev_b32_e32 v185, 16, v85
	v_pk_fma_f32 v[182:183], v[184:185], v[126:127], v[182:183] op_sel_hi:[1,0,1]
	v_and_b32_e32 v185, 0xffff0000, v177
	v_lshlrev_b32_e32 v184, 16, v177
	;; [unrolled: 3-line block ×5, first 2 shown]
	v_pk_fma_f32 v[182:183], v[184:185], v[196:197], v[182:183] op_sel_hi:[1,0,1]
	v_add_u32_e32 v43, 0x400, v124
	v_pk_add_f32 v[180:181], v[180:181], v[182:183]
	v_cmp_gt_u32_e32 vcc, s6, v43
	v_pk_add_f32 v[118:119], v[180:181], v[118:119]
	s_and_saveexec_b64 s[18:19], vcc
	s_cbranch_execz .LBB32_7
; %bb.21:                               ;   in Loop: Header=BB32_10 Depth=2
	v_and_b32_e32 v181, 0xffff0000, v0
	v_lshlrev_b32_e32 v180, 16, v0
	v_and_b32_e32 v183, 0xffff0000, v44
	v_lshlrev_b32_e32 v182, 16, v44
	v_pk_mul_f32 v[182:183], v[182:183], v[180:181]
	v_and_b32_e32 v185, 0xffff0000, v45
	v_lshlrev_b32_e32 v184, 16, v45
	v_and_b32_e32 v187, 0xffff0000, v1
	v_lshlrev_b32_e32 v186, 16, v1
	v_pk_fma_f32 v[182:183], v[184:185], v[186:187], v[182:183]
	v_and_b32_e32 v185, 0xffff0000, v46
	v_lshlrev_b32_e32 v184, 16, v46
	v_and_b32_e32 v189, 0xffff0000, v2
	v_lshlrev_b32_e32 v188, 16, v2
	v_pk_fma_f32 v[182:183], v[184:185], v[188:189], v[182:183]
	;; [unrolled: 5-line block ×3, first 2 shown]
	v_and_b32_e32 v184, 0xffff0000, v84
	v_add_f32_e32 v43, v182, v183
	v_lshlrev_b32_e32 v183, 16, v12
	v_lshlrev_b32_e32 v182, 16, v84
	v_pk_mul_f32 v[182:183], v[180:181], v[182:183] op_sel_hi:[0,1]
	v_lshlrev_b32_e32 v185, 16, v168
	v_mov_b32_e32 v116, v181
	v_and_b32_e32 v193, 0xffff0000, v26
	v_lshlrev_b32_e32 v192, 16, v26
	v_pk_mul_f32 v[184:185], v[116:117], v[184:185] op_sel_hi:[0,1]
	v_pk_fma_f32 v[182:183], v[192:193], v[186:187], v[182:183] op_sel_hi:[1,0,1]
	v_and_b32_e32 v193, 0xffff0000, v13
	v_lshlrev_b32_e32 v192, 16, v13
	v_mov_b32_e32 v126, v187
	v_pk_fma_f32 v[184:185], v[192:193], v[126:127], v[184:185] op_sel_hi:[1,0,1]
	v_and_b32_e32 v193, 0xffff0000, v90
	v_lshlrev_b32_e32 v192, 16, v90
	v_pk_fma_f32 v[182:183], v[192:193], v[188:189], v[182:183] op_sel_hi:[1,0,1]
	v_and_b32_e32 v193, 0xffff0000, v86
	v_lshlrev_b32_e32 v192, 16, v86
	v_mov_b32_e32 v194, v189
	v_pk_fma_f32 v[184:185], v[192:193], v[194:195], v[184:185] op_sel_hi:[1,0,1]
	v_and_b32_e32 v193, 0xffff0000, v25
	v_lshlrev_b32_e32 v192, 16, v25
	v_pk_fma_f32 v[182:183], v[192:193], v[190:191], v[182:183] op_sel_hi:[1,0,1]
	v_and_b32_e32 v193, 0xffff0000, v15
	v_lshlrev_b32_e32 v192, 16, v15
	v_mov_b32_e32 v196, v191
	v_pk_fma_f32 v[184:185], v[192:193], v[196:197], v[184:185] op_sel_hi:[1,0,1]
	v_and_b32_e32 v193, 0xffff0000, v58
	v_pk_add_f32 v[182:183], v[182:183], v[184:185]
	v_and_b32_e32 v184, 0xffff0000, v88
	v_pk_add_f32 v[122:123], v[182:183], v[122:123]
	v_lshlrev_b32_e32 v183, 16, v24
	v_lshlrev_b32_e32 v182, 16, v88
	v_pk_mul_f32 v[182:183], v[180:181], v[182:183] op_sel_hi:[0,1]
	v_lshlrev_b32_e32 v185, 16, v167
	v_lshlrev_b32_e32 v192, 16, v58
	v_pk_mul_f32 v[184:185], v[116:117], v[184:185] op_sel_hi:[0,1]
	v_pk_fma_f32 v[182:183], v[192:193], v[186:187], v[182:183] op_sel_hi:[1,0,1]
	v_and_b32_e32 v193, 0xffff0000, v89
	v_lshlrev_b32_e32 v192, 16, v89
	v_pk_fma_f32 v[184:185], v[192:193], v[126:127], v[184:185] op_sel_hi:[1,0,1]
	v_and_b32_e32 v193, 0xffff0000, v94
	v_lshlrev_b32_e32 v192, 16, v94
	;; [unrolled: 3-line block ×5, first 2 shown]
	v_pk_fma_f32 v[184:185], v[192:193], v[196:197], v[184:185] op_sel_hi:[1,0,1]
	v_add_f32_e32 v105, v43, v105
	v_pk_add_f32 v[182:183], v[182:183], v[184:185]
	v_and_b32_e32 v185, 0xffff0000, v170
	v_pk_add_f32 v[120:121], v[182:183], v[120:121]
	v_lshlrev_b32_e32 v183, 16, v56
	v_lshlrev_b32_e32 v182, 16, v92
	v_pk_mul_f32 v[180:181], v[180:181], v[182:183] op_sel_hi:[0,1]
	v_and_b32_e32 v182, 0xffff0000, v92
	v_lshlrev_b32_e32 v183, 16, v140
	v_lshlrev_b32_e32 v184, 16, v170
	v_pk_mul_f32 v[182:183], v[116:117], v[182:183] op_sel_hi:[0,1]
	v_pk_fma_f32 v[180:181], v[184:185], v[186:187], v[180:181] op_sel_hi:[1,0,1]
	v_and_b32_e32 v185, 0xffff0000, v93
	v_lshlrev_b32_e32 v184, 16, v93
	v_pk_fma_f32 v[182:183], v[184:185], v[126:127], v[182:183] op_sel_hi:[1,0,1]
	v_and_b32_e32 v185, 0xffff0000, v171
	v_lshlrev_b32_e32 v184, 16, v171
	;; [unrolled: 3-line block ×5, first 2 shown]
	v_pk_fma_f32 v[182:183], v[184:185], v[196:197], v[182:183] op_sel_hi:[1,0,1]
	v_add_u32_e32 v43, 0x600, v124
	v_pk_add_f32 v[180:181], v[180:181], v[182:183]
	v_cmp_gt_u32_e32 vcc, s6, v43
	v_pk_add_f32 v[118:119], v[180:181], v[118:119]
	s_and_saveexec_b64 s[20:21], vcc
	s_cbranch_execz .LBB32_6
; %bb.22:                               ;   in Loop: Header=BB32_10 Depth=2
	v_and_b32_e32 v181, 0xffff0000, v96
	v_lshlrev_b32_e32 v180, 16, v96
	v_and_b32_e32 v183, 0xffff0000, v100
	v_lshlrev_b32_e32 v182, 16, v100
	v_pk_mul_f32 v[182:183], v[182:183], v[180:181]
	v_and_b32_e32 v185, 0xffff0000, v101
	v_lshlrev_b32_e32 v184, 16, v101
	v_and_b32_e32 v187, 0xffff0000, v97
	v_lshlrev_b32_e32 v186, 16, v97
	v_pk_fma_f32 v[182:183], v[184:185], v[186:187], v[182:183]
	v_and_b32_e32 v185, 0xffff0000, v102
	v_lshlrev_b32_e32 v184, 16, v102
	v_and_b32_e32 v189, 0xffff0000, v98
	v_lshlrev_b32_e32 v188, 16, v98
	v_pk_fma_f32 v[182:183], v[184:185], v[188:189], v[182:183]
	;; [unrolled: 5-line block ×3, first 2 shown]
	v_and_b32_e32 v185, 0xffff0000, v158
	v_add_f32_e32 v43, v182, v183
	v_and_b32_e32 v183, 0xffff0000, v155
	v_lshlrev_b32_e32 v182, 16, v155
	v_pk_mul_f32 v[182:183], v[180:181], v[182:183] op_sel_hi:[0,1]
	v_lshlrev_b32_e32 v184, 16, v158
	v_mov_b32_e32 v116, v181
	v_and_b32_e32 v193, 0xffff0000, v159
	v_lshlrev_b32_e32 v192, 16, v159
	v_pk_mul_f32 v[184:185], v[116:117], v[184:185] op_sel_hi:[0,1]
	v_pk_fma_f32 v[182:183], v[192:193], v[186:187], v[182:183] op_sel_hi:[1,0,1]
	v_and_b32_e32 v193, 0xffff0000, v160
	v_lshlrev_b32_e32 v192, 16, v160
	v_mov_b32_e32 v124, v187
	v_pk_fma_f32 v[184:185], v[192:193], v[124:125], v[184:185] op_sel_hi:[1,0,1]
	v_and_b32_e32 v193, 0xffff0000, v145
	v_lshlrev_b32_e32 v192, 16, v145
	v_pk_fma_f32 v[182:183], v[192:193], v[188:189], v[182:183] op_sel_hi:[1,0,1]
	v_and_b32_e32 v193, 0xffff0000, v151
	v_lshlrev_b32_e32 v192, 16, v151
	v_mov_b32_e32 v126, v189
	v_pk_fma_f32 v[184:185], v[192:193], v[126:127], v[184:185] op_sel_hi:[1,0,1]
	v_and_b32_e32 v193, 0xffff0000, v141
	v_lshlrev_b32_e32 v192, 16, v141
	v_pk_fma_f32 v[182:183], v[192:193], v[190:191], v[182:183] op_sel_hi:[1,0,1]
	v_and_b32_e32 v193, 0xffff0000, v149
	v_lshlrev_b32_e32 v192, 16, v149
	v_mov_b32_e32 v194, v191
	v_pk_fma_f32 v[184:185], v[192:193], v[194:195], v[184:185] op_sel_hi:[1,0,1]
	v_and_b32_e32 v193, 0xffff0000, v163
	v_pk_add_f32 v[182:183], v[182:183], v[184:185]
	v_and_b32_e32 v185, 0xffff0000, v157
	v_pk_add_f32 v[122:123], v[182:183], v[122:123]
	v_and_b32_e32 v183, 0xffff0000, v156
	v_lshlrev_b32_e32 v182, 16, v156
	v_pk_mul_f32 v[182:183], v[180:181], v[182:183] op_sel_hi:[0,1]
	v_lshlrev_b32_e32 v184, 16, v157
	v_lshlrev_b32_e32 v192, 16, v163
	v_pk_mul_f32 v[184:185], v[116:117], v[184:185] op_sel_hi:[0,1]
	v_pk_fma_f32 v[182:183], v[192:193], v[186:187], v[182:183] op_sel_hi:[1,0,1]
	v_and_b32_e32 v193, 0xffff0000, v164
	v_lshlrev_b32_e32 v192, 16, v164
	v_pk_fma_f32 v[184:185], v[192:193], v[124:125], v[184:185] op_sel_hi:[1,0,1]
	v_and_b32_e32 v193, 0xffff0000, v147
	v_lshlrev_b32_e32 v192, 16, v147
	;; [unrolled: 3-line block ×5, first 2 shown]
	v_pk_fma_f32 v[184:185], v[192:193], v[194:195], v[184:185] op_sel_hi:[1,0,1]
	v_add_f32_e32 v105, v43, v105
	v_pk_add_f32 v[182:183], v[182:183], v[184:185]
	v_and_b32_e32 v185, 0xffff0000, v165
	v_pk_add_f32 v[120:121], v[182:183], v[120:121]
	v_and_b32_e32 v183, 0xffff0000, v161
	v_lshlrev_b32_e32 v182, 16, v161
	v_pk_mul_f32 v[180:181], v[180:181], v[182:183] op_sel_hi:[0,1]
	v_and_b32_e32 v183, 0xffff0000, v162
	v_lshlrev_b32_e32 v182, 16, v162
	v_lshlrev_b32_e32 v184, 16, v165
	v_pk_mul_f32 v[182:183], v[116:117], v[182:183] op_sel_hi:[0,1]
	v_pk_fma_f32 v[180:181], v[184:185], v[186:187], v[180:181] op_sel_hi:[1,0,1]
	v_and_b32_e32 v185, 0xffff0000, v166
	v_lshlrev_b32_e32 v184, 16, v166
	v_pk_fma_f32 v[182:183], v[184:185], v[124:125], v[182:183] op_sel_hi:[1,0,1]
	v_and_b32_e32 v185, 0xffff0000, v148
	v_lshlrev_b32_e32 v184, 16, v148
	;; [unrolled: 3-line block ×5, first 2 shown]
	v_pk_fma_f32 v[182:183], v[184:185], v[194:195], v[182:183] op_sel_hi:[1,0,1]
	s_nop 0
	v_pk_add_f32 v[180:181], v[180:181], v[182:183]
	s_nop 0
	v_pk_add_f32 v[118:119], v[180:181], v[118:119]
	s_branch .LBB32_6
.LBB32_23:                              ;   in Loop: Header=BB32_4 Depth=1
	v_lshrrev_b32_e32 v43, 16, v15
	v_lshrrev_b32_e32 v109, 16, v25
	v_lshrrev_b32_e32 v111, 16, v151
	v_lshrrev_b32_e32 v113, 16, v145
	v_lshrrev_b32_e32 v115, 16, v27
	v_lshrrev_b32_e32 v124, 16, v57
	v_lshrrev_b32_e32 v126, 16, v153
	v_lshrrev_b32_e32 v180, 16, v147
	v_lshrrev_b32_e32 v181, 16, v59
	v_lshrrev_b32_e32 v182, 16, v169
	v_lshrrev_b32_e32 v183, 16, v154
	v_lshrrev_b32_e32 v184, 16, v148
	s_branch .LBB32_25
.LBB32_24:                              ;   in Loop: Header=BB32_4 Depth=1
	v_lshrrev_b32_e32 v184, 16, v148
	v_lshrrev_b32_e32 v183, 16, v154
	;; [unrolled: 1-line block ×12, first 2 shown]
	v_mov_b32_e32 v123, v117
	v_mov_b32_e32 v122, v117
	;; [unrolled: 1-line block ×7, first 2 shown]
.LBB32_25:                              ;   in Loop: Header=BB32_4 Depth=1
	;;#ASMSTART
	s_nop 0
	v_add_f32 v105, v105, v105 row_shr:8 bound_ctrl:0 
	;;#ASMEND
	;;#ASMSTART
	s_nop 0
	v_add_f32 v123, v123, v123 row_shr:8 bound_ctrl:0 
	;;#ASMEND
	;;#ASMSTART
	s_nop 0
	v_add_f32 v122, v122, v122 row_shr:8 bound_ctrl:0 
	;;#ASMEND
	;;#ASMSTART
	s_nop 0
	v_add_f32 v121, v121, v121 row_shr:8 bound_ctrl:0 
	;;#ASMEND
	;;#ASMSTART
	s_nop 0
	v_add_f32 v120, v120, v120 row_shr:8 bound_ctrl:0 
	;;#ASMEND
	;;#ASMSTART
	s_nop 0
	v_add_f32 v119, v119, v119 row_shr:8 bound_ctrl:0 
	;;#ASMEND
	;;#ASMSTART
	s_nop 0
	v_add_f32 v118, v118, v118 row_shr:8 bound_ctrl:0 
	;;#ASMEND
	s_nop 0
	;;#ASMSTART
	s_nop 0
	v_add_f32 v105, v105, v105 row_shr:4 bound_ctrl:0 
	;;#ASMEND
	;;#ASMSTART
	s_nop 0
	v_add_f32 v123, v123, v123 row_shr:4 bound_ctrl:0 
	;;#ASMEND
	;;#ASMSTART
	s_nop 0
	v_add_f32 v122, v122, v122 row_shr:4 bound_ctrl:0 
	;;#ASMEND
	;;#ASMSTART
	s_nop 0
	v_add_f32 v121, v121, v121 row_shr:4 bound_ctrl:0 
	;;#ASMEND
	;;#ASMSTART
	s_nop 0
	v_add_f32 v120, v120, v120 row_shr:4 bound_ctrl:0 
	;;#ASMEND
	;;#ASMSTART
	s_nop 0
	v_add_f32 v119, v119, v119 row_shr:4 bound_ctrl:0 
	;;#ASMEND
	;;#ASMSTART
	s_nop 0
	v_add_f32 v118, v118, v118 row_shr:4 bound_ctrl:0 
	;;#ASMEND
	s_nop 0
	;; [unrolled: 29-line block ×3, first 2 shown]
	;;#ASMSTART
	s_nop 0
	v_add_f32 v105, v105, v105 wave_shr:1 bound_ctrl:0
	;;#ASMEND
	;;#ASMSTART
	s_nop 0
	v_add_f32 v123, v123, v123 wave_shr:1 bound_ctrl:0
	;;#ASMEND
	;;#ASMSTART
	s_nop 0
	v_add_f32 v122, v122, v122 wave_shr:1 bound_ctrl:0
	;;#ASMEND
	;;#ASMSTART
	s_nop 0
	v_add_f32 v121, v121, v121 wave_shr:1 bound_ctrl:0
	;;#ASMEND
	;;#ASMSTART
	s_nop 0
	v_add_f32 v120, v120, v120 wave_shr:1 bound_ctrl:0
	;;#ASMEND
	;;#ASMSTART
	s_nop 0
	v_add_f32 v119, v119, v119 wave_shr:1 bound_ctrl:0
	;;#ASMEND
	;;#ASMSTART
	s_nop 0
	v_add_f32 v118, v118, v118 wave_shr:1 bound_ctrl:0
	;;#ASMEND
	s_nop 0
	;;#ASMSTART
	s_nop 0
	v_add_f32 v105, v105, v105 row_bcast:15 bound_ctrl:0
	;;#ASMEND
	;;#ASMSTART
	s_nop 0
	v_add_f32 v123, v123, v123 row_bcast:15 bound_ctrl:0
	;;#ASMEND
	;; [unrolled: 4-line block ×7, first 2 shown]
	s_nop 0
	;;#ASMSTART
	s_nop 0
	v_add_f32 v105, v105, v105 row_bcast:31 bound_ctrl:0
	;;#ASMEND
	;;#ASMSTART
	s_nop 0
	v_add_f32 v123, v123, v123 row_bcast:31 bound_ctrl:0
	;;#ASMEND
	;; [unrolled: 4-line block ×7, first 2 shown]
	s_and_saveexec_b64 s[4:5], s[0:1]
	s_cbranch_execz .LBB32_3
; %bb.26:                               ;   in Loop: Header=BB32_4 Depth=1
	v_and_b32_e32 v116, 0x7f800000, v105
	v_cmp_ne_u32_e32 vcc, s28, v116
                                        ; implicit-def: $vgpr116
	s_and_saveexec_b64 s[16:17], vcc
	s_xor_b64 s[16:17], exec, s[16:17]
; %bb.27:                               ;   in Loop: Header=BB32_4 Depth=1
	v_bfe_u32 v116, v105, 16, 1
	v_add3_u32 v116, v105, v116, s29
                                        ; implicit-def: $vgpr105
; %bb.28:                               ;   in Loop: Header=BB32_4 Depth=1
	s_andn2_saveexec_b64 s[16:17], s[16:17]
; %bb.29:                               ;   in Loop: Header=BB32_4 Depth=1
	v_or_b32_e32 v116, 0x10000, v105
	v_cmp_eq_u32_sdwa vcc, v105, v117 src0_sel:WORD_0 src1_sel:DWORD
	s_nop 1
	v_cndmask_b32_e32 v116, v116, v105, vcc
; %bb.30:                               ;   in Loop: Header=BB32_4 Depth=1
	s_or_b64 exec, exec, s[16:17]
	v_mov_b32_e32 v105, v117
	s_waitcnt lgkmcnt(0)
	v_lshl_add_u64 v[186:187], v[104:105], 1, s[12:13]
	v_and_b32_e32 v105, 0x7f800000, v123
	v_cmp_ne_u32_e32 vcc, s28, v105
	global_store_short_d16_hi v[186:187], v116, off
                                        ; implicit-def: $vgpr105
	s_and_saveexec_b64 s[16:17], vcc
	s_xor_b64 s[16:17], exec, s[16:17]
; %bb.31:                               ;   in Loop: Header=BB32_4 Depth=1
	v_bfe_u32 v105, v123, 16, 1
	v_add3_u32 v105, v123, v105, s29
; %bb.32:                               ;   in Loop: Header=BB32_4 Depth=1
	s_andn2_saveexec_b64 s[16:17], s[16:17]
; %bb.33:                               ;   in Loop: Header=BB32_4 Depth=1
	v_or_b32_e32 v105, 0x10000, v123
	v_cmp_eq_u32_sdwa vcc, v123, v117 src0_sel:WORD_0 src1_sel:DWORD
	s_nop 1
	v_cndmask_b32_e32 v105, v105, v123, vcc
; %bb.34:                               ;   in Loop: Header=BB32_4 Depth=1
	s_or_b64 exec, exec, s[16:17]
	v_add_u32_e32 v116, s7, v104
	v_lshl_add_u64 v[186:187], v[116:117], 1, s[12:13]
	global_store_short_d16_hi v[186:187], v105, off
	v_and_b32_e32 v105, 0x7f800000, v122
	v_cmp_ne_u32_e32 vcc, s28, v105
                                        ; implicit-def: $vgpr105
	s_and_saveexec_b64 s[16:17], vcc
	s_xor_b64 s[16:17], exec, s[16:17]
; %bb.35:                               ;   in Loop: Header=BB32_4 Depth=1
	v_bfe_u32 v105, v122, 16, 1
	v_add3_u32 v105, v122, v105, s29
                                        ; implicit-def: $vgpr122
; %bb.36:                               ;   in Loop: Header=BB32_4 Depth=1
	s_andn2_saveexec_b64 s[16:17], s[16:17]
; %bb.37:                               ;   in Loop: Header=BB32_4 Depth=1
	v_or_b32_e32 v105, 0x10000, v122
	v_cmp_eq_u32_sdwa vcc, v122, v117 src0_sel:WORD_0 src1_sel:DWORD
	s_nop 1
	v_cndmask_b32_e32 v105, v105, v122, vcc
; %bb.38:                               ;   in Loop: Header=BB32_4 Depth=1
	s_or_b64 exec, exec, s[16:17]
	v_add_u32_e32 v116, s7, v116
	v_lshl_add_u64 v[122:123], v[116:117], 1, s[12:13]
	global_store_short_d16_hi v[122:123], v105, off
	v_and_b32_e32 v105, 0x7f800000, v121
	v_cmp_ne_u32_e32 vcc, s28, v105
                                        ; implicit-def: $vgpr105
	s_and_saveexec_b64 s[16:17], vcc
	s_xor_b64 s[16:17], exec, s[16:17]
; %bb.39:                               ;   in Loop: Header=BB32_4 Depth=1
	v_bfe_u32 v105, v121, 16, 1
	v_add3_u32 v105, v121, v105, s29
; %bb.40:                               ;   in Loop: Header=BB32_4 Depth=1
	s_andn2_saveexec_b64 s[16:17], s[16:17]
; %bb.41:                               ;   in Loop: Header=BB32_4 Depth=1
	v_or_b32_e32 v105, 0x10000, v121
	v_cmp_eq_u32_sdwa vcc, v121, v117 src0_sel:WORD_0 src1_sel:DWORD
	s_nop 1
	v_cndmask_b32_e32 v105, v105, v121, vcc
; %bb.42:                               ;   in Loop: Header=BB32_4 Depth=1
	s_or_b64 exec, exec, s[16:17]
	v_add_u32_e32 v116, s7, v116
	v_lshl_add_u64 v[122:123], v[116:117], 1, s[12:13]
	global_store_short_d16_hi v[122:123], v105, off
	v_and_b32_e32 v105, 0x7f800000, v120
	v_cmp_ne_u32_e32 vcc, s28, v105
                                        ; implicit-def: $vgpr105
	s_and_saveexec_b64 s[16:17], vcc
	s_xor_b64 s[16:17], exec, s[16:17]
; %bb.43:                               ;   in Loop: Header=BB32_4 Depth=1
	v_bfe_u32 v105, v120, 16, 1
	v_add3_u32 v105, v120, v105, s29
                                        ; implicit-def: $vgpr120
; %bb.44:                               ;   in Loop: Header=BB32_4 Depth=1
	s_andn2_saveexec_b64 s[16:17], s[16:17]
; %bb.45:                               ;   in Loop: Header=BB32_4 Depth=1
	v_or_b32_e32 v105, 0x10000, v120
	v_cmp_eq_u32_sdwa vcc, v120, v117 src0_sel:WORD_0 src1_sel:DWORD
	s_nop 1
	v_cndmask_b32_e32 v105, v105, v120, vcc
; %bb.46:                               ;   in Loop: Header=BB32_4 Depth=1
	s_or_b64 exec, exec, s[16:17]
	v_add_u32_e32 v116, s7, v116
	v_lshl_add_u64 v[120:121], v[116:117], 1, s[12:13]
	global_store_short_d16_hi v[120:121], v105, off
	v_and_b32_e32 v105, 0x7f800000, v119
	v_cmp_ne_u32_e32 vcc, s28, v105
                                        ; implicit-def: $vgpr105
	s_and_saveexec_b64 s[16:17], vcc
	s_xor_b64 s[16:17], exec, s[16:17]
; %bb.47:                               ;   in Loop: Header=BB32_4 Depth=1
	v_bfe_u32 v105, v119, 16, 1
	v_add3_u32 v105, v119, v105, s29
; %bb.48:                               ;   in Loop: Header=BB32_4 Depth=1
	s_andn2_saveexec_b64 s[16:17], s[16:17]
; %bb.49:                               ;   in Loop: Header=BB32_4 Depth=1
	v_or_b32_e32 v105, 0x10000, v119
	v_cmp_eq_u32_sdwa vcc, v119, v117 src0_sel:WORD_0 src1_sel:DWORD
	s_nop 1
	v_cndmask_b32_e32 v105, v105, v119, vcc
; %bb.50:                               ;   in Loop: Header=BB32_4 Depth=1
	s_or_b64 exec, exec, s[16:17]
	v_add_u32_e32 v116, s7, v116
	v_lshl_add_u64 v[120:121], v[116:117], 1, s[12:13]
	global_store_short_d16_hi v[120:121], v105, off
	v_and_b32_e32 v105, 0x7f800000, v118
	v_cmp_ne_u32_e32 vcc, s28, v105
                                        ; implicit-def: $vgpr105
	s_and_saveexec_b64 s[16:17], vcc
	s_xor_b64 s[16:17], exec, s[16:17]
; %bb.51:                               ;   in Loop: Header=BB32_4 Depth=1
	v_bfe_u32 v105, v118, 16, 1
	v_add3_u32 v105, v118, v105, s29
                                        ; implicit-def: $vgpr118
; %bb.52:                               ;   in Loop: Header=BB32_4 Depth=1
	s_andn2_saveexec_b64 s[16:17], s[16:17]
	s_cbranch_execz .LBB32_2
; %bb.53:                               ;   in Loop: Header=BB32_4 Depth=1
	v_or_b32_e32 v105, 0x10000, v118
	v_cmp_eq_u32_sdwa vcc, v118, v117 src0_sel:WORD_0 src1_sel:DWORD
	s_nop 1
	v_cndmask_b32_e32 v105, v105, v118, vcc
	s_branch .LBB32_2
.LBB32_54:
	s_endpgm
	.section	.rodata,"a",@progbits
	.p2align	6, 0x0
	.amdhsa_kernel _ZN5aiter32wv_splitk_small_fp16_bf16_kernelI14__hip_bfloat16Li64ELi1ELi1ELi8ELi4ELi7EEEviiPKT_S4_PS2_ii
		.amdhsa_group_segment_fixed_size 0
		.amdhsa_private_segment_fixed_size 0
		.amdhsa_kernarg_size 40
		.amdhsa_user_sgpr_count 2
		.amdhsa_user_sgpr_dispatch_ptr 0
		.amdhsa_user_sgpr_queue_ptr 0
		.amdhsa_user_sgpr_kernarg_segment_ptr 1
		.amdhsa_user_sgpr_dispatch_id 0
		.amdhsa_user_sgpr_kernarg_preload_length 0
		.amdhsa_user_sgpr_kernarg_preload_offset 0
		.amdhsa_user_sgpr_private_segment_size 0
		.amdhsa_uses_dynamic_stack 0
		.amdhsa_enable_private_segment 0
		.amdhsa_system_sgpr_workgroup_id_x 1
		.amdhsa_system_sgpr_workgroup_id_y 0
		.amdhsa_system_sgpr_workgroup_id_z 0
		.amdhsa_system_sgpr_workgroup_info 0
		.amdhsa_system_vgpr_workitem_id 1
		.amdhsa_next_free_vgpr 200
		.amdhsa_next_free_sgpr 31
		.amdhsa_accum_offset 200
		.amdhsa_reserve_vcc 1
		.amdhsa_float_round_mode_32 0
		.amdhsa_float_round_mode_16_64 0
		.amdhsa_float_denorm_mode_32 3
		.amdhsa_float_denorm_mode_16_64 3
		.amdhsa_dx10_clamp 1
		.amdhsa_ieee_mode 1
		.amdhsa_fp16_overflow 0
		.amdhsa_tg_split 0
		.amdhsa_exception_fp_ieee_invalid_op 0
		.amdhsa_exception_fp_denorm_src 0
		.amdhsa_exception_fp_ieee_div_zero 0
		.amdhsa_exception_fp_ieee_overflow 0
		.amdhsa_exception_fp_ieee_underflow 0
		.amdhsa_exception_fp_ieee_inexact 0
		.amdhsa_exception_int_div_zero 0
	.end_amdhsa_kernel
	.section	.text._ZN5aiter32wv_splitk_small_fp16_bf16_kernelI14__hip_bfloat16Li64ELi1ELi1ELi8ELi4ELi7EEEviiPKT_S4_PS2_ii,"axG",@progbits,_ZN5aiter32wv_splitk_small_fp16_bf16_kernelI14__hip_bfloat16Li64ELi1ELi1ELi8ELi4ELi7EEEviiPKT_S4_PS2_ii,comdat
.Lfunc_end32:
	.size	_ZN5aiter32wv_splitk_small_fp16_bf16_kernelI14__hip_bfloat16Li64ELi1ELi1ELi8ELi4ELi7EEEviiPKT_S4_PS2_ii, .Lfunc_end32-_ZN5aiter32wv_splitk_small_fp16_bf16_kernelI14__hip_bfloat16Li64ELi1ELi1ELi8ELi4ELi7EEEviiPKT_S4_PS2_ii
                                        ; -- End function
	.section	.AMDGPU.csdata,"",@progbits
; Kernel info:
; codeLenInByte = 6200
; NumSgprs: 37
; NumVgprs: 200
; NumAgprs: 0
; TotalNumVgprs: 200
; ScratchSize: 0
; MemoryBound: 0
; FloatMode: 240
; IeeeMode: 1
; LDSByteSize: 0 bytes/workgroup (compile time only)
; SGPRBlocks: 4
; VGPRBlocks: 24
; NumSGPRsForWavesPerEU: 37
; NumVGPRsForWavesPerEU: 200
; AccumOffset: 200
; Occupancy: 2
; WaveLimiterHint : 0
; COMPUTE_PGM_RSRC2:SCRATCH_EN: 0
; COMPUTE_PGM_RSRC2:USER_SGPR: 2
; COMPUTE_PGM_RSRC2:TRAP_HANDLER: 0
; COMPUTE_PGM_RSRC2:TGID_X_EN: 1
; COMPUTE_PGM_RSRC2:TGID_Y_EN: 0
; COMPUTE_PGM_RSRC2:TGID_Z_EN: 0
; COMPUTE_PGM_RSRC2:TIDIG_COMP_CNT: 1
; COMPUTE_PGM_RSRC3_GFX90A:ACCUM_OFFSET: 49
; COMPUTE_PGM_RSRC3_GFX90A:TG_SPLIT: 0
	.section	.text._ZN5aiter32wv_splitk_small_fp16_bf16_kernelI14__hip_bfloat16Li64ELi1ELi1ELi8ELi4ELi8EEEviiPKT_S4_PS2_ii,"axG",@progbits,_ZN5aiter32wv_splitk_small_fp16_bf16_kernelI14__hip_bfloat16Li64ELi1ELi1ELi8ELi4ELi8EEEviiPKT_S4_PS2_ii,comdat
	.protected	_ZN5aiter32wv_splitk_small_fp16_bf16_kernelI14__hip_bfloat16Li64ELi1ELi1ELi8ELi4ELi8EEEviiPKT_S4_PS2_ii ; -- Begin function _ZN5aiter32wv_splitk_small_fp16_bf16_kernelI14__hip_bfloat16Li64ELi1ELi1ELi8ELi4ELi8EEEviiPKT_S4_PS2_ii
	.globl	_ZN5aiter32wv_splitk_small_fp16_bf16_kernelI14__hip_bfloat16Li64ELi1ELi1ELi8ELi4ELi8EEEviiPKT_S4_PS2_ii
	.p2align	8
	.type	_ZN5aiter32wv_splitk_small_fp16_bf16_kernelI14__hip_bfloat16Li64ELi1ELi1ELi8ELi4ELi8EEEviiPKT_S4_PS2_ii,@function
_ZN5aiter32wv_splitk_small_fp16_bf16_kernelI14__hip_bfloat16Li64ELi1ELi1ELi8ELi4ELi8EEEviiPKT_S4_PS2_ii: ; @_ZN5aiter32wv_splitk_small_fp16_bf16_kernelI14__hip_bfloat16Li64ELi1ELi1ELi8ELi4ELi8EEEviiPKT_S4_PS2_ii
; %bb.0:
	s_load_dwordx2 s[4:5], s[0:1], 0x20
	s_load_dwordx2 s[6:7], s[0:1], 0x0
	v_bfe_u32 v1, v0, 10, 10
	s_waitcnt lgkmcnt(0)
	s_mul_i32 s2, s2, s4
	v_add_u32_e32 v112, s2, v1
	v_cmp_gt_u32_e32 vcc, s7, v112
	s_and_saveexec_b64 s[2:3], vcc
	s_cbranch_execz .LBB33_58
; %bb.1:
	s_load_dwordx4 s[8:11], s[0:1], 0x8
	s_load_dwordx2 s[12:13], s[0:1], 0x18
	s_cmp_lg_u32 s6, 0
	v_and_b32_e32 v0, 0x3ff, v0
	v_lshlrev_b32_e32 v114, 3, v0
	s_cselect_b64 s[2:3], -1, 0
	v_cmp_eq_u32_e64 s[0:1], 63, v0
	s_mul_i32 s24, s5, s4
	v_lshl_add_u32 v115, s6, 1, v114
	v_cndmask_b32_e64 v0, 0, 1, s[2:3]
	s_mul_i32 s25, s24, s6
	v_lshl_add_u32 v156, s6, 2, v114
	v_add_u32_e32 v157, s6, v114
	s_mov_b64 s[14:15], 0
	s_mov_b32 s26, 0x5040100
	s_mov_b32 s27, 0x7060302
	;; [unrolled: 1-line block ×3, first 2 shown]
	s_movk_i32 s29, 0x7fff
	v_cmp_ne_u32_e64 s[2:3], 1, v0
	v_mad_u64_u32 v[116:117], s[4:5], s6, v112, v[114:115]
	v_mad_u64_u32 v[118:119], s[4:5], s6, 3, v[114:115]
	;; [unrolled: 1-line block ×5, first 2 shown]
	v_mov_b32_e32 v127, 0
                                        ; implicit-def: $vgpr22
                                        ; implicit-def: $vgpr26
                                        ; implicit-def: $vgpr27
                                        ; implicit-def: $vgpr154
                                        ; implicit-def: $vgpr57
                                        ; implicit-def: $vgpr59
                                        ; implicit-def: $vgpr137
                                        ; implicit-def: $vgpr140
                                        ; implicit-def: $vgpr141
                                        ; implicit-def: $vgpr139
                                        ; implicit-def: $vgpr142
                                        ; implicit-def: $vgpr143
                                        ; implicit-def: $vgpr189
                                        ; implicit-def: $vgpr195
                                        ; implicit-def: $vgpr196
                                        ; implicit-def: $vgpr144
                                        ; implicit-def: $vgpr145
                                        ; implicit-def: $vgpr146
                                        ; implicit-def: $vgpr197
                                        ; implicit-def: $vgpr147
                                        ; implicit-def: $vgpr148
                                        ; implicit-def: $vgpr190
                                        ; implicit-def: $vgpr198
                                        ; implicit-def: $vgpr199
                                        ; implicit-def: $vgpr149
                                        ; implicit-def: $vgpr150
                                        ; implicit-def: $vgpr151
                                        ; implicit-def: $vgpr200
                                        ; implicit-def: $vgpr152
                                        ; implicit-def: $vgpr153
                                        ; implicit-def: $vgpr191
                                        ; implicit-def: $vgpr201
                                        ; implicit-def: $vgpr202
                                        ; implicit-def: $vgpr205
                                        ; implicit-def: $vgpr206
                                        ; implicit-def: $vgpr207
                                        ; implicit-def: $vgpr162
                                        ; implicit-def: $vgpr165
                                        ; implicit-def: $vgpr170
                                        ; implicit-def: $vgpr172
                                        ; implicit-def: $vgpr192
                                        ; implicit-def: $vgpr87
                                        ; implicit-def: $vgpr160
                                        ; implicit-def: $vgpr163
                                        ; implicit-def: $vgpr168
                                        ; implicit-def: $vgpr171
                                        ; implicit-def: $vgpr85
                                        ; implicit-def: $vgpr67
                                        ; implicit-def: $vgpr158
                                        ; implicit-def: $vgpr161
                                        ; implicit-def: $vgpr166
                                        ; implicit-def: $vgpr169
                                        ; implicit-def: $vgpr65
                                        ; implicit-def: $vgpr43
                                        ; implicit-def: $vgpr155
                                        ; implicit-def: $vgpr159
                                        ; implicit-def: $vgpr164
                                        ; implicit-def: $vgpr167
                                        ; implicit-def: $vgpr41
                                        ; implicit-def: $vgpr23
                                        ; implicit-def: $vgpr19
                                        ; implicit-def: $vgpr39
                                        ; implicit-def: $vgpr14
                                        ; implicit-def: $vgpr34
                                        ; implicit-def: $vgpr21
                                        ; implicit-def: $vgpr42
                                        ; implicit-def: $vgpr176
                                        ; implicit-def: $vgpr173
                                        ; implicit-def: $vgpr51
                                        ; implicit-def: $vgpr63
                                        ; implicit-def: $vgpr35
                                        ; implicit-def: $vgpr54
                                        ; implicit-def: $vgpr97
                                        ; implicit-def: $vgpr66
                                        ; implicit-def: $vgpr175
                                        ; implicit-def: $vgpr174
                                        ; implicit-def: $vgpr75
                                        ; implicit-def: $vgpr83
                                        ; implicit-def: $vgpr55
                                        ; implicit-def: $vgpr78
                                        ; implicit-def: $vgpr101
                                        ; implicit-def: $vgpr86
                                        ; implicit-def: $vgpr180
                                        ; implicit-def: $vgpr178
                                        ; implicit-def: $vgpr95
                                        ; implicit-def: $vgpr208
                                        ; implicit-def: $vgpr79
                                        ; implicit-def: $vgpr203
                                        ; implicit-def: $vgpr109
                                        ; implicit-def: $vgpr193
                                        ; implicit-def: $vgpr184
                                        ; implicit-def: $vgpr183
                                        ; implicit-def: $vgpr15
                                        ; implicit-def: $vgpr46
                                        ; implicit-def: $vgpr58
                                        ; implicit-def: $vgpr98
                                        ; implicit-def: $vgpr179
                                        ; implicit-def: $vgpr177
                                        ; implicit-def: $vgpr47
                                        ; implicit-def: $vgpr70
                                        ; implicit-def: $vgpr99
                                        ; implicit-def: $vgpr102
                                        ; implicit-def: $vgpr182
                                        ; implicit-def: $vgpr181
                                        ; implicit-def: $vgpr71
                                        ; implicit-def: $vgpr90
                                        ; implicit-def: $vgpr103
                                        ; implicit-def: $vgpr110
                                        ; implicit-def: $vgpr186
                                        ; implicit-def: $vgpr185
                                        ; implicit-def: $vgpr91
                                        ; implicit-def: $vgpr204
                                        ; implicit-def: $vgpr111
                                        ; implicit-def: $vgpr194
                                        ; implicit-def: $vgpr188
                                        ; implicit-def: $vgpr187
                                        ; implicit-def: $vgpr76
                                        ; implicit-def: $vgpr81
                                        ; implicit-def: $vgpr84
                                        ; implicit-def: $vgpr89
                                        ; implicit-def: $vgpr94
                                        ; implicit-def: $vgpr52
                                        ; implicit-def: $vgpr61
                                        ; implicit-def: $vgpr64
                                        ; implicit-def: $vgpr69
                                        ; implicit-def: $vgpr74
                                        ; implicit-def: $vgpr32
                                        ; implicit-def: $vgpr37
                                        ; implicit-def: $vgpr40
                                        ; implicit-def: $vgpr45
                                        ; implicit-def: $vgpr50
                                        ; implicit-def: $vgpr12
                                        ; implicit-def: $vgpr17
                                        ; implicit-def: $vgpr20
                                        ; implicit-def: $vgpr25
                                        ; implicit-def: $vgpr30
                                        ; implicit-def: $vgpr104_vgpr105_vgpr106_vgpr107
                                        ; implicit-def: $vgpr0_vgpr1_vgpr2_vgpr3
                                        ; implicit-def: $vgpr4_vgpr5_vgpr6_vgpr7
                                        ; implicit-def: $vgpr8_vgpr9_vgpr10_vgpr11
                                        ; implicit-def: $vgpr108
                                        ; implicit-def: $vgpr100
                                        ; implicit-def: $vgpr96
                                        ; implicit-def: $vgpr56
	s_branch .LBB33_4
.LBB33_2:                               ;   in Loop: Header=BB33_4 Depth=1
	s_or_b64 exec, exec, s[16:17]
	v_add_u32_e32 v126, s7, v126
	v_lshl_add_u64 v[128:129], v[126:127], 1, s[12:13]
	global_store_short_d16_hi v[128:129], v113, off
.LBB33_3:                               ;   in Loop: Header=BB33_4 Depth=1
	s_or_b64 exec, exec, s[4:5]
	v_add_u32_e32 v112, s24, v112
	v_cmp_le_u32_e32 vcc, s7, v112
	v_perm_b32 v165, v216, v165, s26
	v_perm_b32 v172, v215, v172, s26
	v_perm_b32 v192, v214, v192, s26
	v_perm_b32 v87, v213, v87, s26
	v_perm_b32 v163, v212, v163, s26
	v_perm_b32 v171, v211, v171, s26
	v_perm_b32 v85, v210, v85, s26
	v_perm_b32 v67, v209, v67, s26
	v_perm_b32 v161, v138, v161, s26
	v_perm_b32 v169, v136, v169, s26
	v_perm_b32 v65, v125, v65, s26
	v_perm_b32 v43, v123, v43, s26
	v_perm_b32 v159, v121, v159, s26
	v_perm_b32 v167, v119, v167, s26
	v_perm_b32 v41, v117, v41, s26
	v_perm_b32 v23, v31, v23, s26
	s_or_b64 s[14:15], vcc, s[14:15]
	v_add_u32_e32 v116, s25, v116
	s_andn2_b64 exec, exec, s[14:15]
	s_cbranch_execz .LBB33_58
.LBB33_4:                               ; =>This Loop Header: Depth=1
                                        ;     Child Loop BB33_10 Depth 2
	s_and_b64 vcc, exec, s[2:3]
	s_cbranch_vccnz .LBB33_24
; %bb.5:                                ;   in Loop: Header=BB33_4 Depth=1
	v_mov_b32_e32 v128, 0
	s_mov_b32 s30, 0
	v_mov_b32_e32 v129, v128
	v_mov_b32_e32 v130, v128
	v_mov_b32_e32 v131, v128
	v_mov_b32_e32 v132, v128
	v_mov_b32_e32 v133, v128
	v_mov_b32_e32 v134, v128
	v_mov_b32_e32 v135, v128
	s_branch .LBB33_10
.LBB33_6:                               ;   in Loop: Header=BB33_10 Depth=2
	s_or_b64 exec, exec, s[20:21]
.LBB33_7:                               ;   in Loop: Header=BB33_10 Depth=2
	s_or_b64 exec, exec, s[18:19]
.LBB33_8:                               ;   in Loop: Header=BB33_10 Depth=2
	s_or_b64 exec, exec, s[16:17]
.LBB33_9:                               ;   in Loop: Header=BB33_10 Depth=2
	s_or_b64 exec, exec, s[4:5]
	s_addk_i32 s30, 0x800
	s_cmp_ge_u32 s30, s6
	s_cbranch_scc1 .LBB33_23
.LBB33_10:                              ;   Parent Loop BB33_4 Depth=1
                                        ; =>  This Inner Loop Header: Depth=2
	v_add_u32_e32 v136, s30, v114
	v_cmp_gt_u32_e32 vcc, s6, v136
	v_add_u32_e32 v138, 0x200, v136
	s_and_saveexec_b64 s[16:17], vcc
	s_cbranch_execz .LBB33_18
; %bb.11:                               ;   in Loop: Header=BB33_10 Depth=2
	v_add_u32_e32 v126, s30, v116
	v_mov_b32_e32 v137, v127
	v_add_u32_e32 v152, s30, v157
	v_mov_b32_e32 v153, v127
	;; [unrolled: 2-line block ×4, first 2 shown]
	s_waitcnt lgkmcnt(0)
	v_lshl_add_u64 v[8:9], v[126:127], 1, s[8:9]
	v_lshl_add_u64 v[16:17], v[136:137], 1, s[10:11]
	v_lshl_add_u64 v[18:19], v[152:153], 1, s[10:11]
	v_lshl_add_u64 v[26:27], v[150:151], 1, s[10:11]
	v_lshl_add_u64 v[36:37], v[148:149], 1, s[10:11]
	v_add_u32_e32 v146, s30, v156
	v_mov_b32_e32 v147, v127
	v_add_u32_e32 v144, s30, v120
	v_mov_b32_e32 v145, v127
	global_load_dwordx4 v[8:11], v[8:9], off nt
	s_nop 0
	global_load_dwordx4 v[28:31], v[16:17], off
	s_nop 0
	global_load_dwordx4 v[16:19], v[18:19], off
	;; [unrolled: 2-line block ×4, first 2 shown]
	v_lshl_add_u64 v[26:27], v[146:147], 1, s[10:11]
	v_lshl_add_u64 v[60:61], v[144:145], 1, s[10:11]
	v_add_u32_e32 v142, s30, v122
	v_mov_b32_e32 v143, v127
	v_add_u32_e32 v140, s30, v124
	v_mov_b32_e32 v141, v127
	global_load_dwordx4 v[72:75], v[26:27], off
	s_nop 0
	global_load_dwordx4 v[60:63], v[60:61], off
	v_lshl_add_u64 v[26:27], v[142:143], 1, s[10:11]
	v_lshl_add_u64 v[80:81], v[140:141], 1, s[10:11]
	global_load_dwordx4 v[92:95], v[26:27], off
	s_nop 0
	global_load_dwordx4 v[80:83], v[80:81], off
	v_cmp_gt_u32_e64 s[4:5], s6, v138
	s_and_saveexec_b64 s[18:19], s[4:5]
	s_cbranch_execz .LBB33_17
; %bb.12:                               ;   in Loop: Header=BB33_10 Depth=2
	v_add_u32_e32 v4, 0x200, v126
	v_mov_b32_e32 v5, v127
	v_mov_b32_e32 v139, v127
	v_add_u32_e32 v14, 0x200, v152
	v_mov_b32_e32 v15, v127
	v_add_u32_e32 v32, 0x200, v150
	;; [unrolled: 2-line block ×7, first 2 shown]
	v_mov_b32_e32 v79, v127
	v_lshl_add_u64 v[4:5], v[4:5], 1, s[8:9]
	v_lshl_add_u64 v[12:13], v[138:139], 1, s[10:11]
	;; [unrolled: 1-line block ×9, first 2 shown]
	global_load_dwordx4 v[4:7], v[4:5], off nt
	s_nop 0
	global_load_dwordx4 v[24:27], v[12:13], off
	s_nop 0
	global_load_dwordx4 v[12:15], v[14:15], off
	;; [unrolled: 2-line block ×8, first 2 shown]
	v_add_u32_e32 v22, 0x400, v136
	v_cmp_gt_u32_e64 s[4:5], s6, v22
	s_and_saveexec_b64 s[20:21], s[4:5]
	s_cbranch_execz .LBB33_16
; %bb.13:                               ;   in Loop: Header=BB33_10 Depth=2
	v_mov_b32_e32 v23, v127
	v_add_u32_e32 v0, 0x400, v126
	v_mov_b32_e32 v1, v127
	v_lshl_add_u64 v[20:21], v[22:23], 1, s[10:11]
	v_add_u32_e32 v22, 0x400, v152
	v_lshl_add_u64 v[0:1], v[0:1], 1, s[8:9]
	v_lshl_add_u64 v[40:41], v[22:23], 1, s[10:11]
	global_load_dwordx4 v[0:3], v[0:1], off nt
	s_nop 0
	global_load_dwordx4 v[20:23], v[20:21], off
	s_nop 0
	global_load_dwordx4 v[56:59], v[40:41], off
	v_add_u32_e32 v40, 0x400, v150
	v_mov_b32_e32 v41, v127
	v_add_u32_e32 v42, 0x400, v148
	v_mov_b32_e32 v43, v127
	v_lshl_add_u64 v[40:41], v[40:41], 1, s[10:11]
	v_lshl_add_u64 v[64:65], v[42:43], 1, s[10:11]
	global_load_dwordx4 v[40:43], v[40:41], off
	s_nop 0
	global_load_dwordx4 v[96:99], v[64:65], off
	v_add_u32_e32 v64, 0x400, v146
	v_mov_b32_e32 v65, v127
	v_add_u32_e32 v66, 0x400, v144
	v_mov_b32_e32 v67, v127
	v_lshl_add_u64 v[64:65], v[64:65], 1, s[10:11]
	v_lshl_add_u64 v[84:85], v[66:67], 1, s[10:11]
	;; [unrolled: 9-line block ×3, first 2 shown]
	global_load_dwordx4 v[84:87], v[84:85], off
	s_nop 0
	global_load_dwordx4 v[108:111], v[108:109], off
	v_add_u32_e32 v154, 0x600, v136
	v_cmp_gt_u32_e64 s[4:5], s6, v154
	s_and_saveexec_b64 s[22:23], s[4:5]
	s_cbranch_execz .LBB33_15
; %bb.14:                               ;   in Loop: Header=BB33_10 Depth=2
	v_add_u32_e32 v126, 0x600, v126
	v_lshl_add_u64 v[104:105], v[126:127], 1, s[8:9]
	v_mov_b32_e32 v155, v127
	v_add_u32_e32 v126, 0x600, v152
	v_lshl_add_u64 v[106:107], v[154:155], 1, s[10:11]
	v_lshl_add_u64 v[152:153], v[126:127], 1, s[10:11]
	v_add_u32_e32 v126, 0x600, v150
	global_load_dwordx4 v[190:193], v[106:107], off
	global_load_dwordx4 v[194:197], v[152:153], off
	v_lshl_add_u64 v[106:107], v[126:127], 1, s[10:11]
	v_add_u32_e32 v126, 0x600, v148
	v_lshl_add_u64 v[152:153], v[126:127], 1, s[10:11]
	v_add_u32_e32 v126, 0x600, v146
	global_load_dwordx4 v[148:151], v[106:107], off
	global_load_dwordx4 v[184:187], v[152:153], off
	v_lshl_add_u64 v[106:107], v[126:127], 1, s[10:11]
	v_add_u32_e32 v126, 0x600, v144
	;; [unrolled: 6-line block ×3, first 2 shown]
	v_lshl_add_u64 v[152:153], v[126:127], 1, s[10:11]
	global_load_dwordx4 v[140:143], v[106:107], off
	global_load_dwordx4 v[202:205], v[152:153], off
	s_nop 0
	global_load_dwordx4 v[104:107], v[104:105], off nt
	s_waitcnt vmcnt(7)
	v_perm_b32 v155, v193, v197, s26
	v_perm_b32 v159, v192, v196, s26
	v_perm_b32 v177, v191, v195, s26
	v_perm_b32 v173, v190, v194, s26
	v_perm_b32 v164, v193, v197, s27
	v_perm_b32 v167, v192, v196, s27
	v_perm_b32 v179, v191, v195, s27
	s_waitcnt vmcnt(5)
	v_perm_b32 v158, v151, v187, s26
	v_perm_b32 v161, v150, v186, s26
	v_perm_b32 v181, v149, v185, s26
	v_perm_b32 v174, v148, v184, s26
	v_perm_b32 v166, v151, v187, s27
	v_perm_b32 v169, v150, v186, s27
	v_perm_b32 v182, v149, v185, s27
	v_perm_b32 v175, v148, v184, s27
	s_waitcnt vmcnt(3)
	v_perm_b32 v160, v147, v201, s26
	;; [unrolled: 9-line block ×3, first 2 shown]
	v_perm_b32 v165, v142, v204, s26
	v_perm_b32 v187, v141, v203, s26
	;; [unrolled: 1-line block ×8, first 2 shown]
.LBB33_15:                              ;   in Loop: Header=BB33_10 Depth=2
	s_or_b64 exec, exec, s[22:23]
	s_waitcnt vmcnt(7)
	v_lshrrev_b32_e32 v191, 16, v20
	s_waitcnt vmcnt(5)
	v_lshrrev_b32_e32 v190, 16, v40
	;; [unrolled: 2-line block ×4, first 2 shown]
	s_waitcnt vmcnt(0)
	v_perm_b32 v192, v87, v111, s26
	v_perm_b32 v194, v86, v110, s26
	;; [unrolled: 1-line block ×24, first 2 shown]
.LBB33_16:                              ;   in Loop: Header=BB33_10 Depth=2
	s_or_b64 exec, exec, s[20:21]
	s_waitcnt vmcnt(7)
	v_lshrrev_b32_e32 v202, 16, v24
	v_lshrrev_b32_e32 v201, 16, v25
	s_waitcnt vmcnt(6)
	v_lshrrev_b32_e32 v200, 16, v12
	s_waitcnt vmcnt(5)
	v_lshrrev_b32_e32 v199, 16, v44
	v_lshrrev_b32_e32 v198, 16, v45
	s_waitcnt vmcnt(4)
	v_lshrrev_b32_e32 v197, 16, v32
	;; [unrolled: 5-line block ×4, first 2 shown]
	v_perm_b32 v204, v91, v79, s26
	v_perm_b32 v203, v90, v78, s26
	;; [unrolled: 1-line block ×16, first 2 shown]
.LBB33_17:                              ;   in Loop: Header=BB33_10 Depth=2
	s_or_b64 exec, exec, s[18:19]
	s_waitcnt vmcnt(7)
	v_lshrrev_b32_e32 v207, 16, v28
	v_lshrrev_b32_e32 v206, 16, v29
	v_lshrrev_b32_e32 v205, 16, v30
	s_waitcnt vmcnt(6)
	v_lshrrev_b32_e32 v153, 16, v16
	v_lshrrev_b32_e32 v152, 16, v17
	s_waitcnt vmcnt(5)
	v_lshrrev_b32_e32 v151, 16, v48
	v_lshrrev_b32_e32 v150, 16, v49
	v_lshrrev_b32_e32 v149, 16, v50
	s_waitcnt vmcnt(4)
	v_lshrrev_b32_e32 v148, 16, v36
	v_lshrrev_b32_e32 v147, 16, v37
	;; [unrolled: 7-line block ×4, first 2 shown]
	v_perm_b32 v208, v95, v83, s26
	v_perm_b32 v95, v95, v83, s27
	;; [unrolled: 1-line block ×8, first 2 shown]
.LBB33_18:                              ;   in Loop: Header=BB33_10 Depth=2
	s_or_b64 exec, exec, s[16:17]
	s_and_saveexec_b64 s[4:5], vcc
	s_cbranch_execz .LBB33_9
; %bb.19:                               ;   in Loop: Header=BB33_10 Depth=2
	v_lshlrev_b32_e32 v126, 16, v8
	v_lshlrev_b32_e32 v213, 16, v28
	;; [unrolled: 1-line block ×3, first 2 shown]
	v_and_b32_e32 v210, 0xffff0000, v8
	v_lshlrev_b32_e32 v215, 16, v207
	v_lshlrev_b32_e32 v216, 16, v9
	;; [unrolled: 1-line block ×3, first 2 shown]
	v_pk_mul_f32 v[212:213], v[126:127], v[212:213] op_sel_hi:[0,1]
	v_lshlrev_b32_e32 v229, 16, v29
	v_lshlrev_b32_e32 v228, 16, v17
	v_and_b32_e32 v218, 0xffff0000, v9
	v_pk_mul_f32 v[214:215], v[210:211], v[214:215] op_sel_hi:[0,1]
	v_pk_fma_f32 v[212:213], v[228:229], v[216:217], v[212:213] op_sel_hi:[1,0,1]
	v_lshlrev_b32_e32 v229, 16, v206
	v_lshlrev_b32_e32 v228, 16, v152
	v_lshlrev_b32_e32 v220, 16, v10
	v_pk_fma_f32 v[214:215], v[228:229], v[218:219], v[214:215] op_sel_hi:[1,0,1]
	v_lshlrev_b32_e32 v229, 16, v30
	v_lshlrev_b32_e32 v228, 16, v18
	v_and_b32_e32 v222, 0xffff0000, v10
	v_pk_fma_f32 v[212:213], v[228:229], v[220:221], v[212:213] op_sel_hi:[1,0,1]
	v_and_b32_e32 v228, 0xffff0000, v18
	v_lshlrev_b32_e32 v229, 16, v205
	v_lshlrev_b32_e32 v224, 16, v11
	v_pk_fma_f32 v[214:215], v[228:229], v[222:223], v[214:215] op_sel_hi:[1,0,1]
	v_and_b32_e32 v229, 0xffff0000, v39
	v_lshlrev_b32_e32 v228, 16, v39
	v_and_b32_e32 v226, 0xffff0000, v11
	v_pk_fma_f32 v[212:213], v[228:229], v[224:225], v[212:213] op_sel_hi:[1,0,1]
	v_and_b32_e32 v229, 0xffff0000, v19
	v_lshlrev_b32_e32 v228, 16, v19
	v_pk_fma_f32 v[214:215], v[228:229], v[226:227], v[214:215] op_sel_hi:[1,0,1]
	v_lshlrev_b32_e32 v229, 16, v49
	v_pk_add_f32 v[212:213], v[212:213], v[214:215]
	v_lshlrev_b32_e32 v215, 16, v151
	v_pk_add_f32 v[134:135], v[212:213], v[134:135]
	v_lshlrev_b32_e32 v213, 16, v48
	v_lshlrev_b32_e32 v212, 16, v36
	;; [unrolled: 1-line block ×3, first 2 shown]
	v_pk_mul_f32 v[212:213], v[126:127], v[212:213] op_sel_hi:[0,1]
	v_lshlrev_b32_e32 v228, 16, v37
	v_pk_mul_f32 v[214:215], v[210:211], v[214:215] op_sel_hi:[0,1]
	v_pk_fma_f32 v[212:213], v[228:229], v[216:217], v[212:213] op_sel_hi:[1,0,1]
	v_lshlrev_b32_e32 v229, 16, v150
	v_lshlrev_b32_e32 v228, 16, v147
	v_pk_fma_f32 v[214:215], v[228:229], v[218:219], v[214:215] op_sel_hi:[1,0,1]
	v_lshlrev_b32_e32 v229, 16, v50
	v_lshlrev_b32_e32 v228, 16, v38
	v_pk_fma_f32 v[212:213], v[228:229], v[220:221], v[212:213] op_sel_hi:[1,0,1]
	v_and_b32_e32 v228, 0xffff0000, v38
	v_lshlrev_b32_e32 v229, 16, v149
	v_pk_fma_f32 v[214:215], v[228:229], v[222:223], v[214:215] op_sel_hi:[1,0,1]
	v_and_b32_e32 v229, 0xffff0000, v63
	;; [unrolled: 3-line block ×3, first 2 shown]
	v_lshlrev_b32_e32 v228, 16, v51
	v_pk_fma_f32 v[214:215], v[228:229], v[226:227], v[214:215] op_sel_hi:[1,0,1]
	v_lshlrev_b32_e32 v229, 16, v73
	v_pk_add_f32 v[212:213], v[212:213], v[214:215]
	v_lshlrev_b32_e32 v215, 16, v146
	v_pk_add_f32 v[132:133], v[212:213], v[132:133]
	v_lshlrev_b32_e32 v213, 16, v72
	v_lshlrev_b32_e32 v212, 16, v60
	;; [unrolled: 1-line block ×3, first 2 shown]
	v_pk_mul_f32 v[212:213], v[126:127], v[212:213] op_sel_hi:[0,1]
	v_lshlrev_b32_e32 v228, 16, v61
	v_pk_mul_f32 v[214:215], v[210:211], v[214:215] op_sel_hi:[0,1]
	v_pk_fma_f32 v[212:213], v[228:229], v[216:217], v[212:213] op_sel_hi:[1,0,1]
	v_lshlrev_b32_e32 v229, 16, v145
	v_lshlrev_b32_e32 v228, 16, v142
	v_pk_fma_f32 v[214:215], v[228:229], v[218:219], v[214:215] op_sel_hi:[1,0,1]
	v_lshlrev_b32_e32 v229, 16, v74
	v_lshlrev_b32_e32 v228, 16, v62
	v_pk_fma_f32 v[212:213], v[228:229], v[220:221], v[212:213] op_sel_hi:[1,0,1]
	v_and_b32_e32 v228, 0xffff0000, v62
	v_lshlrev_b32_e32 v229, 16, v144
	v_pk_fma_f32 v[214:215], v[228:229], v[222:223], v[214:215] op_sel_hi:[1,0,1]
	v_and_b32_e32 v229, 0xffff0000, v83
	;; [unrolled: 3-line block ×3, first 2 shown]
	v_lshlrev_b32_e32 v228, 16, v75
	v_pk_fma_f32 v[214:215], v[228:229], v[226:227], v[214:215] op_sel_hi:[1,0,1]
	v_cmp_gt_u32_e32 vcc, s6, v138
	v_pk_add_f32 v[212:213], v[212:213], v[214:215]
	v_lshlrev_b32_e32 v215, 16, v141
	v_pk_add_f32 v[130:131], v[212:213], v[130:131]
	v_lshlrev_b32_e32 v213, 16, v92
	v_lshlrev_b32_e32 v212, 16, v80
	v_lshlrev_b32_e32 v214, 16, v27
	v_pk_mul_f32 v[212:213], v[126:127], v[212:213] op_sel_hi:[0,1]
	v_pk_mul_f32 v[210:211], v[210:211], v[214:215] op_sel_hi:[0,1]
	v_lshlrev_b32_e32 v215, 16, v93
	v_lshlrev_b32_e32 v214, 16, v81
	v_pk_fma_f32 v[212:213], v[214:215], v[216:217], v[212:213] op_sel_hi:[1,0,1]
	v_lshlrev_b32_e32 v215, 16, v140
	v_lshlrev_b32_e32 v214, 16, v26
	v_pk_fma_f32 v[210:211], v[214:215], v[218:219], v[210:211] op_sel_hi:[1,0,1]
	;; [unrolled: 3-line block ×3, first 2 shown]
	v_and_b32_e32 v214, 0xffff0000, v82
	v_lshlrev_b32_e32 v215, 16, v137
	v_pk_fma_f32 v[210:211], v[214:215], v[222:223], v[210:211] op_sel_hi:[1,0,1]
	v_and_b32_e32 v215, 0xffff0000, v208
	v_lshlrev_b32_e32 v214, 16, v208
	v_pk_fma_f32 v[212:213], v[214:215], v[224:225], v[212:213] op_sel_hi:[1,0,1]
	;; [unrolled: 3-line block ×3, first 2 shown]
	s_nop 0
	v_pk_add_f32 v[210:211], v[212:213], v[210:211]
	s_nop 0
	v_pk_add_f32 v[128:129], v[210:211], v[128:129]
	s_and_saveexec_b64 s[16:17], vcc
	s_cbranch_execz .LBB33_8
; %bb.20:                               ;   in Loop: Header=BB33_10 Depth=2
	v_lshlrev_b32_e32 v126, 16, v4
	v_lshlrev_b32_e32 v223, 16, v24
	;; [unrolled: 1-line block ×3, first 2 shown]
	v_and_b32_e32 v138, 0xffff0000, v4
	v_lshlrev_b32_e32 v210, 16, v5
	v_pk_mul_f32 v[222:223], v[126:127], v[222:223] op_sel_hi:[0,1]
	v_lshlrev_b32_e32 v225, 16, v202
	v_lshlrev_b32_e32 v224, 16, v200
	;; [unrolled: 1-line block ×4, first 2 shown]
	v_and_b32_e32 v212, 0xffff0000, v5
	v_pk_mul_f32 v[224:225], v[138:139], v[224:225] op_sel_hi:[0,1]
	v_pk_fma_f32 v[222:223], v[226:227], v[210:211], v[222:223] op_sel_hi:[1,0,1]
	v_and_b32_e32 v226, 0xffff0000, v13
	v_lshlrev_b32_e32 v227, 16, v201
	v_lshlrev_b32_e32 v214, 16, v6
	v_pk_fma_f32 v[224:225], v[226:227], v[212:213], v[224:225] op_sel_hi:[1,0,1]
	v_and_b32_e32 v227, 0xffff0000, v34
	v_lshlrev_b32_e32 v226, 16, v34
	v_and_b32_e32 v216, 0xffff0000, v6
	v_pk_fma_f32 v[222:223], v[226:227], v[214:215], v[222:223] op_sel_hi:[1,0,1]
	v_and_b32_e32 v227, 0xffff0000, v14
	v_lshlrev_b32_e32 v226, 16, v14
	v_lshlrev_b32_e32 v218, 16, v7
	v_pk_fma_f32 v[224:225], v[226:227], v[216:217], v[224:225] op_sel_hi:[1,0,1]
	v_and_b32_e32 v227, 0xffff0000, v46
	v_lshlrev_b32_e32 v226, 16, v46
	v_and_b32_e32 v220, 0xffff0000, v7
	v_pk_fma_f32 v[222:223], v[226:227], v[218:219], v[222:223] op_sel_hi:[1,0,1]
	v_and_b32_e32 v227, 0xffff0000, v15
	v_lshlrev_b32_e32 v226, 16, v15
	v_pk_fma_f32 v[224:225], v[226:227], v[220:221], v[224:225] op_sel_hi:[1,0,1]
	v_lshlrev_b32_e32 v227, 16, v45
	v_pk_add_f32 v[222:223], v[222:223], v[224:225]
	v_lshlrev_b32_e32 v225, 16, v199
	v_pk_add_f32 v[134:135], v[222:223], v[134:135]
	v_lshlrev_b32_e32 v223, 16, v44
	v_lshlrev_b32_e32 v222, 16, v32
	v_pk_mul_f32 v[222:223], v[126:127], v[222:223] op_sel_hi:[0,1]
	v_lshlrev_b32_e32 v224, 16, v197
	v_lshlrev_b32_e32 v226, 16, v33
	v_pk_mul_f32 v[224:225], v[138:139], v[224:225] op_sel_hi:[0,1]
	v_pk_fma_f32 v[222:223], v[226:227], v[210:211], v[222:223] op_sel_hi:[1,0,1]
	v_and_b32_e32 v226, 0xffff0000, v33
	v_lshlrev_b32_e32 v227, 16, v198
	v_pk_fma_f32 v[224:225], v[226:227], v[212:213], v[224:225] op_sel_hi:[1,0,1]
	v_and_b32_e32 v227, 0xffff0000, v54
	v_lshlrev_b32_e32 v226, 16, v54
	v_pk_fma_f32 v[222:223], v[226:227], v[214:215], v[222:223] op_sel_hi:[1,0,1]
	v_and_b32_e32 v227, 0xffff0000, v35
	v_lshlrev_b32_e32 v226, 16, v35
	v_pk_fma_f32 v[224:225], v[226:227], v[216:217], v[224:225] op_sel_hi:[1,0,1]
	v_and_b32_e32 v227, 0xffff0000, v70
	v_lshlrev_b32_e32 v226, 16, v70
	v_pk_fma_f32 v[222:223], v[226:227], v[218:219], v[222:223] op_sel_hi:[1,0,1]
	v_and_b32_e32 v227, 0xffff0000, v47
	v_lshlrev_b32_e32 v226, 16, v47
	v_pk_fma_f32 v[224:225], v[226:227], v[220:221], v[224:225] op_sel_hi:[1,0,1]
	v_lshlrev_b32_e32 v227, 16, v69
	v_pk_add_f32 v[222:223], v[222:223], v[224:225]
	v_lshlrev_b32_e32 v225, 16, v196
	v_pk_add_f32 v[132:133], v[222:223], v[132:133]
	v_lshlrev_b32_e32 v223, 16, v68
	v_lshlrev_b32_e32 v222, 16, v52
	v_pk_mul_f32 v[222:223], v[126:127], v[222:223] op_sel_hi:[0,1]
	v_lshlrev_b32_e32 v224, 16, v139
	v_lshlrev_b32_e32 v226, 16, v53
	v_pk_mul_f32 v[224:225], v[138:139], v[224:225] op_sel_hi:[0,1]
	v_pk_fma_f32 v[222:223], v[226:227], v[210:211], v[222:223] op_sel_hi:[1,0,1]
	v_and_b32_e32 v226, 0xffff0000, v53
	v_lshlrev_b32_e32 v227, 16, v195
	v_pk_fma_f32 v[224:225], v[226:227], v[212:213], v[224:225] op_sel_hi:[1,0,1]
	v_and_b32_e32 v227, 0xffff0000, v78
	v_lshlrev_b32_e32 v226, 16, v78
	v_pk_fma_f32 v[222:223], v[226:227], v[214:215], v[222:223] op_sel_hi:[1,0,1]
	v_and_b32_e32 v227, 0xffff0000, v55
	v_lshlrev_b32_e32 v226, 16, v55
	v_pk_fma_f32 v[224:225], v[226:227], v[216:217], v[224:225] op_sel_hi:[1,0,1]
	v_and_b32_e32 v227, 0xffff0000, v90
	v_lshlrev_b32_e32 v226, 16, v90
	;; [unrolled: 26-line block ×3, first 2 shown]
	v_pk_fma_f32 v[210:211], v[214:215], v[218:219], v[210:211] op_sel_hi:[1,0,1]
	v_and_b32_e32 v215, 0xffff0000, v91
	v_lshlrev_b32_e32 v214, 16, v91
	v_pk_fma_f32 v[212:213], v[214:215], v[220:221], v[212:213] op_sel_hi:[1,0,1]
	v_add_u32_e32 v31, 0x400, v136
	v_pk_add_f32 v[210:211], v[210:211], v[212:213]
	v_cmp_gt_u32_e32 vcc, s6, v31
	v_pk_add_f32 v[128:129], v[210:211], v[128:129]
	s_and_saveexec_b64 s[18:19], vcc
	s_cbranch_execz .LBB33_7
; %bb.21:                               ;   in Loop: Header=BB33_10 Depth=2
	v_lshlrev_b32_e32 v126, 16, v0
	v_lshlrev_b32_e32 v223, 16, v20
	;; [unrolled: 1-line block ×3, first 2 shown]
	v_and_b32_e32 v138, 0xffff0000, v0
	v_lshlrev_b32_e32 v210, 16, v1
	v_pk_mul_f32 v[222:223], v[126:127], v[222:223] op_sel_hi:[0,1]
	v_and_b32_e32 v224, 0xffff0000, v56
	v_lshlrev_b32_e32 v225, 16, v191
	v_and_b32_e32 v227, 0xffff0000, v42
	v_lshlrev_b32_e32 v226, 16, v42
	v_and_b32_e32 v212, 0xffff0000, v1
	v_pk_mul_f32 v[224:225], v[138:139], v[224:225] op_sel_hi:[0,1]
	v_pk_fma_f32 v[222:223], v[226:227], v[210:211], v[222:223] op_sel_hi:[1,0,1]
	v_and_b32_e32 v227, 0xffff0000, v21
	v_lshlrev_b32_e32 v226, 16, v21
	v_lshlrev_b32_e32 v214, 16, v2
	v_pk_fma_f32 v[224:225], v[226:227], v[212:213], v[224:225] op_sel_hi:[1,0,1]
	v_and_b32_e32 v227, 0xffff0000, v98
	v_lshlrev_b32_e32 v226, 16, v98
	v_and_b32_e32 v216, 0xffff0000, v2
	v_pk_fma_f32 v[222:223], v[226:227], v[214:215], v[222:223] op_sel_hi:[1,0,1]
	v_and_b32_e32 v227, 0xffff0000, v58
	v_lshlrev_b32_e32 v226, 16, v58
	v_lshlrev_b32_e32 v218, 16, v3
	v_pk_fma_f32 v[224:225], v[226:227], v[216:217], v[224:225] op_sel_hi:[1,0,1]
	v_and_b32_e32 v227, 0xffff0000, v41
	v_lshlrev_b32_e32 v226, 16, v41
	v_and_b32_e32 v220, 0xffff0000, v3
	v_pk_fma_f32 v[222:223], v[226:227], v[218:219], v[222:223] op_sel_hi:[1,0,1]
	v_and_b32_e32 v227, 0xffff0000, v23
	v_lshlrev_b32_e32 v226, 16, v23
	v_pk_fma_f32 v[224:225], v[226:227], v[220:221], v[224:225] op_sel_hi:[1,0,1]
	v_and_b32_e32 v227, 0xffff0000, v66
	v_pk_add_f32 v[222:223], v[222:223], v[224:225]
	v_and_b32_e32 v224, 0xffff0000, v96
	v_pk_add_f32 v[134:135], v[222:223], v[134:135]
	v_lshlrev_b32_e32 v223, 16, v40
	v_lshlrev_b32_e32 v222, 16, v96
	v_pk_mul_f32 v[222:223], v[126:127], v[222:223] op_sel_hi:[0,1]
	v_lshlrev_b32_e32 v225, 16, v190
	v_lshlrev_b32_e32 v226, 16, v66
	v_pk_mul_f32 v[224:225], v[138:139], v[224:225] op_sel_hi:[0,1]
	v_pk_fma_f32 v[222:223], v[226:227], v[210:211], v[222:223] op_sel_hi:[1,0,1]
	v_and_b32_e32 v227, 0xffff0000, v97
	v_lshlrev_b32_e32 v226, 16, v97
	v_pk_fma_f32 v[224:225], v[226:227], v[212:213], v[224:225] op_sel_hi:[1,0,1]
	v_and_b32_e32 v227, 0xffff0000, v102
	v_lshlrev_b32_e32 v226, 16, v102
	v_pk_fma_f32 v[222:223], v[226:227], v[214:215], v[222:223] op_sel_hi:[1,0,1]
	v_and_b32_e32 v227, 0xffff0000, v99
	v_lshlrev_b32_e32 v226, 16, v99
	v_pk_fma_f32 v[224:225], v[226:227], v[216:217], v[224:225] op_sel_hi:[1,0,1]
	v_and_b32_e32 v227, 0xffff0000, v65
	v_lshlrev_b32_e32 v226, 16, v65
	v_pk_fma_f32 v[222:223], v[226:227], v[218:219], v[222:223] op_sel_hi:[1,0,1]
	v_and_b32_e32 v227, 0xffff0000, v43
	v_lshlrev_b32_e32 v226, 16, v43
	v_pk_fma_f32 v[224:225], v[226:227], v[220:221], v[224:225] op_sel_hi:[1,0,1]
	v_and_b32_e32 v227, 0xffff0000, v86
	v_pk_add_f32 v[222:223], v[222:223], v[224:225]
	v_and_b32_e32 v224, 0xffff0000, v100
	v_pk_add_f32 v[132:133], v[222:223], v[132:133]
	v_lshlrev_b32_e32 v223, 16, v64
	v_lshlrev_b32_e32 v222, 16, v100
	v_pk_mul_f32 v[222:223], v[126:127], v[222:223] op_sel_hi:[0,1]
	v_lshlrev_b32_e32 v225, 16, v189
	v_lshlrev_b32_e32 v226, 16, v86
	v_pk_mul_f32 v[224:225], v[138:139], v[224:225] op_sel_hi:[0,1]
	v_pk_fma_f32 v[222:223], v[226:227], v[210:211], v[222:223] op_sel_hi:[1,0,1]
	v_and_b32_e32 v227, 0xffff0000, v101
	v_lshlrev_b32_e32 v226, 16, v101
	v_pk_fma_f32 v[224:225], v[226:227], v[212:213], v[224:225] op_sel_hi:[1,0,1]
	v_and_b32_e32 v227, 0xffff0000, v110
	v_lshlrev_b32_e32 v226, 16, v110
	v_pk_fma_f32 v[222:223], v[226:227], v[214:215], v[222:223] op_sel_hi:[1,0,1]
	v_and_b32_e32 v227, 0xffff0000, v103
	v_lshlrev_b32_e32 v226, 16, v103
	v_pk_fma_f32 v[224:225], v[226:227], v[216:217], v[224:225] op_sel_hi:[1,0,1]
	v_and_b32_e32 v227, 0xffff0000, v85
	v_lshlrev_b32_e32 v226, 16, v85
	;; [unrolled: 26-line block ×3, first 2 shown]
	v_pk_fma_f32 v[210:211], v[214:215], v[218:219], v[210:211] op_sel_hi:[1,0,1]
	v_and_b32_e32 v215, 0xffff0000, v87
	v_lshlrev_b32_e32 v214, 16, v87
	v_pk_fma_f32 v[212:213], v[214:215], v[220:221], v[212:213] op_sel_hi:[1,0,1]
	v_add_u32_e32 v31, 0x600, v136
	v_pk_add_f32 v[210:211], v[210:211], v[212:213]
	v_cmp_gt_u32_e32 vcc, s6, v31
	v_pk_add_f32 v[128:129], v[210:211], v[128:129]
	s_and_saveexec_b64 s[20:21], vcc
	s_cbranch_execz .LBB33_6
; %bb.22:                               ;   in Loop: Header=BB33_10 Depth=2
	v_lshlrev_b32_e32 v126, 16, v104
	v_and_b32_e32 v221, 0xffff0000, v173
	v_lshlrev_b32_e32 v220, 16, v173
	v_and_b32_e32 v136, 0xffff0000, v104
	v_lshlrev_b32_e32 v138, 16, v105
	v_pk_mul_f32 v[220:221], v[126:127], v[220:221] op_sel_hi:[0,1]
	v_and_b32_e32 v223, 0xffff0000, v176
	v_lshlrev_b32_e32 v222, 16, v176
	v_and_b32_e32 v225, 0xffff0000, v177
	v_lshlrev_b32_e32 v224, 16, v177
	v_and_b32_e32 v210, 0xffff0000, v105
	v_pk_mul_f32 v[222:223], v[136:137], v[222:223] op_sel_hi:[0,1]
	v_pk_fma_f32 v[220:221], v[224:225], v[138:139], v[220:221] op_sel_hi:[1,0,1]
	v_and_b32_e32 v225, 0xffff0000, v179
	v_lshlrev_b32_e32 v224, 16, v179
	v_lshlrev_b32_e32 v212, 16, v106
	v_pk_fma_f32 v[222:223], v[224:225], v[210:211], v[222:223] op_sel_hi:[1,0,1]
	v_and_b32_e32 v225, 0xffff0000, v159
	v_lshlrev_b32_e32 v224, 16, v159
	v_and_b32_e32 v214, 0xffff0000, v106
	v_pk_fma_f32 v[220:221], v[224:225], v[212:213], v[220:221] op_sel_hi:[1,0,1]
	v_and_b32_e32 v225, 0xffff0000, v167
	v_lshlrev_b32_e32 v224, 16, v167
	v_lshlrev_b32_e32 v216, 16, v107
	v_pk_fma_f32 v[222:223], v[224:225], v[214:215], v[222:223] op_sel_hi:[1,0,1]
	v_and_b32_e32 v225, 0xffff0000, v155
	v_lshlrev_b32_e32 v224, 16, v155
	v_and_b32_e32 v218, 0xffff0000, v107
	v_pk_fma_f32 v[220:221], v[224:225], v[216:217], v[220:221] op_sel_hi:[1,0,1]
	v_and_b32_e32 v225, 0xffff0000, v164
	v_lshlrev_b32_e32 v224, 16, v164
	v_pk_fma_f32 v[222:223], v[224:225], v[218:219], v[222:223] op_sel_hi:[1,0,1]
	v_and_b32_e32 v225, 0xffff0000, v181
	v_pk_add_f32 v[220:221], v[220:221], v[222:223]
	v_and_b32_e32 v223, 0xffff0000, v175
	v_pk_add_f32 v[134:135], v[220:221], v[134:135]
	v_and_b32_e32 v221, 0xffff0000, v174
	v_lshlrev_b32_e32 v220, 16, v174
	v_pk_mul_f32 v[220:221], v[126:127], v[220:221] op_sel_hi:[0,1]
	v_lshlrev_b32_e32 v222, 16, v175
	v_lshlrev_b32_e32 v224, 16, v181
	v_pk_mul_f32 v[222:223], v[136:137], v[222:223] op_sel_hi:[0,1]
	v_pk_fma_f32 v[220:221], v[224:225], v[138:139], v[220:221] op_sel_hi:[1,0,1]
	v_and_b32_e32 v225, 0xffff0000, v182
	v_lshlrev_b32_e32 v224, 16, v182
	v_pk_fma_f32 v[222:223], v[224:225], v[210:211], v[222:223] op_sel_hi:[1,0,1]
	v_and_b32_e32 v225, 0xffff0000, v161
	v_lshlrev_b32_e32 v224, 16, v161
	v_pk_fma_f32 v[220:221], v[224:225], v[212:213], v[220:221] op_sel_hi:[1,0,1]
	v_and_b32_e32 v225, 0xffff0000, v169
	v_lshlrev_b32_e32 v224, 16, v169
	v_pk_fma_f32 v[222:223], v[224:225], v[214:215], v[222:223] op_sel_hi:[1,0,1]
	v_and_b32_e32 v225, 0xffff0000, v158
	v_lshlrev_b32_e32 v224, 16, v158
	v_pk_fma_f32 v[220:221], v[224:225], v[216:217], v[220:221] op_sel_hi:[1,0,1]
	v_and_b32_e32 v225, 0xffff0000, v166
	v_lshlrev_b32_e32 v224, 16, v166
	v_pk_fma_f32 v[222:223], v[224:225], v[218:219], v[222:223] op_sel_hi:[1,0,1]
	v_and_b32_e32 v225, 0xffff0000, v185
	v_pk_add_f32 v[220:221], v[220:221], v[222:223]
	v_and_b32_e32 v223, 0xffff0000, v180
	v_pk_add_f32 v[132:133], v[220:221], v[132:133]
	v_and_b32_e32 v221, 0xffff0000, v178
	v_lshlrev_b32_e32 v220, 16, v178
	v_pk_mul_f32 v[220:221], v[126:127], v[220:221] op_sel_hi:[0,1]
	v_lshlrev_b32_e32 v222, 16, v180
	v_lshlrev_b32_e32 v224, 16, v185
	v_pk_mul_f32 v[222:223], v[136:137], v[222:223] op_sel_hi:[0,1]
	v_pk_fma_f32 v[220:221], v[224:225], v[138:139], v[220:221] op_sel_hi:[1,0,1]
	v_and_b32_e32 v225, 0xffff0000, v186
	v_lshlrev_b32_e32 v224, 16, v186
	v_pk_fma_f32 v[222:223], v[224:225], v[210:211], v[222:223] op_sel_hi:[1,0,1]
	v_and_b32_e32 v225, 0xffff0000, v163
	v_lshlrev_b32_e32 v224, 16, v163
	v_pk_fma_f32 v[220:221], v[224:225], v[212:213], v[220:221] op_sel_hi:[1,0,1]
	v_and_b32_e32 v225, 0xffff0000, v171
	v_lshlrev_b32_e32 v224, 16, v171
	v_pk_fma_f32 v[222:223], v[224:225], v[214:215], v[222:223] op_sel_hi:[1,0,1]
	v_and_b32_e32 v225, 0xffff0000, v160
	v_lshlrev_b32_e32 v224, 16, v160
	;; [unrolled: 26-line block ×3, first 2 shown]
	v_pk_fma_f32 v[212:213], v[214:215], v[216:217], v[212:213] op_sel_hi:[1,0,1]
	v_and_b32_e32 v215, 0xffff0000, v170
	v_lshlrev_b32_e32 v214, 16, v170
	v_pk_fma_f32 v[210:211], v[214:215], v[218:219], v[210:211] op_sel_hi:[1,0,1]
	s_nop 0
	v_pk_add_f32 v[210:211], v[212:213], v[210:211]
	s_nop 0
	v_pk_add_f32 v[128:129], v[210:211], v[128:129]
	s_branch .LBB33_6
.LBB33_23:                              ;   in Loop: Header=BB33_4 Depth=1
	v_lshrrev_b32_e32 v31, 16, v23
	v_lshrrev_b32_e32 v117, 16, v41
	v_lshrrev_b32_e32 v119, 16, v167
	v_lshrrev_b32_e32 v121, 16, v159
	v_lshrrev_b32_e32 v123, 16, v43
	v_lshrrev_b32_e32 v125, 16, v65
	v_lshrrev_b32_e32 v136, 16, v169
	v_lshrrev_b32_e32 v138, 16, v161
	v_lshrrev_b32_e32 v209, 16, v67
	v_lshrrev_b32_e32 v210, 16, v85
	v_lshrrev_b32_e32 v211, 16, v171
	v_lshrrev_b32_e32 v212, 16, v163
	v_lshrrev_b32_e32 v213, 16, v87
	v_lshrrev_b32_e32 v214, 16, v192
	v_lshrrev_b32_e32 v215, 16, v172
	v_lshrrev_b32_e32 v216, 16, v165
	s_branch .LBB33_25
.LBB33_24:                              ;   in Loop: Header=BB33_4 Depth=1
	v_lshrrev_b32_e32 v216, 16, v165
	v_lshrrev_b32_e32 v215, 16, v172
	;; [unrolled: 1-line block ×16, first 2 shown]
	v_mov_b32_e32 v135, v127
	v_mov_b32_e32 v134, v127
	v_mov_b32_e32 v133, v127
	v_mov_b32_e32 v132, v127
	v_mov_b32_e32 v131, v127
	v_mov_b32_e32 v130, v127
	v_mov_b32_e32 v129, v127
	v_mov_b32_e32 v128, v127
.LBB33_25:                              ;   in Loop: Header=BB33_4 Depth=1
	;;#ASMSTART
	s_nop 0
	v_add_f32 v135, v135, v135 row_shr:8 bound_ctrl:0 
	;;#ASMEND
	;;#ASMSTART
	s_nop 0
	v_add_f32 v134, v134, v134 row_shr:8 bound_ctrl:0 
	;;#ASMEND
	;;#ASMSTART
	s_nop 0
	v_add_f32 v133, v133, v133 row_shr:8 bound_ctrl:0 
	;;#ASMEND
	;;#ASMSTART
	s_nop 0
	v_add_f32 v132, v132, v132 row_shr:8 bound_ctrl:0 
	;;#ASMEND
	;;#ASMSTART
	s_nop 0
	v_add_f32 v131, v131, v131 row_shr:8 bound_ctrl:0 
	;;#ASMEND
	;;#ASMSTART
	s_nop 0
	v_add_f32 v130, v130, v130 row_shr:8 bound_ctrl:0 
	;;#ASMEND
	;;#ASMSTART
	s_nop 0
	v_add_f32 v129, v129, v129 row_shr:8 bound_ctrl:0 
	;;#ASMEND
	;;#ASMSTART
	s_nop 0
	v_add_f32 v128, v128, v128 row_shr:8 bound_ctrl:0 
	;;#ASMEND
	s_nop 0
	;;#ASMSTART
	s_nop 0
	v_add_f32 v135, v135, v135 row_shr:4 bound_ctrl:0 
	;;#ASMEND
	;;#ASMSTART
	s_nop 0
	v_add_f32 v134, v134, v134 row_shr:4 bound_ctrl:0 
	;;#ASMEND
	;;#ASMSTART
	s_nop 0
	v_add_f32 v133, v133, v133 row_shr:4 bound_ctrl:0 
	;;#ASMEND
	;;#ASMSTART
	s_nop 0
	v_add_f32 v132, v132, v132 row_shr:4 bound_ctrl:0 
	;;#ASMEND
	;;#ASMSTART
	s_nop 0
	v_add_f32 v131, v131, v131 row_shr:4 bound_ctrl:0 
	;;#ASMEND
	;;#ASMSTART
	s_nop 0
	v_add_f32 v130, v130, v130 row_shr:4 bound_ctrl:0 
	;;#ASMEND
	;;#ASMSTART
	s_nop 0
	v_add_f32 v129, v129, v129 row_shr:4 bound_ctrl:0 
	;;#ASMEND
	;;#ASMSTART
	s_nop 0
	v_add_f32 v128, v128, v128 row_shr:4 bound_ctrl:0 
	;;#ASMEND
	s_nop 0
	;; [unrolled: 33-line block ×3, first 2 shown]
	;;#ASMSTART
	s_nop 0
	v_add_f32 v135, v135, v135 wave_shr:1 bound_ctrl:0
	;;#ASMEND
	;;#ASMSTART
	s_nop 0
	v_add_f32 v134, v134, v134 wave_shr:1 bound_ctrl:0
	;;#ASMEND
	;; [unrolled: 4-line block ×8, first 2 shown]
	s_nop 0
	;;#ASMSTART
	s_nop 0
	v_add_f32 v135, v135, v135 row_bcast:15 bound_ctrl:0
	;;#ASMEND
	;;#ASMSTART
	s_nop 0
	v_add_f32 v134, v134, v134 row_bcast:15 bound_ctrl:0
	;;#ASMEND
	;; [unrolled: 4-line block ×8, first 2 shown]
	s_nop 0
	;;#ASMSTART
	s_nop 0
	v_add_f32 v135, v135, v135 row_bcast:31 bound_ctrl:0
	;;#ASMEND
	;;#ASMSTART
	s_nop 0
	v_add_f32 v134, v134, v134 row_bcast:31 bound_ctrl:0
	;;#ASMEND
	;; [unrolled: 4-line block ×8, first 2 shown]
	s_and_saveexec_b64 s[4:5], s[0:1]
	s_cbranch_execz .LBB33_3
; %bb.26:                               ;   in Loop: Header=BB33_4 Depth=1
	v_and_b32_e32 v113, 0x7f800000, v135
	v_cmp_ne_u32_e32 vcc, s28, v113
                                        ; implicit-def: $vgpr126
	s_and_saveexec_b64 s[16:17], vcc
	s_xor_b64 s[16:17], exec, s[16:17]
; %bb.27:                               ;   in Loop: Header=BB33_4 Depth=1
	v_bfe_u32 v113, v135, 16, 1
	v_add3_u32 v126, v135, v113, s29
; %bb.28:                               ;   in Loop: Header=BB33_4 Depth=1
	s_andn2_saveexec_b64 s[16:17], s[16:17]
; %bb.29:                               ;   in Loop: Header=BB33_4 Depth=1
	v_or_b32_e32 v113, 0x10000, v135
	v_cmp_eq_u32_sdwa vcc, v135, v127 src0_sel:WORD_0 src1_sel:DWORD
	s_nop 1
	v_cndmask_b32_e32 v126, v113, v135, vcc
; %bb.30:                               ;   in Loop: Header=BB33_4 Depth=1
	s_or_b64 exec, exec, s[16:17]
	v_mov_b32_e32 v113, v127
	s_waitcnt lgkmcnt(0)
	v_lshl_add_u64 v[218:219], v[112:113], 1, s[12:13]
	v_and_b32_e32 v113, 0x7f800000, v134
	v_cmp_ne_u32_e32 vcc, s28, v113
	global_store_short_d16_hi v[218:219], v126, off
                                        ; implicit-def: $vgpr113
	s_and_saveexec_b64 s[16:17], vcc
	s_xor_b64 s[16:17], exec, s[16:17]
; %bb.31:                               ;   in Loop: Header=BB33_4 Depth=1
	v_bfe_u32 v113, v134, 16, 1
	v_add3_u32 v113, v134, v113, s29
                                        ; implicit-def: $vgpr134
; %bb.32:                               ;   in Loop: Header=BB33_4 Depth=1
	s_andn2_saveexec_b64 s[16:17], s[16:17]
; %bb.33:                               ;   in Loop: Header=BB33_4 Depth=1
	v_or_b32_e32 v113, 0x10000, v134
	v_cmp_eq_u32_sdwa vcc, v134, v127 src0_sel:WORD_0 src1_sel:DWORD
	s_nop 1
	v_cndmask_b32_e32 v113, v113, v134, vcc
; %bb.34:                               ;   in Loop: Header=BB33_4 Depth=1
	s_or_b64 exec, exec, s[16:17]
	v_add_u32_e32 v126, s7, v112
	v_lshl_add_u64 v[134:135], v[126:127], 1, s[12:13]
	global_store_short_d16_hi v[134:135], v113, off
	v_and_b32_e32 v113, 0x7f800000, v133
	v_cmp_ne_u32_e32 vcc, s28, v113
                                        ; implicit-def: $vgpr113
	s_and_saveexec_b64 s[16:17], vcc
	s_xor_b64 s[16:17], exec, s[16:17]
; %bb.35:                               ;   in Loop: Header=BB33_4 Depth=1
	v_bfe_u32 v113, v133, 16, 1
	v_add3_u32 v113, v133, v113, s29
; %bb.36:                               ;   in Loop: Header=BB33_4 Depth=1
	s_andn2_saveexec_b64 s[16:17], s[16:17]
; %bb.37:                               ;   in Loop: Header=BB33_4 Depth=1
	v_or_b32_e32 v113, 0x10000, v133
	v_cmp_eq_u32_sdwa vcc, v133, v127 src0_sel:WORD_0 src1_sel:DWORD
	s_nop 1
	v_cndmask_b32_e32 v113, v113, v133, vcc
; %bb.38:                               ;   in Loop: Header=BB33_4 Depth=1
	s_or_b64 exec, exec, s[16:17]
	v_add_u32_e32 v126, s7, v126
	v_lshl_add_u64 v[134:135], v[126:127], 1, s[12:13]
	global_store_short_d16_hi v[134:135], v113, off
	v_and_b32_e32 v113, 0x7f800000, v132
	v_cmp_ne_u32_e32 vcc, s28, v113
                                        ; implicit-def: $vgpr113
	s_and_saveexec_b64 s[16:17], vcc
	s_xor_b64 s[16:17], exec, s[16:17]
; %bb.39:                               ;   in Loop: Header=BB33_4 Depth=1
	v_bfe_u32 v113, v132, 16, 1
	v_add3_u32 v113, v132, v113, s29
                                        ; implicit-def: $vgpr132
; %bb.40:                               ;   in Loop: Header=BB33_4 Depth=1
	s_andn2_saveexec_b64 s[16:17], s[16:17]
; %bb.41:                               ;   in Loop: Header=BB33_4 Depth=1
	v_or_b32_e32 v113, 0x10000, v132
	v_cmp_eq_u32_sdwa vcc, v132, v127 src0_sel:WORD_0 src1_sel:DWORD
	s_nop 1
	v_cndmask_b32_e32 v113, v113, v132, vcc
; %bb.42:                               ;   in Loop: Header=BB33_4 Depth=1
	s_or_b64 exec, exec, s[16:17]
	v_add_u32_e32 v126, s7, v126
	v_lshl_add_u64 v[132:133], v[126:127], 1, s[12:13]
	global_store_short_d16_hi v[132:133], v113, off
	v_and_b32_e32 v113, 0x7f800000, v131
	v_cmp_ne_u32_e32 vcc, s28, v113
                                        ; implicit-def: $vgpr113
	s_and_saveexec_b64 s[16:17], vcc
	s_xor_b64 s[16:17], exec, s[16:17]
; %bb.43:                               ;   in Loop: Header=BB33_4 Depth=1
	v_bfe_u32 v113, v131, 16, 1
	v_add3_u32 v113, v131, v113, s29
; %bb.44:                               ;   in Loop: Header=BB33_4 Depth=1
	s_andn2_saveexec_b64 s[16:17], s[16:17]
; %bb.45:                               ;   in Loop: Header=BB33_4 Depth=1
	v_or_b32_e32 v113, 0x10000, v131
	v_cmp_eq_u32_sdwa vcc, v131, v127 src0_sel:WORD_0 src1_sel:DWORD
	s_nop 1
	v_cndmask_b32_e32 v113, v113, v131, vcc
; %bb.46:                               ;   in Loop: Header=BB33_4 Depth=1
	s_or_b64 exec, exec, s[16:17]
	v_add_u32_e32 v126, s7, v126
	v_lshl_add_u64 v[132:133], v[126:127], 1, s[12:13]
	global_store_short_d16_hi v[132:133], v113, off
	v_and_b32_e32 v113, 0x7f800000, v130
	v_cmp_ne_u32_e32 vcc, s28, v113
                                        ; implicit-def: $vgpr113
	s_and_saveexec_b64 s[16:17], vcc
	s_xor_b64 s[16:17], exec, s[16:17]
; %bb.47:                               ;   in Loop: Header=BB33_4 Depth=1
	v_bfe_u32 v113, v130, 16, 1
	v_add3_u32 v113, v130, v113, s29
                                        ; implicit-def: $vgpr130
; %bb.48:                               ;   in Loop: Header=BB33_4 Depth=1
	s_andn2_saveexec_b64 s[16:17], s[16:17]
; %bb.49:                               ;   in Loop: Header=BB33_4 Depth=1
	v_or_b32_e32 v113, 0x10000, v130
	v_cmp_eq_u32_sdwa vcc, v130, v127 src0_sel:WORD_0 src1_sel:DWORD
	s_nop 1
	v_cndmask_b32_e32 v113, v113, v130, vcc
; %bb.50:                               ;   in Loop: Header=BB33_4 Depth=1
	s_or_b64 exec, exec, s[16:17]
	v_add_u32_e32 v126, s7, v126
	v_lshl_add_u64 v[130:131], v[126:127], 1, s[12:13]
	global_store_short_d16_hi v[130:131], v113, off
	v_and_b32_e32 v113, 0x7f800000, v129
	v_cmp_ne_u32_e32 vcc, s28, v113
                                        ; implicit-def: $vgpr113
	s_and_saveexec_b64 s[16:17], vcc
	s_xor_b64 s[16:17], exec, s[16:17]
; %bb.51:                               ;   in Loop: Header=BB33_4 Depth=1
	v_bfe_u32 v113, v129, 16, 1
	v_add3_u32 v113, v129, v113, s29
; %bb.52:                               ;   in Loop: Header=BB33_4 Depth=1
	s_andn2_saveexec_b64 s[16:17], s[16:17]
; %bb.53:                               ;   in Loop: Header=BB33_4 Depth=1
	v_or_b32_e32 v113, 0x10000, v129
	v_cmp_eq_u32_sdwa vcc, v129, v127 src0_sel:WORD_0 src1_sel:DWORD
	s_nop 1
	v_cndmask_b32_e32 v113, v113, v129, vcc
; %bb.54:                               ;   in Loop: Header=BB33_4 Depth=1
	s_or_b64 exec, exec, s[16:17]
	v_add_u32_e32 v126, s7, v126
	v_lshl_add_u64 v[130:131], v[126:127], 1, s[12:13]
	global_store_short_d16_hi v[130:131], v113, off
	v_and_b32_e32 v113, 0x7f800000, v128
	v_cmp_ne_u32_e32 vcc, s28, v113
                                        ; implicit-def: $vgpr113
	s_and_saveexec_b64 s[16:17], vcc
	s_xor_b64 s[16:17], exec, s[16:17]
; %bb.55:                               ;   in Loop: Header=BB33_4 Depth=1
	v_bfe_u32 v113, v128, 16, 1
	v_add3_u32 v113, v128, v113, s29
                                        ; implicit-def: $vgpr128
; %bb.56:                               ;   in Loop: Header=BB33_4 Depth=1
	s_andn2_saveexec_b64 s[16:17], s[16:17]
	s_cbranch_execz .LBB33_2
; %bb.57:                               ;   in Loop: Header=BB33_4 Depth=1
	v_or_b32_e32 v113, 0x10000, v128
	v_cmp_eq_u32_sdwa vcc, v128, v127 src0_sel:WORD_0 src1_sel:DWORD
	s_nop 1
	v_cndmask_b32_e32 v113, v113, v128, vcc
	s_branch .LBB33_2
.LBB33_58:
	s_endpgm
	.section	.rodata,"a",@progbits
	.p2align	6, 0x0
	.amdhsa_kernel _ZN5aiter32wv_splitk_small_fp16_bf16_kernelI14__hip_bfloat16Li64ELi1ELi1ELi8ELi4ELi8EEEviiPKT_S4_PS2_ii
		.amdhsa_group_segment_fixed_size 0
		.amdhsa_private_segment_fixed_size 0
		.amdhsa_kernarg_size 40
		.amdhsa_user_sgpr_count 2
		.amdhsa_user_sgpr_dispatch_ptr 0
		.amdhsa_user_sgpr_queue_ptr 0
		.amdhsa_user_sgpr_kernarg_segment_ptr 1
		.amdhsa_user_sgpr_dispatch_id 0
		.amdhsa_user_sgpr_kernarg_preload_length 0
		.amdhsa_user_sgpr_kernarg_preload_offset 0
		.amdhsa_user_sgpr_private_segment_size 0
		.amdhsa_uses_dynamic_stack 0
		.amdhsa_enable_private_segment 0
		.amdhsa_system_sgpr_workgroup_id_x 1
		.amdhsa_system_sgpr_workgroup_id_y 0
		.amdhsa_system_sgpr_workgroup_id_z 0
		.amdhsa_system_sgpr_workgroup_info 0
		.amdhsa_system_vgpr_workitem_id 1
		.amdhsa_next_free_vgpr 230
		.amdhsa_next_free_sgpr 31
		.amdhsa_accum_offset 232
		.amdhsa_reserve_vcc 1
		.amdhsa_float_round_mode_32 0
		.amdhsa_float_round_mode_16_64 0
		.amdhsa_float_denorm_mode_32 3
		.amdhsa_float_denorm_mode_16_64 3
		.amdhsa_dx10_clamp 1
		.amdhsa_ieee_mode 1
		.amdhsa_fp16_overflow 0
		.amdhsa_tg_split 0
		.amdhsa_exception_fp_ieee_invalid_op 0
		.amdhsa_exception_fp_denorm_src 0
		.amdhsa_exception_fp_ieee_div_zero 0
		.amdhsa_exception_fp_ieee_overflow 0
		.amdhsa_exception_fp_ieee_underflow 0
		.amdhsa_exception_fp_ieee_inexact 0
		.amdhsa_exception_int_div_zero 0
	.end_amdhsa_kernel
	.section	.text._ZN5aiter32wv_splitk_small_fp16_bf16_kernelI14__hip_bfloat16Li64ELi1ELi1ELi8ELi4ELi8EEEviiPKT_S4_PS2_ii,"axG",@progbits,_ZN5aiter32wv_splitk_small_fp16_bf16_kernelI14__hip_bfloat16Li64ELi1ELi1ELi8ELi4ELi8EEEviiPKT_S4_PS2_ii,comdat
.Lfunc_end33:
	.size	_ZN5aiter32wv_splitk_small_fp16_bf16_kernelI14__hip_bfloat16Li64ELi1ELi1ELi8ELi4ELi8EEEviiPKT_S4_PS2_ii, .Lfunc_end33-_ZN5aiter32wv_splitk_small_fp16_bf16_kernelI14__hip_bfloat16Li64ELi1ELi1ELi8ELi4ELi8EEEviiPKT_S4_PS2_ii
                                        ; -- End function
	.section	.AMDGPU.csdata,"",@progbits
; Kernel info:
; codeLenInByte = 7048
; NumSgprs: 37
; NumVgprs: 230
; NumAgprs: 0
; TotalNumVgprs: 230
; ScratchSize: 0
; MemoryBound: 0
; FloatMode: 240
; IeeeMode: 1
; LDSByteSize: 0 bytes/workgroup (compile time only)
; SGPRBlocks: 4
; VGPRBlocks: 28
; NumSGPRsForWavesPerEU: 37
; NumVGPRsForWavesPerEU: 230
; AccumOffset: 232
; Occupancy: 2
; WaveLimiterHint : 0
; COMPUTE_PGM_RSRC2:SCRATCH_EN: 0
; COMPUTE_PGM_RSRC2:USER_SGPR: 2
; COMPUTE_PGM_RSRC2:TRAP_HANDLER: 0
; COMPUTE_PGM_RSRC2:TGID_X_EN: 1
; COMPUTE_PGM_RSRC2:TGID_Y_EN: 0
; COMPUTE_PGM_RSRC2:TGID_Z_EN: 0
; COMPUTE_PGM_RSRC2:TIDIG_COMP_CNT: 1
; COMPUTE_PGM_RSRC3_GFX90A:ACCUM_OFFSET: 57
; COMPUTE_PGM_RSRC3_GFX90A:TG_SPLIT: 0
	.section	.text._ZN5aiter32wv_splitk_small_fp16_bf16_kernelI14__hip_bfloat16Li64ELi1ELi1ELi8ELi4ELi9EEEviiPKT_S4_PS2_ii,"axG",@progbits,_ZN5aiter32wv_splitk_small_fp16_bf16_kernelI14__hip_bfloat16Li64ELi1ELi1ELi8ELi4ELi9EEEviiPKT_S4_PS2_ii,comdat
	.protected	_ZN5aiter32wv_splitk_small_fp16_bf16_kernelI14__hip_bfloat16Li64ELi1ELi1ELi8ELi4ELi9EEEviiPKT_S4_PS2_ii ; -- Begin function _ZN5aiter32wv_splitk_small_fp16_bf16_kernelI14__hip_bfloat16Li64ELi1ELi1ELi8ELi4ELi9EEEviiPKT_S4_PS2_ii
	.globl	_ZN5aiter32wv_splitk_small_fp16_bf16_kernelI14__hip_bfloat16Li64ELi1ELi1ELi8ELi4ELi9EEEviiPKT_S4_PS2_ii
	.p2align	8
	.type	_ZN5aiter32wv_splitk_small_fp16_bf16_kernelI14__hip_bfloat16Li64ELi1ELi1ELi8ELi4ELi9EEEviiPKT_S4_PS2_ii,@function
_ZN5aiter32wv_splitk_small_fp16_bf16_kernelI14__hip_bfloat16Li64ELi1ELi1ELi8ELi4ELi9EEEviiPKT_S4_PS2_ii: ; @_ZN5aiter32wv_splitk_small_fp16_bf16_kernelI14__hip_bfloat16Li64ELi1ELi1ELi8ELi4ELi9EEEviiPKT_S4_PS2_ii
; %bb.0:
	s_load_dwordx2 s[4:5], s[0:1], 0x20
	s_load_dwordx2 s[6:7], s[0:1], 0x0
	v_bfe_u32 v1, v0, 10, 10
	s_waitcnt lgkmcnt(0)
	s_mul_i32 s2, s2, s4
	v_add_u32_e32 v128, s2, v1
	v_cmp_gt_u32_e32 vcc, s7, v128
	s_and_saveexec_b64 s[2:3], vcc
	s_cbranch_execz .LBB34_62
; %bb.1:
	s_load_dwordx4 s[8:11], s[0:1], 0x8
	s_load_dwordx2 s[12:13], s[0:1], 0x18
	s_cmp_lg_u32 s6, 0
	v_and_b32_e32 v0, 0x3ff, v0
	v_lshlrev_b32_e32 v130, 3, v0
	s_cselect_b64 s[2:3], -1, 0
	v_cmp_eq_u32_e64 s[0:1], 63, v0
	s_mul_i32 s24, s5, s4
	v_lshl_add_u32 v131, s6, 1, v130
	v_cndmask_b32_e64 v0, 0, 1, s[2:3]
	s_mul_i32 s25, s24, s6
	v_lshl_add_u32 v174, s6, 2, v130
	v_lshl_add_u32 v175, s6, 3, v130
	v_add_u32_e32 v176, s6, v130
	s_mov_b64 s[14:15], 0
	s_mov_b32 s26, 0x5040100
	s_mov_b32 s27, 0x7060302
	;; [unrolled: 1-line block ×3, first 2 shown]
	s_movk_i32 s29, 0x7fff
	v_cmp_ne_u32_e64 s[2:3], 1, v0
	v_mad_u64_u32 v[132:133], s[4:5], s6, v128, v[130:131]
	v_mad_u64_u32 v[134:135], s[4:5], s6, 3, v[130:131]
	;; [unrolled: 1-line block ×5, first 2 shown]
	v_mov_b32_e32 v143, 0
                                        ; implicit-def: $vgpr14
                                        ; implicit-def: $vgpr38
                                        ; implicit-def: $vgpr39
                                        ; implicit-def: $vgpr172
                                        ; implicit-def: $vgpr93
                                        ; implicit-def: $vgpr95
                                        ; implicit-def: $vgpr153
                                        ; implicit-def: $vgpr156
                                        ; implicit-def: $vgpr157
                                        ; implicit-def: $vgpr155
                                        ; implicit-def: $vgpr158
                                        ; implicit-def: $vgpr159
                                        ; implicit-def: $vgpr208
                                        ; implicit-def: $vgpr214
                                        ; implicit-def: $vgpr215
                                        ; implicit-def: $vgpr160
                                        ; implicit-def: $vgpr161
                                        ; implicit-def: $vgpr162
                                        ; implicit-def: $vgpr216
                                        ; implicit-def: $vgpr163
                                        ; implicit-def: $vgpr164
                                        ; implicit-def: $vgpr209
                                        ; implicit-def: $vgpr217
                                        ; implicit-def: $vgpr218
                                        ; implicit-def: $vgpr165
                                        ; implicit-def: $vgpr166
                                        ; implicit-def: $vgpr167
                                        ; implicit-def: $vgpr219
                                        ; implicit-def: $vgpr168
                                        ; implicit-def: $vgpr169
                                        ; implicit-def: $vgpr210
                                        ; implicit-def: $vgpr220
                                        ; implicit-def: $vgpr221
                                        ; implicit-def: $vgpr170
                                        ; implicit-def: $vgpr171
                                        ; implicit-def: $vgpr224
                                        ; implicit-def: $vgpr181
                                        ; implicit-def: $vgpr184
                                        ; implicit-def: $vgpr189
                                        ; implicit-def: $vgpr191
                                        ; implicit-def: $vgpr211
                                        ; implicit-def: $vgpr79
                                        ; implicit-def: $vgpr179
                                        ; implicit-def: $vgpr182
                                        ; implicit-def: $vgpr187
                                        ; implicit-def: $vgpr190
                                        ; implicit-def: $vgpr77
                                        ; implicit-def: $vgpr55
                                        ; implicit-def: $vgpr177
                                        ; implicit-def: $vgpr180
                                        ; implicit-def: $vgpr185
                                        ; implicit-def: $vgpr188
                                        ; implicit-def: $vgpr53
                                        ; implicit-def: $vgpr27
                                        ; implicit-def: $vgpr173
                                        ; implicit-def: $vgpr178
                                        ; implicit-def: $vgpr183
                                        ; implicit-def: $vgpr186
                                        ; implicit-def: $vgpr25
                                        ; implicit-def: $vgpr15
                                        ; implicit-def: $vgpr23
                                        ; implicit-def: $vgpr35
                                        ; implicit-def: $vgpr18
                                        ; implicit-def: $vgpr30
                                        ; implicit-def: $vgpr13
                                        ; implicit-def: $vgpr26
                                        ; implicit-def: $vgpr195
                                        ; implicit-def: $vgpr192
                                        ; implicit-def: $vgpr75
                                        ; implicit-def: $vgpr67
                                        ; implicit-def: $vgpr31
                                        ; implicit-def: $vgpr62
                                        ; implicit-def: $vgpr109
                                        ; implicit-def: $vgpr54
                                        ; implicit-def: $vgpr194
                                        ; implicit-def: $vgpr193
                                        ; implicit-def: $vgpr99
                                        ; implicit-def: $vgpr87
                                        ; implicit-def: $vgpr63
                                        ; implicit-def: $vgpr82
                                        ; implicit-def: $vgpr113
                                        ; implicit-def: $vgpr78
                                        ; implicit-def: $vgpr199
                                        ; implicit-def: $vgpr197
                                        ; implicit-def: $vgpr107
                                        ; implicit-def: $vgpr225
                                        ; implicit-def: $vgpr83
                                        ; implicit-def: $vgpr222
                                        ; implicit-def: $vgpr117
                                        ; implicit-def: $vgpr212
                                        ; implicit-def: $vgpr203
                                        ; implicit-def: $vgpr202
                                        ; implicit-def: $vgpr19
                                        ; implicit-def: $vgpr70
                                        ; implicit-def: $vgpr94
                                        ; implicit-def: $vgpr110
                                        ; implicit-def: $vgpr198
                                        ; implicit-def: $vgpr196
                                        ; implicit-def: $vgpr71
                                        ; implicit-def: $vgpr90
                                        ; implicit-def: $vgpr111
                                        ; implicit-def: $vgpr114
                                        ; implicit-def: $vgpr201
                                        ; implicit-def: $vgpr200
                                        ; implicit-def: $vgpr91
                                        ; implicit-def: $vgpr102
                                        ; implicit-def: $vgpr115
                                        ; implicit-def: $vgpr118
                                        ; implicit-def: $vgpr205
                                        ; implicit-def: $vgpr204
                                        ; implicit-def: $vgpr103
                                        ; implicit-def: $vgpr223
                                        ; implicit-def: $vgpr119
                                        ; implicit-def: $vgpr213
                                        ; implicit-def: $vgpr207
                                        ; implicit-def: $vgpr206
                                        ; implicit-def: $vgpr100
                                        ; implicit-def: $vgpr105
                                        ; implicit-def: $vgpr76
                                        ; implicit-def: $vgpr81
                                        ; implicit-def: $vgpr86
                                        ; implicit-def: $vgpr88
                                        ; implicit-def: $vgpr97
                                        ; implicit-def: $vgpr52
                                        ; implicit-def: $vgpr61
                                        ; implicit-def: $vgpr66
                                        ; implicit-def: $vgpr68
                                        ; implicit-def: $vgpr73
                                        ; implicit-def: $vgpr24
                                        ; implicit-def: $vgpr29
                                        ; implicit-def: $vgpr34
                                        ; implicit-def: $vgpr36
                                        ; implicit-def: $vgpr41
                                        ; implicit-def: $vgpr12
                                        ; implicit-def: $vgpr17
                                        ; implicit-def: $vgpr22
                                        ; implicit-def: $vgpr120_vgpr121_vgpr122_vgpr123
                                        ; implicit-def: $vgpr0_vgpr1_vgpr2_vgpr3
                                        ; implicit-def: $vgpr4_vgpr5_vgpr6_vgpr7
                                        ; implicit-def: $vgpr8_vgpr9_vgpr10_vgpr11
                                        ; implicit-def: $vgpr116
                                        ; implicit-def: $vgpr112
                                        ; implicit-def: $vgpr108
                                        ; implicit-def: $vgpr92
                                        ; implicit-def: $vgpr127
                                        ; implicit-def: $vgpr47
                                        ; implicit-def: $vgpr51
                                        ; implicit-def: $vgpr59
	s_branch .LBB34_4
.LBB34_2:                               ;   in Loop: Header=BB34_4 Depth=1
	s_or_b64 exec, exec, s[16:17]
	v_add_u32_e32 v142, s7, v142
	v_lshl_add_u64 v[144:145], v[142:143], 1, s[12:13]
	global_store_short_d16_hi v[144:145], v129, off
.LBB34_3:                               ;   in Loop: Header=BB34_4 Depth=1
	s_or_b64 exec, exec, s[4:5]
	v_add_u32_e32 v128, s24, v128
	v_cmp_le_u32_e32 vcc, s7, v128
	v_perm_b32 v184, v233, v184, s26
	v_perm_b32 v191, v232, v191, s26
	;; [unrolled: 1-line block ×16, first 2 shown]
	s_or_b64 s[14:15], vcc, s[14:15]
	v_add_u32_e32 v132, s25, v132
	s_andn2_b64 exec, exec, s[14:15]
	s_cbranch_execz .LBB34_62
.LBB34_4:                               ; =>This Loop Header: Depth=1
                                        ;     Child Loop BB34_10 Depth 2
	s_and_b64 vcc, exec, s[2:3]
	s_mov_b32 s30, 0
	s_cbranch_vccnz .LBB34_24
; %bb.5:                                ;   in Loop: Header=BB34_4 Depth=1
	v_mov_b32_e32 v129, 0
	v_mov_b32_e32 v144, 0
	;; [unrolled: 1-line block ×9, first 2 shown]
	s_branch .LBB34_10
.LBB34_6:                               ;   in Loop: Header=BB34_10 Depth=2
	s_or_b64 exec, exec, s[20:21]
.LBB34_7:                               ;   in Loop: Header=BB34_10 Depth=2
	s_or_b64 exec, exec, s[18:19]
.LBB34_8:                               ;   in Loop: Header=BB34_10 Depth=2
	s_or_b64 exec, exec, s[16:17]
.LBB34_9:                               ;   in Loop: Header=BB34_10 Depth=2
	s_or_b64 exec, exec, s[4:5]
	s_addk_i32 s30, 0x800
	s_cmp_ge_u32 s30, s6
	s_cbranch_scc1 .LBB34_23
.LBB34_10:                              ;   Parent Loop BB34_4 Depth=1
                                        ; =>  This Inner Loop Header: Depth=2
	v_add_u32_e32 v152, s30, v130
	v_cmp_gt_u32_e32 vcc, s6, v152
	v_add_u32_e32 v154, 0x200, v152
	s_and_saveexec_b64 s[16:17], vcc
	s_cbranch_execz .LBB34_18
; %bb.11:                               ;   in Loop: Header=BB34_10 Depth=2
	v_add_u32_e32 v142, s30, v132
	v_mov_b32_e32 v153, v143
	v_add_u32_e32 v156, s30, v176
	v_mov_b32_e32 v157, v143
	;; [unrolled: 2-line block ×6, first 2 shown]
	s_waitcnt lgkmcnt(0)
	v_lshl_add_u64 v[8:9], v[142:143], 1, s[8:9]
	v_lshl_add_u64 v[20:21], v[152:153], 1, s[10:11]
	;; [unrolled: 1-line block ×7, first 2 shown]
	v_add_u32_e32 v170, s30, v138
	v_mov_b32_e32 v171, v143
	v_add_u32_e32 v162, s30, v140
	v_mov_b32_e32 v163, v143
	global_load_dwordx4 v[8:11], v[8:9], off nt
	s_nop 0
	global_load_dwordx4 v[56:59], v[20:21], off
	s_nop 0
	global_load_dwordx4 v[20:23], v[22:23], off
	;; [unrolled: 2-line block ×6, first 2 shown]
	v_lshl_add_u64 v[38:39], v[170:171], 1, s[10:11]
	v_lshl_add_u64 v[84:85], v[162:163], 1, s[10:11]
	v_add_u32_e32 v168, s30, v175
	v_mov_b32_e32 v169, v143
	global_load_dwordx4 v[96:99], v[38:39], off
	s_nop 0
	global_load_dwordx4 v[84:87], v[84:85], off
	v_lshl_add_u64 v[38:39], v[168:169], 1, s[10:11]
	global_load_dwordx4 v[104:107], v[38:39], off
	v_cmp_gt_u32_e64 s[4:5], s6, v154
	s_and_saveexec_b64 s[18:19], s[4:5]
	s_cbranch_execz .LBB34_17
; %bb.12:                               ;   in Loop: Header=BB34_10 Depth=2
	v_add_u32_e32 v4, 0x200, v142
	v_mov_b32_e32 v5, v143
	v_mov_b32_e32 v155, v143
	v_add_u32_e32 v18, 0x200, v156
	v_mov_b32_e32 v19, v143
	v_add_u32_e32 v28, 0x200, v160
	;; [unrolled: 2-line block ×8, first 2 shown]
	v_mov_b32_e32 v101, v143
	v_lshl_add_u64 v[4:5], v[4:5], 1, s[8:9]
	v_lshl_add_u64 v[16:17], v[154:155], 1, s[10:11]
	;; [unrolled: 1-line block ×10, first 2 shown]
	global_load_dwordx4 v[4:7], v[4:5], off nt
	s_nop 0
	global_load_dwordx4 v[48:51], v[16:17], off
	s_nop 0
	global_load_dwordx4 v[16:19], v[18:19], off
	;; [unrolled: 2-line block ×8, first 2 shown]
	v_add_u32_e32 v14, 0x400, v152
	global_load_dwordx4 v[100:103], v[100:101], off
	v_cmp_gt_u32_e64 s[4:5], s6, v14
	s_and_saveexec_b64 s[20:21], s[4:5]
	s_cbranch_execz .LBB34_16
; %bb.13:                               ;   in Loop: Header=BB34_10 Depth=2
	v_mov_b32_e32 v15, v143
	v_add_u32_e32 v0, 0x400, v142
	v_mov_b32_e32 v1, v143
	v_lshl_add_u64 v[12:13], v[14:15], 1, s[10:11]
	v_add_u32_e32 v14, 0x400, v156
	v_add_u32_e32 v24, 0x400, v160
	v_mov_b32_e32 v25, v143
	v_add_u32_e32 v26, 0x400, v158
	v_mov_b32_e32 v27, v143
	;; [unrolled: 2-line block ×7, first 2 shown]
	v_lshl_add_u64 v[0:1], v[0:1], 1, s[8:9]
	v_lshl_add_u64 v[14:15], v[14:15], 1, s[10:11]
	;; [unrolled: 1-line block ×9, first 2 shown]
	global_load_dwordx4 v[0:3], v[0:1], off nt
	s_nop 0
	global_load_dwordx4 v[44:47], v[12:13], off
	s_nop 0
	global_load_dwordx4 v[12:15], v[14:15], off
	;; [unrolled: 2-line block ×8, first 2 shown]
	v_add_u32_e32 v172, 0x600, v152
	global_load_dwordx4 v[116:119], v[116:117], off
	v_cmp_gt_u32_e64 s[4:5], s6, v172
	s_and_saveexec_b64 s[22:23], s[4:5]
	s_cbranch_execz .LBB34_15
; %bb.14:                               ;   in Loop: Header=BB34_10 Depth=2
	v_add_u32_e32 v142, 0x600, v142
	v_lshl_add_u64 v[120:121], v[142:143], 1, s[8:9]
	v_add_u32_e32 v142, 0x600, v156
	v_lshl_add_u64 v[122:123], v[142:143], 1, s[10:11]
	v_add_u32_e32 v142, 0x600, v160
	global_load_dwordx4 v[208:211], v[122:123], off
	v_lshl_add_u64 v[122:123], v[142:143], 1, s[10:11]
	v_add_u32_e32 v142, 0x600, v158
	global_load_dwordx4 v[212:215], v[122:123], off
	;; [unrolled: 3-line block ×7, first 2 shown]
	v_lshl_add_u64 v[122:123], v[142:143], 1, s[10:11]
	v_mov_b32_e32 v173, v143
	global_load_dwordx4 v[168:171], v[122:123], off
	v_lshl_add_u64 v[122:123], v[172:173], 1, s[10:11]
	global_load_dwordx4 v[124:127], v[122:123], off
	s_nop 0
	global_load_dwordx4 v[120:123], v[120:121], off nt
	s_waitcnt vmcnt(8)
	v_perm_b32 v173, v211, v215, s26
	v_perm_b32 v178, v210, v214, s26
	v_perm_b32 v196, v209, v213, s26
	v_perm_b32 v192, v208, v212, s26
	v_perm_b32 v183, v211, v215, s27
	v_perm_b32 v186, v210, v214, s27
	v_perm_b32 v198, v209, v213, s27
	s_waitcnt vmcnt(6)
	v_perm_b32 v177, v159, v205, s26
	v_perm_b32 v180, v158, v204, s26
	v_perm_b32 v200, v157, v203, s26
	v_perm_b32 v193, v156, v202, s26
	v_perm_b32 v185, v159, v205, s27
	v_perm_b32 v188, v158, v204, s27
	v_perm_b32 v201, v157, v203, s27
	v_perm_b32 v194, v156, v202, s27
	s_waitcnt vmcnt(4)
	v_perm_b32 v179, v167, v219, s26
	;; [unrolled: 9-line block ×3, first 2 shown]
	v_perm_b32 v184, v162, v170, s26
	v_perm_b32 v206, v161, v169, s26
	;; [unrolled: 1-line block ×8, first 2 shown]
.LBB34_15:                              ;   in Loop: Header=BB34_10 Depth=2
	s_or_b64 exec, exec, s[22:23]
	s_waitcnt vmcnt(7)
	v_lshrrev_b32_e32 v210, 16, v12
	s_waitcnt vmcnt(5)
	v_lshrrev_b32_e32 v209, 16, v24
	;; [unrolled: 2-line block ×4, first 2 shown]
	s_waitcnt vmcnt(0)
	v_perm_b32 v211, v79, v119, s26
	v_perm_b32 v213, v78, v118, s26
	;; [unrolled: 1-line block ×24, first 2 shown]
.LBB34_16:                              ;   in Loop: Header=BB34_10 Depth=2
	s_or_b64 exec, exec, s[20:21]
	s_waitcnt vmcnt(7)
	v_lshrrev_b32_e32 v221, 16, v16
	v_lshrrev_b32_e32 v220, 16, v17
	s_waitcnt vmcnt(6)
	v_lshrrev_b32_e32 v219, 16, v36
	s_waitcnt vmcnt(5)
	v_lshrrev_b32_e32 v218, 16, v28
	v_lshrrev_b32_e32 v217, 16, v29
	s_waitcnt vmcnt(4)
	v_lshrrev_b32_e32 v216, 16, v68
	;; [unrolled: 5-line block ×4, first 2 shown]
	v_perm_b32 v223, v83, v103, s26
	v_perm_b32 v222, v82, v102, s26
	;; [unrolled: 1-line block ×16, first 2 shown]
.LBB34_17:                              ;   in Loop: Header=BB34_10 Depth=2
	s_or_b64 exec, exec, s[18:19]
	s_waitcnt vmcnt(7)
	v_lshrrev_b32_e32 v224, 16, v20
	v_lshrrev_b32_e32 v171, 16, v21
	v_lshrrev_b32_e32 v170, 16, v22
	s_waitcnt vmcnt(6)
	v_lshrrev_b32_e32 v169, 16, v40
	v_lshrrev_b32_e32 v168, 16, v41
	s_waitcnt vmcnt(5)
	v_lshrrev_b32_e32 v167, 16, v32
	v_lshrrev_b32_e32 v166, 16, v33
	v_lshrrev_b32_e32 v165, 16, v34
	s_waitcnt vmcnt(4)
	v_lshrrev_b32_e32 v164, 16, v72
	v_lshrrev_b32_e32 v163, 16, v73
	;; [unrolled: 7-line block ×4, first 2 shown]
	v_perm_b32 v225, v87, v107, s26
	v_perm_b32 v107, v87, v107, s27
	;; [unrolled: 1-line block ×8, first 2 shown]
.LBB34_18:                              ;   in Loop: Header=BB34_10 Depth=2
	s_or_b64 exec, exec, s[16:17]
	s_and_saveexec_b64 s[4:5], vcc
	s_cbranch_execz .LBB34_9
; %bb.19:                               ;   in Loop: Header=BB34_10 Depth=2
	v_and_b32_e32 v227, 0xffff0000, v8
	v_lshlrev_b32_e32 v226, 16, v8
	v_and_b32_e32 v229, 0xffff0000, v56
	v_lshlrev_b32_e32 v228, 16, v56
	v_pk_mul_f32 v[228:229], v[228:229], v[226:227]
	v_and_b32_e32 v231, 0xffff0000, v57
	v_lshlrev_b32_e32 v230, 16, v57
	v_and_b32_e32 v233, 0xffff0000, v9
	v_lshlrev_b32_e32 v232, 16, v9
	v_pk_fma_f32 v[228:229], v[230:231], v[232:233], v[228:229]
	v_and_b32_e32 v231, 0xffff0000, v58
	v_lshlrev_b32_e32 v230, 16, v58
	v_and_b32_e32 v235, 0xffff0000, v10
	v_lshlrev_b32_e32 v234, 16, v10
	v_pk_fma_f32 v[228:229], v[230:231], v[234:235], v[228:229]
	;; [unrolled: 5-line block ×3, first 2 shown]
	v_lshlrev_b32_e32 v231, 16, v224
	v_add_f32_e32 v43, v228, v229
	v_lshlrev_b32_e32 v229, 16, v20
	v_lshlrev_b32_e32 v228, 16, v40
	;; [unrolled: 1-line block ×3, first 2 shown]
	v_pk_mul_f32 v[228:229], v[226:227], v[228:229] op_sel_hi:[0,1]
	v_mov_b32_e32 v142, v227
	v_lshlrev_b32_e32 v239, 16, v21
	v_lshlrev_b32_e32 v238, 16, v41
	v_pk_mul_f32 v[230:231], v[142:143], v[230:231] op_sel_hi:[0,1]
	v_pk_fma_f32 v[228:229], v[238:239], v[232:233], v[228:229] op_sel_hi:[1,0,1]
	v_lshlrev_b32_e32 v239, 16, v171
	v_lshlrev_b32_e32 v238, 16, v168
	v_mov_b32_e32 v240, v233
	v_pk_fma_f32 v[230:231], v[238:239], v[240:241], v[230:231] op_sel_hi:[1,0,1]
	v_lshlrev_b32_e32 v239, 16, v22
	v_lshlrev_b32_e32 v238, 16, v42
	v_pk_fma_f32 v[228:229], v[238:239], v[234:235], v[228:229] op_sel_hi:[1,0,1]
	v_and_b32_e32 v238, 0xffff0000, v42
	v_lshlrev_b32_e32 v239, 16, v170
	v_mov_b32_e32 v242, v235
	v_pk_fma_f32 v[230:231], v[238:239], v[242:243], v[230:231] op_sel_hi:[1,0,1]
	v_and_b32_e32 v239, 0xffff0000, v35
	v_lshlrev_b32_e32 v238, 16, v35
	v_pk_fma_f32 v[228:229], v[238:239], v[236:237], v[228:229] op_sel_hi:[1,0,1]
	v_and_b32_e32 v239, 0xffff0000, v23
	v_lshlrev_b32_e32 v238, 16, v23
	v_mov_b32_e32 v244, v237
	v_pk_fma_f32 v[230:231], v[238:239], v[244:245], v[230:231] op_sel_hi:[1,0,1]
	v_lshlrev_b32_e32 v239, 16, v33
	v_pk_add_f32 v[228:229], v[228:229], v[230:231]
	v_lshlrev_b32_e32 v231, 16, v167
	v_pk_add_f32 v[150:151], v[228:229], v[150:151]
	v_lshlrev_b32_e32 v229, 16, v32
	v_lshlrev_b32_e32 v228, 16, v72
	;; [unrolled: 1-line block ×3, first 2 shown]
	v_pk_mul_f32 v[228:229], v[226:227], v[228:229] op_sel_hi:[0,1]
	v_lshlrev_b32_e32 v238, 16, v73
	v_pk_mul_f32 v[230:231], v[142:143], v[230:231] op_sel_hi:[0,1]
	v_pk_fma_f32 v[228:229], v[238:239], v[232:233], v[228:229] op_sel_hi:[1,0,1]
	v_lshlrev_b32_e32 v239, 16, v166
	v_lshlrev_b32_e32 v238, 16, v163
	v_pk_fma_f32 v[230:231], v[238:239], v[240:241], v[230:231] op_sel_hi:[1,0,1]
	v_lshlrev_b32_e32 v239, 16, v34
	v_lshlrev_b32_e32 v238, 16, v74
	v_pk_fma_f32 v[228:229], v[238:239], v[234:235], v[228:229] op_sel_hi:[1,0,1]
	v_and_b32_e32 v238, 0xffff0000, v74
	v_lshlrev_b32_e32 v239, 16, v165
	v_pk_fma_f32 v[230:231], v[238:239], v[242:243], v[230:231] op_sel_hi:[1,0,1]
	v_and_b32_e32 v239, 0xffff0000, v67
	;; [unrolled: 3-line block ×3, first 2 shown]
	v_lshlrev_b32_e32 v238, 16, v75
	v_pk_fma_f32 v[230:231], v[238:239], v[244:245], v[230:231] op_sel_hi:[1,0,1]
	v_lshlrev_b32_e32 v239, 16, v65
	v_pk_add_f32 v[228:229], v[228:229], v[230:231]
	v_lshlrev_b32_e32 v231, 16, v162
	v_pk_add_f32 v[148:149], v[228:229], v[148:149]
	v_lshlrev_b32_e32 v229, 16, v64
	v_lshlrev_b32_e32 v228, 16, v96
	;; [unrolled: 1-line block ×3, first 2 shown]
	v_pk_mul_f32 v[228:229], v[226:227], v[228:229] op_sel_hi:[0,1]
	v_lshlrev_b32_e32 v238, 16, v97
	v_pk_mul_f32 v[230:231], v[142:143], v[230:231] op_sel_hi:[0,1]
	v_pk_fma_f32 v[228:229], v[238:239], v[232:233], v[228:229] op_sel_hi:[1,0,1]
	v_lshlrev_b32_e32 v239, 16, v161
	v_lshlrev_b32_e32 v238, 16, v158
	v_pk_fma_f32 v[230:231], v[238:239], v[240:241], v[230:231] op_sel_hi:[1,0,1]
	v_lshlrev_b32_e32 v239, 16, v66
	v_lshlrev_b32_e32 v238, 16, v98
	v_pk_fma_f32 v[228:229], v[238:239], v[234:235], v[228:229] op_sel_hi:[1,0,1]
	v_and_b32_e32 v238, 0xffff0000, v98
	v_lshlrev_b32_e32 v239, 16, v160
	v_pk_fma_f32 v[230:231], v[238:239], v[242:243], v[230:231] op_sel_hi:[1,0,1]
	v_and_b32_e32 v239, 0xffff0000, v87
	;; [unrolled: 3-line block ×3, first 2 shown]
	v_lshlrev_b32_e32 v238, 16, v99
	v_pk_fma_f32 v[230:231], v[238:239], v[244:245], v[230:231] op_sel_hi:[1,0,1]
	v_add_f32_e32 v129, v43, v129
	v_pk_add_f32 v[228:229], v[228:229], v[230:231]
	v_lshlrev_b32_e32 v231, 16, v157
	v_pk_add_f32 v[146:147], v[228:229], v[146:147]
	v_lshlrev_b32_e32 v229, 16, v84
	v_lshlrev_b32_e32 v228, 16, v104
	;; [unrolled: 1-line block ×3, first 2 shown]
	v_pk_mul_f32 v[226:227], v[226:227], v[228:229] op_sel_hi:[0,1]
	v_pk_mul_f32 v[228:229], v[142:143], v[230:231] op_sel_hi:[0,1]
	v_lshlrev_b32_e32 v231, 16, v85
	v_lshlrev_b32_e32 v230, 16, v105
	v_pk_fma_f32 v[226:227], v[230:231], v[232:233], v[226:227] op_sel_hi:[1,0,1]
	v_lshlrev_b32_e32 v231, 16, v156
	v_lshlrev_b32_e32 v230, 16, v38
	v_pk_fma_f32 v[228:229], v[230:231], v[240:241], v[228:229] op_sel_hi:[1,0,1]
	;; [unrolled: 3-line block ×3, first 2 shown]
	v_and_b32_e32 v230, 0xffff0000, v106
	v_lshlrev_b32_e32 v231, 16, v153
	v_pk_fma_f32 v[228:229], v[230:231], v[242:243], v[228:229] op_sel_hi:[1,0,1]
	v_and_b32_e32 v231, 0xffff0000, v225
	v_lshlrev_b32_e32 v230, 16, v225
	v_pk_fma_f32 v[226:227], v[230:231], v[236:237], v[226:227] op_sel_hi:[1,0,1]
	;; [unrolled: 3-line block ×3, first 2 shown]
	v_cmp_gt_u32_e32 vcc, s6, v154
	v_pk_add_f32 v[226:227], v[226:227], v[228:229]
	s_nop 0
	v_pk_add_f32 v[144:145], v[226:227], v[144:145]
	s_and_saveexec_b64 s[16:17], vcc
	s_cbranch_execz .LBB34_8
; %bb.20:                               ;   in Loop: Header=BB34_10 Depth=2
	v_and_b32_e32 v227, 0xffff0000, v4
	v_lshlrev_b32_e32 v226, 16, v4
	v_and_b32_e32 v229, 0xffff0000, v48
	v_lshlrev_b32_e32 v228, 16, v48
	v_pk_mul_f32 v[228:229], v[228:229], v[226:227]
	v_and_b32_e32 v231, 0xffff0000, v49
	v_lshlrev_b32_e32 v230, 16, v49
	v_and_b32_e32 v233, 0xffff0000, v5
	v_lshlrev_b32_e32 v232, 16, v5
	v_pk_fma_f32 v[228:229], v[230:231], v[232:233], v[228:229]
	v_and_b32_e32 v231, 0xffff0000, v50
	v_lshlrev_b32_e32 v230, 16, v50
	v_and_b32_e32 v235, 0xffff0000, v6
	v_lshlrev_b32_e32 v234, 16, v6
	v_pk_fma_f32 v[228:229], v[230:231], v[234:235], v[228:229]
	;; [unrolled: 5-line block ×3, first 2 shown]
	v_lshlrev_b32_e32 v231, 16, v221
	v_add_f32_e32 v43, v228, v229
	v_lshlrev_b32_e32 v229, 16, v16
	v_lshlrev_b32_e32 v228, 16, v36
	v_pk_mul_f32 v[228:229], v[226:227], v[228:229] op_sel_hi:[0,1]
	v_lshlrev_b32_e32 v230, 16, v219
	v_mov_b32_e32 v142, v227
	v_lshlrev_b32_e32 v239, 16, v17
	v_lshlrev_b32_e32 v238, 16, v37
	v_pk_mul_f32 v[230:231], v[142:143], v[230:231] op_sel_hi:[0,1]
	v_pk_fma_f32 v[228:229], v[238:239], v[232:233], v[228:229] op_sel_hi:[1,0,1]
	v_and_b32_e32 v238, 0xffff0000, v37
	v_lshlrev_b32_e32 v239, 16, v220
	v_mov_b32_e32 v154, v233
	v_pk_fma_f32 v[230:231], v[238:239], v[154:155], v[230:231] op_sel_hi:[1,0,1]
	v_and_b32_e32 v239, 0xffff0000, v30
	v_lshlrev_b32_e32 v238, 16, v30
	v_pk_fma_f32 v[228:229], v[238:239], v[234:235], v[228:229] op_sel_hi:[1,0,1]
	v_and_b32_e32 v239, 0xffff0000, v18
	v_lshlrev_b32_e32 v238, 16, v18
	v_mov_b32_e32 v240, v235
	v_pk_fma_f32 v[230:231], v[238:239], v[240:241], v[230:231] op_sel_hi:[1,0,1]
	v_and_b32_e32 v239, 0xffff0000, v70
	v_lshlrev_b32_e32 v238, 16, v70
	v_pk_fma_f32 v[228:229], v[238:239], v[236:237], v[228:229] op_sel_hi:[1,0,1]
	v_and_b32_e32 v239, 0xffff0000, v19
	v_lshlrev_b32_e32 v238, 16, v19
	v_mov_b32_e32 v242, v237
	v_pk_fma_f32 v[230:231], v[238:239], v[242:243], v[230:231] op_sel_hi:[1,0,1]
	v_lshlrev_b32_e32 v239, 16, v29
	v_pk_add_f32 v[228:229], v[228:229], v[230:231]
	v_lshlrev_b32_e32 v231, 16, v218
	v_pk_add_f32 v[150:151], v[228:229], v[150:151]
	v_lshlrev_b32_e32 v229, 16, v28
	v_lshlrev_b32_e32 v228, 16, v68
	v_pk_mul_f32 v[228:229], v[226:227], v[228:229] op_sel_hi:[0,1]
	v_lshlrev_b32_e32 v230, 16, v216
	v_lshlrev_b32_e32 v238, 16, v69
	v_pk_mul_f32 v[230:231], v[142:143], v[230:231] op_sel_hi:[0,1]
	v_pk_fma_f32 v[228:229], v[238:239], v[232:233], v[228:229] op_sel_hi:[1,0,1]
	v_and_b32_e32 v238, 0xffff0000, v69
	v_lshlrev_b32_e32 v239, 16, v217
	v_pk_fma_f32 v[230:231], v[238:239], v[154:155], v[230:231] op_sel_hi:[1,0,1]
	v_and_b32_e32 v239, 0xffff0000, v62
	v_lshlrev_b32_e32 v238, 16, v62
	;; [unrolled: 3-line block ×5, first 2 shown]
	v_pk_fma_f32 v[230:231], v[238:239], v[242:243], v[230:231] op_sel_hi:[1,0,1]
	v_lshlrev_b32_e32 v239, 16, v61
	v_pk_add_f32 v[228:229], v[228:229], v[230:231]
	v_lshlrev_b32_e32 v231, 16, v215
	v_pk_add_f32 v[148:149], v[228:229], v[148:149]
	v_lshlrev_b32_e32 v229, 16, v60
	v_lshlrev_b32_e32 v228, 16, v88
	v_pk_mul_f32 v[228:229], v[226:227], v[228:229] op_sel_hi:[0,1]
	v_lshlrev_b32_e32 v230, 16, v155
	v_lshlrev_b32_e32 v238, 16, v89
	v_pk_mul_f32 v[230:231], v[142:143], v[230:231] op_sel_hi:[0,1]
	v_pk_fma_f32 v[228:229], v[238:239], v[232:233], v[228:229] op_sel_hi:[1,0,1]
	v_and_b32_e32 v238, 0xffff0000, v89
	v_lshlrev_b32_e32 v239, 16, v214
	v_pk_fma_f32 v[230:231], v[238:239], v[154:155], v[230:231] op_sel_hi:[1,0,1]
	v_and_b32_e32 v239, 0xffff0000, v82
	v_lshlrev_b32_e32 v238, 16, v82
	;; [unrolled: 3-line block ×5, first 2 shown]
	v_pk_fma_f32 v[230:231], v[238:239], v[242:243], v[230:231] op_sel_hi:[1,0,1]
	v_add_f32_e32 v129, v43, v129
	v_pk_add_f32 v[228:229], v[228:229], v[230:231]
	v_lshlrev_b32_e32 v231, 16, v81
	v_pk_add_f32 v[146:147], v[228:229], v[146:147]
	v_lshlrev_b32_e32 v229, 16, v80
	v_lshlrev_b32_e32 v228, 16, v100
	v_pk_mul_f32 v[226:227], v[226:227], v[228:229] op_sel_hi:[0,1]
	v_lshlrev_b32_e32 v229, 16, v95
	v_lshlrev_b32_e32 v228, 16, v14
	;; [unrolled: 1-line block ×3, first 2 shown]
	v_pk_mul_f32 v[228:229], v[142:143], v[228:229] op_sel_hi:[0,1]
	v_pk_fma_f32 v[226:227], v[230:231], v[232:233], v[226:227] op_sel_hi:[1,0,1]
	v_and_b32_e32 v230, 0xffff0000, v101
	v_lshlrev_b32_e32 v231, 16, v93
	v_pk_fma_f32 v[228:229], v[230:231], v[154:155], v[228:229] op_sel_hi:[1,0,1]
	v_and_b32_e32 v231, 0xffff0000, v222
	v_lshlrev_b32_e32 v230, 16, v222
	;; [unrolled: 3-line block ×5, first 2 shown]
	v_pk_fma_f32 v[228:229], v[230:231], v[242:243], v[228:229] op_sel_hi:[1,0,1]
	v_add_u32_e32 v43, 0x400, v152
	v_pk_add_f32 v[226:227], v[226:227], v[228:229]
	v_cmp_gt_u32_e32 vcc, s6, v43
	v_pk_add_f32 v[144:145], v[226:227], v[144:145]
	s_and_saveexec_b64 s[18:19], vcc
	s_cbranch_execz .LBB34_7
; %bb.21:                               ;   in Loop: Header=BB34_10 Depth=2
	v_and_b32_e32 v227, 0xffff0000, v0
	v_lshlrev_b32_e32 v226, 16, v0
	v_and_b32_e32 v229, 0xffff0000, v44
	v_lshlrev_b32_e32 v228, 16, v44
	v_pk_mul_f32 v[228:229], v[228:229], v[226:227]
	v_and_b32_e32 v231, 0xffff0000, v45
	v_lshlrev_b32_e32 v230, 16, v45
	v_and_b32_e32 v233, 0xffff0000, v1
	v_lshlrev_b32_e32 v232, 16, v1
	v_pk_fma_f32 v[228:229], v[230:231], v[232:233], v[228:229]
	v_and_b32_e32 v231, 0xffff0000, v46
	v_lshlrev_b32_e32 v230, 16, v46
	v_and_b32_e32 v235, 0xffff0000, v2
	v_lshlrev_b32_e32 v234, 16, v2
	v_pk_fma_f32 v[228:229], v[230:231], v[234:235], v[228:229]
	;; [unrolled: 5-line block ×3, first 2 shown]
	v_and_b32_e32 v230, 0xffff0000, v92
	v_add_f32_e32 v43, v228, v229
	v_lshlrev_b32_e32 v229, 16, v12
	v_lshlrev_b32_e32 v228, 16, v92
	v_pk_mul_f32 v[228:229], v[226:227], v[228:229] op_sel_hi:[0,1]
	v_lshlrev_b32_e32 v231, 16, v210
	v_mov_b32_e32 v142, v227
	v_and_b32_e32 v239, 0xffff0000, v26
	v_lshlrev_b32_e32 v238, 16, v26
	v_pk_mul_f32 v[230:231], v[142:143], v[230:231] op_sel_hi:[0,1]
	v_pk_fma_f32 v[228:229], v[238:239], v[232:233], v[228:229] op_sel_hi:[1,0,1]
	v_and_b32_e32 v239, 0xffff0000, v13
	v_lshlrev_b32_e32 v238, 16, v13
	v_mov_b32_e32 v154, v233
	v_pk_fma_f32 v[230:231], v[238:239], v[154:155], v[230:231] op_sel_hi:[1,0,1]
	v_and_b32_e32 v239, 0xffff0000, v110
	v_lshlrev_b32_e32 v238, 16, v110
	v_pk_fma_f32 v[228:229], v[238:239], v[234:235], v[228:229] op_sel_hi:[1,0,1]
	v_and_b32_e32 v239, 0xffff0000, v94
	v_lshlrev_b32_e32 v238, 16, v94
	v_mov_b32_e32 v240, v235
	v_pk_fma_f32 v[230:231], v[238:239], v[240:241], v[230:231] op_sel_hi:[1,0,1]
	v_and_b32_e32 v239, 0xffff0000, v25
	v_lshlrev_b32_e32 v238, 16, v25
	v_pk_fma_f32 v[228:229], v[238:239], v[236:237], v[228:229] op_sel_hi:[1,0,1]
	v_and_b32_e32 v239, 0xffff0000, v15
	v_lshlrev_b32_e32 v238, 16, v15
	v_mov_b32_e32 v242, v237
	v_pk_fma_f32 v[230:231], v[238:239], v[242:243], v[230:231] op_sel_hi:[1,0,1]
	v_and_b32_e32 v239, 0xffff0000, v54
	v_pk_add_f32 v[228:229], v[228:229], v[230:231]
	v_and_b32_e32 v230, 0xffff0000, v108
	v_pk_add_f32 v[150:151], v[228:229], v[150:151]
	v_lshlrev_b32_e32 v229, 16, v24
	v_lshlrev_b32_e32 v228, 16, v108
	v_pk_mul_f32 v[228:229], v[226:227], v[228:229] op_sel_hi:[0,1]
	v_lshlrev_b32_e32 v231, 16, v209
	v_lshlrev_b32_e32 v238, 16, v54
	v_pk_mul_f32 v[230:231], v[142:143], v[230:231] op_sel_hi:[0,1]
	v_pk_fma_f32 v[228:229], v[238:239], v[232:233], v[228:229] op_sel_hi:[1,0,1]
	v_and_b32_e32 v239, 0xffff0000, v109
	v_lshlrev_b32_e32 v238, 16, v109
	v_pk_fma_f32 v[230:231], v[238:239], v[154:155], v[230:231] op_sel_hi:[1,0,1]
	v_and_b32_e32 v239, 0xffff0000, v114
	v_lshlrev_b32_e32 v238, 16, v114
	;; [unrolled: 3-line block ×5, first 2 shown]
	v_pk_fma_f32 v[230:231], v[238:239], v[242:243], v[230:231] op_sel_hi:[1,0,1]
	v_and_b32_e32 v239, 0xffff0000, v78
	v_pk_add_f32 v[228:229], v[228:229], v[230:231]
	v_and_b32_e32 v230, 0xffff0000, v112
	v_pk_add_f32 v[148:149], v[228:229], v[148:149]
	v_lshlrev_b32_e32 v229, 16, v52
	v_lshlrev_b32_e32 v228, 16, v112
	v_pk_mul_f32 v[228:229], v[226:227], v[228:229] op_sel_hi:[0,1]
	v_lshlrev_b32_e32 v231, 16, v208
	v_lshlrev_b32_e32 v238, 16, v78
	v_pk_mul_f32 v[230:231], v[142:143], v[230:231] op_sel_hi:[0,1]
	v_pk_fma_f32 v[228:229], v[238:239], v[232:233], v[228:229] op_sel_hi:[1,0,1]
	v_and_b32_e32 v239, 0xffff0000, v113
	v_lshlrev_b32_e32 v238, 16, v113
	v_pk_fma_f32 v[230:231], v[238:239], v[154:155], v[230:231] op_sel_hi:[1,0,1]
	v_and_b32_e32 v239, 0xffff0000, v118
	v_lshlrev_b32_e32 v238, 16, v118
	;; [unrolled: 3-line block ×5, first 2 shown]
	v_pk_fma_f32 v[230:231], v[238:239], v[242:243], v[230:231] op_sel_hi:[1,0,1]
	v_add_f32_e32 v129, v43, v129
	v_pk_add_f32 v[228:229], v[228:229], v[230:231]
	v_and_b32_e32 v231, 0xffff0000, v212
	v_pk_add_f32 v[146:147], v[228:229], v[146:147]
	v_lshlrev_b32_e32 v229, 16, v76
	v_lshlrev_b32_e32 v228, 16, v116
	v_pk_mul_f32 v[226:227], v[226:227], v[228:229] op_sel_hi:[0,1]
	v_and_b32_e32 v228, 0xffff0000, v116
	v_lshlrev_b32_e32 v229, 16, v172
	v_lshlrev_b32_e32 v230, 16, v212
	v_pk_mul_f32 v[228:229], v[142:143], v[228:229] op_sel_hi:[0,1]
	v_pk_fma_f32 v[226:227], v[230:231], v[232:233], v[226:227] op_sel_hi:[1,0,1]
	v_and_b32_e32 v231, 0xffff0000, v117
	v_lshlrev_b32_e32 v230, 16, v117
	v_pk_fma_f32 v[228:229], v[230:231], v[154:155], v[228:229] op_sel_hi:[1,0,1]
	v_and_b32_e32 v231, 0xffff0000, v213
	v_lshlrev_b32_e32 v230, 16, v213
	;; [unrolled: 3-line block ×5, first 2 shown]
	v_pk_fma_f32 v[228:229], v[230:231], v[242:243], v[228:229] op_sel_hi:[1,0,1]
	v_add_u32_e32 v43, 0x600, v152
	v_pk_add_f32 v[226:227], v[226:227], v[228:229]
	v_cmp_gt_u32_e32 vcc, s6, v43
	v_pk_add_f32 v[144:145], v[226:227], v[144:145]
	s_and_saveexec_b64 s[20:21], vcc
	s_cbranch_execz .LBB34_6
; %bb.22:                               ;   in Loop: Header=BB34_10 Depth=2
	v_and_b32_e32 v227, 0xffff0000, v120
	v_lshlrev_b32_e32 v226, 16, v120
	v_and_b32_e32 v229, 0xffff0000, v124
	v_lshlrev_b32_e32 v228, 16, v124
	v_pk_mul_f32 v[228:229], v[228:229], v[226:227]
	v_and_b32_e32 v231, 0xffff0000, v125
	v_lshlrev_b32_e32 v230, 16, v125
	v_and_b32_e32 v233, 0xffff0000, v121
	v_lshlrev_b32_e32 v232, 16, v121
	v_pk_fma_f32 v[228:229], v[230:231], v[232:233], v[228:229]
	v_and_b32_e32 v231, 0xffff0000, v126
	v_lshlrev_b32_e32 v230, 16, v126
	v_and_b32_e32 v235, 0xffff0000, v122
	v_lshlrev_b32_e32 v234, 16, v122
	v_pk_fma_f32 v[228:229], v[230:231], v[234:235], v[228:229]
	;; [unrolled: 5-line block ×3, first 2 shown]
	v_and_b32_e32 v231, 0xffff0000, v195
	v_add_f32_e32 v43, v228, v229
	v_and_b32_e32 v229, 0xffff0000, v192
	v_lshlrev_b32_e32 v228, 16, v192
	v_pk_mul_f32 v[228:229], v[226:227], v[228:229] op_sel_hi:[0,1]
	v_lshlrev_b32_e32 v230, 16, v195
	v_mov_b32_e32 v142, v227
	v_and_b32_e32 v239, 0xffff0000, v196
	v_lshlrev_b32_e32 v238, 16, v196
	v_pk_mul_f32 v[230:231], v[142:143], v[230:231] op_sel_hi:[0,1]
	v_pk_fma_f32 v[228:229], v[238:239], v[232:233], v[228:229] op_sel_hi:[1,0,1]
	v_and_b32_e32 v239, 0xffff0000, v198
	v_lshlrev_b32_e32 v238, 16, v198
	v_mov_b32_e32 v152, v233
	v_pk_fma_f32 v[230:231], v[238:239], v[152:153], v[230:231] op_sel_hi:[1,0,1]
	v_and_b32_e32 v239, 0xffff0000, v178
	v_lshlrev_b32_e32 v238, 16, v178
	v_pk_fma_f32 v[228:229], v[238:239], v[234:235], v[228:229] op_sel_hi:[1,0,1]
	v_and_b32_e32 v239, 0xffff0000, v186
	v_lshlrev_b32_e32 v238, 16, v186
	v_mov_b32_e32 v154, v235
	v_pk_fma_f32 v[230:231], v[238:239], v[154:155], v[230:231] op_sel_hi:[1,0,1]
	v_and_b32_e32 v239, 0xffff0000, v173
	v_lshlrev_b32_e32 v238, 16, v173
	v_pk_fma_f32 v[228:229], v[238:239], v[236:237], v[228:229] op_sel_hi:[1,0,1]
	v_and_b32_e32 v239, 0xffff0000, v183
	v_lshlrev_b32_e32 v238, 16, v183
	v_mov_b32_e32 v240, v237
	v_pk_fma_f32 v[230:231], v[238:239], v[240:241], v[230:231] op_sel_hi:[1,0,1]
	v_and_b32_e32 v239, 0xffff0000, v200
	v_pk_add_f32 v[228:229], v[228:229], v[230:231]
	v_and_b32_e32 v231, 0xffff0000, v194
	v_pk_add_f32 v[150:151], v[228:229], v[150:151]
	v_and_b32_e32 v229, 0xffff0000, v193
	v_lshlrev_b32_e32 v228, 16, v193
	v_pk_mul_f32 v[228:229], v[226:227], v[228:229] op_sel_hi:[0,1]
	v_lshlrev_b32_e32 v230, 16, v194
	v_lshlrev_b32_e32 v238, 16, v200
	v_pk_mul_f32 v[230:231], v[142:143], v[230:231] op_sel_hi:[0,1]
	v_pk_fma_f32 v[228:229], v[238:239], v[232:233], v[228:229] op_sel_hi:[1,0,1]
	v_and_b32_e32 v239, 0xffff0000, v201
	v_lshlrev_b32_e32 v238, 16, v201
	v_pk_fma_f32 v[230:231], v[238:239], v[152:153], v[230:231] op_sel_hi:[1,0,1]
	v_and_b32_e32 v239, 0xffff0000, v180
	v_lshlrev_b32_e32 v238, 16, v180
	;; [unrolled: 3-line block ×5, first 2 shown]
	v_pk_fma_f32 v[230:231], v[238:239], v[240:241], v[230:231] op_sel_hi:[1,0,1]
	v_and_b32_e32 v239, 0xffff0000, v204
	v_pk_add_f32 v[228:229], v[228:229], v[230:231]
	v_and_b32_e32 v231, 0xffff0000, v199
	v_pk_add_f32 v[148:149], v[228:229], v[148:149]
	v_and_b32_e32 v229, 0xffff0000, v197
	v_lshlrev_b32_e32 v228, 16, v197
	v_pk_mul_f32 v[228:229], v[226:227], v[228:229] op_sel_hi:[0,1]
	v_lshlrev_b32_e32 v230, 16, v199
	v_lshlrev_b32_e32 v238, 16, v204
	v_pk_mul_f32 v[230:231], v[142:143], v[230:231] op_sel_hi:[0,1]
	v_pk_fma_f32 v[228:229], v[238:239], v[232:233], v[228:229] op_sel_hi:[1,0,1]
	v_and_b32_e32 v239, 0xffff0000, v205
	v_lshlrev_b32_e32 v238, 16, v205
	v_pk_fma_f32 v[230:231], v[238:239], v[152:153], v[230:231] op_sel_hi:[1,0,1]
	v_and_b32_e32 v239, 0xffff0000, v182
	v_lshlrev_b32_e32 v238, 16, v182
	;; [unrolled: 3-line block ×5, first 2 shown]
	v_pk_fma_f32 v[230:231], v[238:239], v[240:241], v[230:231] op_sel_hi:[1,0,1]
	v_add_f32_e32 v129, v43, v129
	v_pk_add_f32 v[228:229], v[228:229], v[230:231]
	v_and_b32_e32 v231, 0xffff0000, v206
	v_pk_add_f32 v[146:147], v[228:229], v[146:147]
	v_and_b32_e32 v229, 0xffff0000, v202
	v_lshlrev_b32_e32 v228, 16, v202
	v_pk_mul_f32 v[226:227], v[226:227], v[228:229] op_sel_hi:[0,1]
	v_and_b32_e32 v229, 0xffff0000, v203
	v_lshlrev_b32_e32 v228, 16, v203
	v_lshlrev_b32_e32 v230, 16, v206
	v_pk_mul_f32 v[228:229], v[142:143], v[228:229] op_sel_hi:[0,1]
	v_pk_fma_f32 v[226:227], v[230:231], v[232:233], v[226:227] op_sel_hi:[1,0,1]
	v_and_b32_e32 v231, 0xffff0000, v207
	v_lshlrev_b32_e32 v230, 16, v207
	v_pk_fma_f32 v[228:229], v[230:231], v[152:153], v[228:229] op_sel_hi:[1,0,1]
	v_and_b32_e32 v231, 0xffff0000, v184
	v_lshlrev_b32_e32 v230, 16, v184
	;; [unrolled: 3-line block ×5, first 2 shown]
	v_pk_fma_f32 v[228:229], v[230:231], v[240:241], v[228:229] op_sel_hi:[1,0,1]
	s_nop 0
	v_pk_add_f32 v[226:227], v[226:227], v[228:229]
	s_nop 0
	v_pk_add_f32 v[144:145], v[226:227], v[144:145]
	s_branch .LBB34_6
.LBB34_23:                              ;   in Loop: Header=BB34_4 Depth=1
	v_lshrrev_b32_e32 v43, 16, v15
	v_lshrrev_b32_e32 v133, 16, v25
	;; [unrolled: 1-line block ×16, first 2 shown]
	s_branch .LBB34_25
.LBB34_24:                              ;   in Loop: Header=BB34_4 Depth=1
	v_lshrrev_b32_e32 v233, 16, v184
	v_lshrrev_b32_e32 v232, 16, v191
	;; [unrolled: 1-line block ×16, first 2 shown]
	v_mov_b32_e32 v151, v143
	v_mov_b32_e32 v150, v143
	;; [unrolled: 1-line block ×9, first 2 shown]
.LBB34_25:                              ;   in Loop: Header=BB34_4 Depth=1
	;;#ASMSTART
	s_nop 0
	v_add_f32 v129, v129, v129 row_shr:8 bound_ctrl:0 
	;;#ASMEND
	;;#ASMSTART
	s_nop 0
	v_add_f32 v151, v151, v151 row_shr:8 bound_ctrl:0 
	;;#ASMEND
	;;#ASMSTART
	s_nop 0
	v_add_f32 v150, v150, v150 row_shr:8 bound_ctrl:0 
	;;#ASMEND
	;;#ASMSTART
	s_nop 0
	v_add_f32 v149, v149, v149 row_shr:8 bound_ctrl:0 
	;;#ASMEND
	;;#ASMSTART
	s_nop 0
	v_add_f32 v148, v148, v148 row_shr:8 bound_ctrl:0 
	;;#ASMEND
	;;#ASMSTART
	s_nop 0
	v_add_f32 v147, v147, v147 row_shr:8 bound_ctrl:0 
	;;#ASMEND
	;;#ASMSTART
	s_nop 0
	v_add_f32 v146, v146, v146 row_shr:8 bound_ctrl:0 
	;;#ASMEND
	;;#ASMSTART
	s_nop 0
	v_add_f32 v145, v145, v145 row_shr:8 bound_ctrl:0 
	;;#ASMEND
	;;#ASMSTART
	s_nop 0
	v_add_f32 v144, v144, v144 row_shr:8 bound_ctrl:0 
	;;#ASMEND
	s_nop 0
	;;#ASMSTART
	s_nop 0
	v_add_f32 v129, v129, v129 row_shr:4 bound_ctrl:0 
	;;#ASMEND
	;;#ASMSTART
	s_nop 0
	v_add_f32 v151, v151, v151 row_shr:4 bound_ctrl:0 
	;;#ASMEND
	;;#ASMSTART
	s_nop 0
	v_add_f32 v150, v150, v150 row_shr:4 bound_ctrl:0 
	;;#ASMEND
	;;#ASMSTART
	s_nop 0
	v_add_f32 v149, v149, v149 row_shr:4 bound_ctrl:0 
	;;#ASMEND
	;;#ASMSTART
	s_nop 0
	v_add_f32 v148, v148, v148 row_shr:4 bound_ctrl:0 
	;;#ASMEND
	;;#ASMSTART
	s_nop 0
	v_add_f32 v147, v147, v147 row_shr:4 bound_ctrl:0 
	;;#ASMEND
	;;#ASMSTART
	s_nop 0
	v_add_f32 v146, v146, v146 row_shr:4 bound_ctrl:0 
	;;#ASMEND
	;;#ASMSTART
	s_nop 0
	v_add_f32 v145, v145, v145 row_shr:4 bound_ctrl:0 
	;;#ASMEND
	;;#ASMSTART
	s_nop 0
	v_add_f32 v144, v144, v144 row_shr:4 bound_ctrl:0 
	;;#ASMEND
	s_nop 0
	;; [unrolled: 37-line block ×3, first 2 shown]
	;;#ASMSTART
	s_nop 0
	v_add_f32 v129, v129, v129 wave_shr:1 bound_ctrl:0
	;;#ASMEND
	;;#ASMSTART
	s_nop 0
	v_add_f32 v151, v151, v151 wave_shr:1 bound_ctrl:0
	;;#ASMEND
	;; [unrolled: 4-line block ×9, first 2 shown]
	s_nop 0
	;;#ASMSTART
	s_nop 0
	v_add_f32 v129, v129, v129 row_bcast:15 bound_ctrl:0
	;;#ASMEND
	;;#ASMSTART
	s_nop 0
	v_add_f32 v151, v151, v151 row_bcast:15 bound_ctrl:0
	;;#ASMEND
	;; [unrolled: 4-line block ×9, first 2 shown]
	s_nop 0
	;;#ASMSTART
	s_nop 0
	v_add_f32 v129, v129, v129 row_bcast:31 bound_ctrl:0
	;;#ASMEND
	;;#ASMSTART
	s_nop 0
	v_add_f32 v151, v151, v151 row_bcast:31 bound_ctrl:0
	;;#ASMEND
	;; [unrolled: 4-line block ×9, first 2 shown]
	s_and_saveexec_b64 s[4:5], s[0:1]
	s_cbranch_execz .LBB34_3
; %bb.26:                               ;   in Loop: Header=BB34_4 Depth=1
	v_and_b32_e32 v142, 0x7f800000, v129
	v_cmp_ne_u32_e32 vcc, s28, v142
                                        ; implicit-def: $vgpr142
	s_and_saveexec_b64 s[16:17], vcc
	s_xor_b64 s[16:17], exec, s[16:17]
; %bb.27:                               ;   in Loop: Header=BB34_4 Depth=1
	v_bfe_u32 v142, v129, 16, 1
	v_add3_u32 v142, v129, v142, s29
                                        ; implicit-def: $vgpr129
; %bb.28:                               ;   in Loop: Header=BB34_4 Depth=1
	s_andn2_saveexec_b64 s[16:17], s[16:17]
; %bb.29:                               ;   in Loop: Header=BB34_4 Depth=1
	v_or_b32_e32 v142, 0x10000, v129
	v_cmp_eq_u32_sdwa vcc, v129, v143 src0_sel:WORD_0 src1_sel:DWORD
	s_nop 1
	v_cndmask_b32_e32 v142, v142, v129, vcc
; %bb.30:                               ;   in Loop: Header=BB34_4 Depth=1
	s_or_b64 exec, exec, s[16:17]
	v_mov_b32_e32 v129, v143
	s_waitcnt lgkmcnt(0)
	v_lshl_add_u64 v[234:235], v[128:129], 1, s[12:13]
	v_and_b32_e32 v129, 0x7f800000, v151
	v_cmp_ne_u32_e32 vcc, s28, v129
	global_store_short_d16_hi v[234:235], v142, off
                                        ; implicit-def: $vgpr129
	s_and_saveexec_b64 s[16:17], vcc
	s_xor_b64 s[16:17], exec, s[16:17]
; %bb.31:                               ;   in Loop: Header=BB34_4 Depth=1
	v_bfe_u32 v129, v151, 16, 1
	v_add3_u32 v129, v151, v129, s29
; %bb.32:                               ;   in Loop: Header=BB34_4 Depth=1
	s_andn2_saveexec_b64 s[16:17], s[16:17]
; %bb.33:                               ;   in Loop: Header=BB34_4 Depth=1
	v_or_b32_e32 v129, 0x10000, v151
	v_cmp_eq_u32_sdwa vcc, v151, v143 src0_sel:WORD_0 src1_sel:DWORD
	s_nop 1
	v_cndmask_b32_e32 v129, v129, v151, vcc
; %bb.34:                               ;   in Loop: Header=BB34_4 Depth=1
	s_or_b64 exec, exec, s[16:17]
	v_add_u32_e32 v142, s7, v128
	v_lshl_add_u64 v[234:235], v[142:143], 1, s[12:13]
	global_store_short_d16_hi v[234:235], v129, off
	v_and_b32_e32 v129, 0x7f800000, v150
	v_cmp_ne_u32_e32 vcc, s28, v129
                                        ; implicit-def: $vgpr129
	s_and_saveexec_b64 s[16:17], vcc
	s_xor_b64 s[16:17], exec, s[16:17]
; %bb.35:                               ;   in Loop: Header=BB34_4 Depth=1
	v_bfe_u32 v129, v150, 16, 1
	v_add3_u32 v129, v150, v129, s29
                                        ; implicit-def: $vgpr150
; %bb.36:                               ;   in Loop: Header=BB34_4 Depth=1
	s_andn2_saveexec_b64 s[16:17], s[16:17]
; %bb.37:                               ;   in Loop: Header=BB34_4 Depth=1
	v_or_b32_e32 v129, 0x10000, v150
	v_cmp_eq_u32_sdwa vcc, v150, v143 src0_sel:WORD_0 src1_sel:DWORD
	s_nop 1
	v_cndmask_b32_e32 v129, v129, v150, vcc
; %bb.38:                               ;   in Loop: Header=BB34_4 Depth=1
	s_or_b64 exec, exec, s[16:17]
	v_add_u32_e32 v142, s7, v142
	v_lshl_add_u64 v[150:151], v[142:143], 1, s[12:13]
	global_store_short_d16_hi v[150:151], v129, off
	v_and_b32_e32 v129, 0x7f800000, v149
	v_cmp_ne_u32_e32 vcc, s28, v129
                                        ; implicit-def: $vgpr129
	s_and_saveexec_b64 s[16:17], vcc
	s_xor_b64 s[16:17], exec, s[16:17]
; %bb.39:                               ;   in Loop: Header=BB34_4 Depth=1
	v_bfe_u32 v129, v149, 16, 1
	v_add3_u32 v129, v149, v129, s29
; %bb.40:                               ;   in Loop: Header=BB34_4 Depth=1
	s_andn2_saveexec_b64 s[16:17], s[16:17]
; %bb.41:                               ;   in Loop: Header=BB34_4 Depth=1
	v_or_b32_e32 v129, 0x10000, v149
	v_cmp_eq_u32_sdwa vcc, v149, v143 src0_sel:WORD_0 src1_sel:DWORD
	s_nop 1
	v_cndmask_b32_e32 v129, v129, v149, vcc
; %bb.42:                               ;   in Loop: Header=BB34_4 Depth=1
	s_or_b64 exec, exec, s[16:17]
	v_add_u32_e32 v142, s7, v142
	v_lshl_add_u64 v[150:151], v[142:143], 1, s[12:13]
	global_store_short_d16_hi v[150:151], v129, off
	v_and_b32_e32 v129, 0x7f800000, v148
	v_cmp_ne_u32_e32 vcc, s28, v129
                                        ; implicit-def: $vgpr129
	s_and_saveexec_b64 s[16:17], vcc
	s_xor_b64 s[16:17], exec, s[16:17]
; %bb.43:                               ;   in Loop: Header=BB34_4 Depth=1
	v_bfe_u32 v129, v148, 16, 1
	v_add3_u32 v129, v148, v129, s29
                                        ; implicit-def: $vgpr148
; %bb.44:                               ;   in Loop: Header=BB34_4 Depth=1
	s_andn2_saveexec_b64 s[16:17], s[16:17]
; %bb.45:                               ;   in Loop: Header=BB34_4 Depth=1
	v_or_b32_e32 v129, 0x10000, v148
	v_cmp_eq_u32_sdwa vcc, v148, v143 src0_sel:WORD_0 src1_sel:DWORD
	s_nop 1
	v_cndmask_b32_e32 v129, v129, v148, vcc
; %bb.46:                               ;   in Loop: Header=BB34_4 Depth=1
	s_or_b64 exec, exec, s[16:17]
	v_add_u32_e32 v142, s7, v142
	v_lshl_add_u64 v[148:149], v[142:143], 1, s[12:13]
	global_store_short_d16_hi v[148:149], v129, off
	v_and_b32_e32 v129, 0x7f800000, v147
	v_cmp_ne_u32_e32 vcc, s28, v129
                                        ; implicit-def: $vgpr129
	s_and_saveexec_b64 s[16:17], vcc
	s_xor_b64 s[16:17], exec, s[16:17]
; %bb.47:                               ;   in Loop: Header=BB34_4 Depth=1
	v_bfe_u32 v129, v147, 16, 1
	v_add3_u32 v129, v147, v129, s29
; %bb.48:                               ;   in Loop: Header=BB34_4 Depth=1
	s_andn2_saveexec_b64 s[16:17], s[16:17]
; %bb.49:                               ;   in Loop: Header=BB34_4 Depth=1
	v_or_b32_e32 v129, 0x10000, v147
	v_cmp_eq_u32_sdwa vcc, v147, v143 src0_sel:WORD_0 src1_sel:DWORD
	s_nop 1
	v_cndmask_b32_e32 v129, v129, v147, vcc
; %bb.50:                               ;   in Loop: Header=BB34_4 Depth=1
	s_or_b64 exec, exec, s[16:17]
	v_add_u32_e32 v142, s7, v142
	v_lshl_add_u64 v[148:149], v[142:143], 1, s[12:13]
	global_store_short_d16_hi v[148:149], v129, off
	v_and_b32_e32 v129, 0x7f800000, v146
	v_cmp_ne_u32_e32 vcc, s28, v129
                                        ; implicit-def: $vgpr129
	s_and_saveexec_b64 s[16:17], vcc
	s_xor_b64 s[16:17], exec, s[16:17]
; %bb.51:                               ;   in Loop: Header=BB34_4 Depth=1
	v_bfe_u32 v129, v146, 16, 1
	v_add3_u32 v129, v146, v129, s29
                                        ; implicit-def: $vgpr146
; %bb.52:                               ;   in Loop: Header=BB34_4 Depth=1
	s_andn2_saveexec_b64 s[16:17], s[16:17]
; %bb.53:                               ;   in Loop: Header=BB34_4 Depth=1
	v_or_b32_e32 v129, 0x10000, v146
	v_cmp_eq_u32_sdwa vcc, v146, v143 src0_sel:WORD_0 src1_sel:DWORD
	s_nop 1
	v_cndmask_b32_e32 v129, v129, v146, vcc
; %bb.54:                               ;   in Loop: Header=BB34_4 Depth=1
	s_or_b64 exec, exec, s[16:17]
	v_add_u32_e32 v142, s7, v142
	v_lshl_add_u64 v[146:147], v[142:143], 1, s[12:13]
	global_store_short_d16_hi v[146:147], v129, off
	v_and_b32_e32 v129, 0x7f800000, v145
	v_cmp_ne_u32_e32 vcc, s28, v129
                                        ; implicit-def: $vgpr129
	s_and_saveexec_b64 s[16:17], vcc
	s_xor_b64 s[16:17], exec, s[16:17]
; %bb.55:                               ;   in Loop: Header=BB34_4 Depth=1
	v_bfe_u32 v129, v145, 16, 1
	v_add3_u32 v129, v145, v129, s29
; %bb.56:                               ;   in Loop: Header=BB34_4 Depth=1
	s_andn2_saveexec_b64 s[16:17], s[16:17]
; %bb.57:                               ;   in Loop: Header=BB34_4 Depth=1
	v_or_b32_e32 v129, 0x10000, v145
	v_cmp_eq_u32_sdwa vcc, v145, v143 src0_sel:WORD_0 src1_sel:DWORD
	s_nop 1
	v_cndmask_b32_e32 v129, v129, v145, vcc
; %bb.58:                               ;   in Loop: Header=BB34_4 Depth=1
	s_or_b64 exec, exec, s[16:17]
	v_add_u32_e32 v142, s7, v142
	v_lshl_add_u64 v[146:147], v[142:143], 1, s[12:13]
	global_store_short_d16_hi v[146:147], v129, off
	v_and_b32_e32 v129, 0x7f800000, v144
	v_cmp_ne_u32_e32 vcc, s28, v129
                                        ; implicit-def: $vgpr129
	s_and_saveexec_b64 s[16:17], vcc
	s_xor_b64 s[16:17], exec, s[16:17]
; %bb.59:                               ;   in Loop: Header=BB34_4 Depth=1
	v_bfe_u32 v129, v144, 16, 1
	v_add3_u32 v129, v144, v129, s29
                                        ; implicit-def: $vgpr144
; %bb.60:                               ;   in Loop: Header=BB34_4 Depth=1
	s_andn2_saveexec_b64 s[16:17], s[16:17]
	s_cbranch_execz .LBB34_2
; %bb.61:                               ;   in Loop: Header=BB34_4 Depth=1
	v_or_b32_e32 v129, 0x10000, v144
	v_cmp_eq_u32_sdwa vcc, v144, v143 src0_sel:WORD_0 src1_sel:DWORD
	s_nop 1
	v_cndmask_b32_e32 v129, v129, v144, vcc
	s_branch .LBB34_2
.LBB34_62:
	s_endpgm
	.section	.rodata,"a",@progbits
	.p2align	6, 0x0
	.amdhsa_kernel _ZN5aiter32wv_splitk_small_fp16_bf16_kernelI14__hip_bfloat16Li64ELi1ELi1ELi8ELi4ELi9EEEviiPKT_S4_PS2_ii
		.amdhsa_group_segment_fixed_size 0
		.amdhsa_private_segment_fixed_size 0
		.amdhsa_kernarg_size 40
		.amdhsa_user_sgpr_count 2
		.amdhsa_user_sgpr_dispatch_ptr 0
		.amdhsa_user_sgpr_queue_ptr 0
		.amdhsa_user_sgpr_kernarg_segment_ptr 1
		.amdhsa_user_sgpr_dispatch_id 0
		.amdhsa_user_sgpr_kernarg_preload_length 0
		.amdhsa_user_sgpr_kernarg_preload_offset 0
		.amdhsa_user_sgpr_private_segment_size 0
		.amdhsa_uses_dynamic_stack 0
		.amdhsa_enable_private_segment 0
		.amdhsa_system_sgpr_workgroup_id_x 1
		.amdhsa_system_sgpr_workgroup_id_y 0
		.amdhsa_system_sgpr_workgroup_id_z 0
		.amdhsa_system_sgpr_workgroup_info 0
		.amdhsa_system_vgpr_workitem_id 1
		.amdhsa_next_free_vgpr 246
		.amdhsa_next_free_sgpr 31
		.amdhsa_accum_offset 248
		.amdhsa_reserve_vcc 1
		.amdhsa_float_round_mode_32 0
		.amdhsa_float_round_mode_16_64 0
		.amdhsa_float_denorm_mode_32 3
		.amdhsa_float_denorm_mode_16_64 3
		.amdhsa_dx10_clamp 1
		.amdhsa_ieee_mode 1
		.amdhsa_fp16_overflow 0
		.amdhsa_tg_split 0
		.amdhsa_exception_fp_ieee_invalid_op 0
		.amdhsa_exception_fp_denorm_src 0
		.amdhsa_exception_fp_ieee_div_zero 0
		.amdhsa_exception_fp_ieee_overflow 0
		.amdhsa_exception_fp_ieee_underflow 0
		.amdhsa_exception_fp_ieee_inexact 0
		.amdhsa_exception_int_div_zero 0
	.end_amdhsa_kernel
	.section	.text._ZN5aiter32wv_splitk_small_fp16_bf16_kernelI14__hip_bfloat16Li64ELi1ELi1ELi8ELi4ELi9EEEviiPKT_S4_PS2_ii,"axG",@progbits,_ZN5aiter32wv_splitk_small_fp16_bf16_kernelI14__hip_bfloat16Li64ELi1ELi1ELi8ELi4ELi9EEEviiPKT_S4_PS2_ii,comdat
.Lfunc_end34:
	.size	_ZN5aiter32wv_splitk_small_fp16_bf16_kernelI14__hip_bfloat16Li64ELi1ELi1ELi8ELi4ELi9EEEviiPKT_S4_PS2_ii, .Lfunc_end34-_ZN5aiter32wv_splitk_small_fp16_bf16_kernelI14__hip_bfloat16Li64ELi1ELi1ELi8ELi4ELi9EEEviiPKT_S4_PS2_ii
                                        ; -- End function
	.section	.AMDGPU.csdata,"",@progbits
; Kernel info:
; codeLenInByte = 7780
; NumSgprs: 37
; NumVgprs: 246
; NumAgprs: 0
; TotalNumVgprs: 246
; ScratchSize: 0
; MemoryBound: 0
; FloatMode: 240
; IeeeMode: 1
; LDSByteSize: 0 bytes/workgroup (compile time only)
; SGPRBlocks: 4
; VGPRBlocks: 30
; NumSGPRsForWavesPerEU: 37
; NumVGPRsForWavesPerEU: 246
; AccumOffset: 248
; Occupancy: 2
; WaveLimiterHint : 0
; COMPUTE_PGM_RSRC2:SCRATCH_EN: 0
; COMPUTE_PGM_RSRC2:USER_SGPR: 2
; COMPUTE_PGM_RSRC2:TRAP_HANDLER: 0
; COMPUTE_PGM_RSRC2:TGID_X_EN: 1
; COMPUTE_PGM_RSRC2:TGID_Y_EN: 0
; COMPUTE_PGM_RSRC2:TGID_Z_EN: 0
; COMPUTE_PGM_RSRC2:TIDIG_COMP_CNT: 1
; COMPUTE_PGM_RSRC3_GFX90A:ACCUM_OFFSET: 61
; COMPUTE_PGM_RSRC3_GFX90A:TG_SPLIT: 0
	.section	.text._ZN5aiter32wv_splitk_small_fp16_bf16_kernelI14__hip_bfloat16Li64ELi1ELi1ELi8ELi4ELi10EEEviiPKT_S4_PS2_ii,"axG",@progbits,_ZN5aiter32wv_splitk_small_fp16_bf16_kernelI14__hip_bfloat16Li64ELi1ELi1ELi8ELi4ELi10EEEviiPKT_S4_PS2_ii,comdat
	.protected	_ZN5aiter32wv_splitk_small_fp16_bf16_kernelI14__hip_bfloat16Li64ELi1ELi1ELi8ELi4ELi10EEEviiPKT_S4_PS2_ii ; -- Begin function _ZN5aiter32wv_splitk_small_fp16_bf16_kernelI14__hip_bfloat16Li64ELi1ELi1ELi8ELi4ELi10EEEviiPKT_S4_PS2_ii
	.globl	_ZN5aiter32wv_splitk_small_fp16_bf16_kernelI14__hip_bfloat16Li64ELi1ELi1ELi8ELi4ELi10EEEviiPKT_S4_PS2_ii
	.p2align	8
	.type	_ZN5aiter32wv_splitk_small_fp16_bf16_kernelI14__hip_bfloat16Li64ELi1ELi1ELi8ELi4ELi10EEEviiPKT_S4_PS2_ii,@function
_ZN5aiter32wv_splitk_small_fp16_bf16_kernelI14__hip_bfloat16Li64ELi1ELi1ELi8ELi4ELi10EEEviiPKT_S4_PS2_ii: ; @_ZN5aiter32wv_splitk_small_fp16_bf16_kernelI14__hip_bfloat16Li64ELi1ELi1ELi8ELi4ELi10EEEviiPKT_S4_PS2_ii
; %bb.0:
	s_load_dwordx2 s[4:5], s[0:1], 0x20
	s_load_dwordx2 s[6:7], s[0:1], 0x0
	v_bfe_u32 v1, v0, 10, 10
	s_waitcnt lgkmcnt(0)
	s_mul_i32 s2, s2, s4
	v_add_u32_e32 v136, s2, v1
	v_cmp_gt_u32_e32 vcc, s7, v136
	s_and_saveexec_b64 s[2:3], vcc
	s_cbranch_execz .LBB35_66
; %bb.1:
	s_load_dwordx4 s[8:11], s[0:1], 0x8
	s_load_dwordx2 s[12:13], s[0:1], 0x18
	s_cmp_lg_u32 s6, 0
	v_and_b32_e32 v0, 0x3ff, v0
	v_lshlrev_b32_e32 v138, 3, v0
	s_cselect_b64 s[2:3], -1, 0
	v_cmp_eq_u32_e64 s[0:1], 63, v0
	s_mul_i32 s24, s5, s4
	v_lshl_add_u32 v139, s6, 1, v138
	v_cndmask_b32_e64 v0, 0, 1, s[2:3]
	s_mul_i32 s25, s24, s6
	v_lshl_add_u32 v188, s6, 2, v138
	v_lshl_add_u32 v189, s6, 3, v138
	v_add_u32_e32 v190, s6, v138
	s_mov_b64 s[14:15], 0
	s_mov_b32 s26, 0x5040100
	s_mov_b32 s27, 0x7060302
	;; [unrolled: 1-line block ×3, first 2 shown]
	s_movk_i32 s29, 0x7fff
	v_cmp_ne_u32_e64 s[2:3], 1, v0
	v_mad_u64_u32 v[140:141], s[4:5], s6, v136, v[138:139]
	v_mad_u64_u32 v[142:143], s[4:5], s6, 3, v[138:139]
	;; [unrolled: 1-line block ×6, first 2 shown]
	v_mov_b32_e32 v153, 0
                                        ; implicit-def: $vgpr22
                                        ; implicit-def: $vgpr26
                                        ; implicit-def: $vgpr27
                                        ; implicit-def: $vgpr186
                                        ; implicit-def: $vgpr61
                                        ; implicit-def: $vgpr63
                                        ; implicit-def: $vgpr165
                                        ; implicit-def: $vgpr168
                                        ; implicit-def: $vgpr169
                                        ; implicit-def: $vgpr167
                                        ; implicit-def: $vgpr170
                                        ; implicit-def: $vgpr171
                                        ; implicit-def: $vgpr230
                                        ; implicit-def: $vgpr237
                                        ; implicit-def: $vgpr238
                                        ; implicit-def: $vgpr172
                                        ; implicit-def: $vgpr173
                                        ; implicit-def: $vgpr174
                                        ; implicit-def: $vgpr239
                                        ; implicit-def: $vgpr175
                                        ; implicit-def: $vgpr176
                                        ; implicit-def: $vgpr231
                                        ; implicit-def: $vgpr240
                                        ; implicit-def: $vgpr241
                                        ; implicit-def: $vgpr177
                                        ; implicit-def: $vgpr178
                                        ; implicit-def: $vgpr179
                                        ; implicit-def: $vgpr242
                                        ; implicit-def: $vgpr180
                                        ; implicit-def: $vgpr181
                                        ; implicit-def: $vgpr232
                                        ; implicit-def: $vgpr243
                                        ; implicit-def: $vgpr244
                                        ; implicit-def: $vgpr182
                                        ; implicit-def: $vgpr183
                                        ; implicit-def: $vgpr184
                                        ; implicit-def: $vgpr245
                                        ; implicit-def: $vgpr185
                                        ; implicit-def: $vgpr250
                                        ; implicit-def: $vgpr233
                                        ; implicit-def: $vgpr246
                                        ; implicit-def: $vgpr247
                                        ; implicit-def: $vgpr251
                                        ; implicit-def: $vgpr252
                                        ; implicit-def: $vgpr253
                                        ; implicit-def: $vgpr219
                                        ; implicit-def: $vgpr202
                                        ; implicit-def: $vgpr224
                                        ; implicit-def: $vgpr209
                                        ; implicit-def: $vgpr234
                                        ; implicit-def: $vgpr111
                                        ; implicit-def: $vgpr216
                                        ; implicit-def: $vgpr199
                                        ; implicit-def: $vgpr223
                                        ; implicit-def: $vgpr208
                                        ; implicit-def: $vgpr109
                                        ; implicit-def: $vgpr87
                                        ; implicit-def: $vgpr214
                                        ; implicit-def: $vgpr196
                                        ; implicit-def: $vgpr222
                                        ; implicit-def: $vgpr206
                                        ; implicit-def: $vgpr85
                                        ; implicit-def: $vgpr67
                                        ; implicit-def: $vgpr213
                                        ; implicit-def: $vgpr194
                                        ; implicit-def: $vgpr220
                                        ; implicit-def: $vgpr204
                                        ; implicit-def: $vgpr65
                                        ; implicit-def: $vgpr43
                                        ; implicit-def: $vgpr212
                                        ; implicit-def: $vgpr192
                                        ; implicit-def: $vgpr218
                                        ; implicit-def: $vgpr201
                                        ; implicit-def: $vgpr41
                                        ; implicit-def: $vgpr23
                                        ; implicit-def: $vgpr19
                                        ; implicit-def: $vgpr39
                                        ; implicit-def: $vgpr14
                                        ; implicit-def: $vgpr34
                                        ; implicit-def: $vgpr21
                                        ; implicit-def: $vgpr42
                                        ; implicit-def: $agpr4
                                        ; implicit-def: $vgpr225
                                        ; implicit-def: $vgpr51
                                        ; implicit-def: $vgpr59
                                        ; implicit-def: $vgpr35
                                        ; implicit-def: $vgpr54
                                        ; implicit-def: $vgpr97
                                        ; implicit-def: $vgpr66
                                        ; implicit-def: $agpr1
                                        ; implicit-def: $agpr0
                                        ; implicit-def: $vgpr75
                                        ; implicit-def: $vgpr83
                                        ; implicit-def: $vgpr55
                                        ; implicit-def: $vgpr78
                                        ; implicit-def: $vgpr121
                                        ; implicit-def: $vgpr86
                                        ; implicit-def: $agpr3
                                        ; implicit-def: $agpr2
                                        ; implicit-def: $vgpr95
                                        ; implicit-def: $vgpr107
                                        ; implicit-def: $vgpr79
                                        ; implicit-def: $vgpr102
                                        ; implicit-def: $vgpr125
                                        ; implicit-def: $vgpr110
                                        ; implicit-def: $agpr8
                                        ; implicit-def: $agpr7
                                        ; implicit-def: $vgpr119
                                        ; implicit-def: $vgpr254
                                        ; implicit-def: $vgpr103
                                        ; implicit-def: $vgpr248
                                        ; implicit-def: $vgpr133
                                        ; implicit-def: $vgpr235
                                        ; implicit-def: $vgpr217
                                        ; implicit-def: $agpr11
                                        ; implicit-def: $vgpr15
                                        ; implicit-def: $vgpr46
                                        ; implicit-def: $vgpr62
                                        ; implicit-def: $vgpr98
                                        ; implicit-def: $agpr6
                                        ; implicit-def: $agpr5
                                        ; implicit-def: $vgpr47
                                        ; implicit-def: $vgpr70
                                        ; implicit-def: $vgpr99
                                        ; implicit-def: $vgpr122
                                        ; implicit-def: $agpr10
                                        ; implicit-def: $agpr9
                                        ; implicit-def: $vgpr71
                                        ; implicit-def: $vgpr90
                                        ; implicit-def: $vgpr123
                                        ; implicit-def: $vgpr126
                                        ; implicit-def: $vgpr221
                                        ; implicit-def: $vgpr215
                                        ; implicit-def: $vgpr91
                                        ; implicit-def: $vgpr114
                                        ; implicit-def: $vgpr127
                                        ; implicit-def: $vgpr134
                                        ; implicit-def: $vgpr227
                                        ; implicit-def: $vgpr226
                                        ; implicit-def: $vgpr115
                                        ; implicit-def: $vgpr249
                                        ; implicit-def: $vgpr135
                                        ; implicit-def: $vgpr236
                                        ; implicit-def: $vgpr229
                                        ; implicit-def: $vgpr228
                                        ; implicit-def: $vgpr100
                                        ; implicit-def: $vgpr105
                                        ; implicit-def: $vgpr108
                                        ; implicit-def: $vgpr113
                                        ; implicit-def: $vgpr118
                                        ; implicit-def: $vgpr76
                                        ; implicit-def: $vgpr81
                                        ; implicit-def: $vgpr84
                                        ; implicit-def: $vgpr89
                                        ; implicit-def: $vgpr94
                                        ; implicit-def: $vgpr52
                                        ; implicit-def: $vgpr57
                                        ; implicit-def: $vgpr64
                                        ; implicit-def: $vgpr69
                                        ; implicit-def: $vgpr74
                                        ; implicit-def: $vgpr32
                                        ; implicit-def: $vgpr37
                                        ; implicit-def: $vgpr40
                                        ; implicit-def: $vgpr45
                                        ; implicit-def: $vgpr50
                                        ; implicit-def: $vgpr12
                                        ; implicit-def: $vgpr17
                                        ; implicit-def: $vgpr20
                                        ; implicit-def: $vgpr25
                                        ; implicit-def: $vgpr30
                                        ; implicit-def: $vgpr128_vgpr129_vgpr130_vgpr131
                                        ; implicit-def: $vgpr0_vgpr1_vgpr2_vgpr3
                                        ; implicit-def: $vgpr4_vgpr5_vgpr6_vgpr7
                                        ; implicit-def: $vgpr8_vgpr9_vgpr10_vgpr11
                                        ; implicit-def: $vgpr132
                                        ; implicit-def: $vgpr124
                                        ; implicit-def: $vgpr120
                                        ; implicit-def: $vgpr96
                                        ; implicit-def: $vgpr60
	s_branch .LBB35_4
.LBB35_2:                               ;   in Loop: Header=BB35_4 Depth=1
	s_or_b64 exec, exec, s[16:17]
	v_add_u32_e32 v152, s7, v152
	v_lshl_add_u64 v[154:155], v[152:153], 1, s[12:13]
	global_store_short_d16_hi v[154:155], v137, off
.LBB35_3:                               ;   in Loop: Header=BB35_4 Depth=1
	s_or_b64 exec, exec, s[4:5]
	v_add_u32_e32 v136, s24, v136
	v_cmp_le_u32_e32 vcc, s7, v136
	v_perm_b32 v202, v207, v202, s26
	v_perm_b32 v209, v205, v209, s26
	;; [unrolled: 1-line block ×20, first 2 shown]
	s_or_b64 s[14:15], vcc, s[14:15]
	v_add_u32_e32 v140, s25, v140
	s_andn2_b64 exec, exec, s[14:15]
	s_cbranch_execz .LBB35_66
.LBB35_4:                               ; =>This Loop Header: Depth=1
                                        ;     Child Loop BB35_10 Depth 2
	s_and_b64 vcc, exec, s[2:3]
	s_cbranch_vccnz .LBB35_24
; %bb.5:                                ;   in Loop: Header=BB35_4 Depth=1
	v_mov_b32_e32 v154, 0
	v_mov_b32_e32 v187, v222
	;; [unrolled: 1-line block ×5, first 2 shown]
	v_accvgpr_read_b32 v197, a0
	v_accvgpr_read_b32 v203, a1
	;; [unrolled: 1-line block ×5, first 2 shown]
	s_mov_b32 s30, 0
	v_mov_b32_e32 v155, v154
	v_mov_b32_e32 v156, v154
	;; [unrolled: 1-line block ×16, first 2 shown]
	s_branch .LBB35_10
.LBB35_6:                               ;   in Loop: Header=BB35_10 Depth=2
	s_or_b64 exec, exec, s[20:21]
.LBB35_7:                               ;   in Loop: Header=BB35_10 Depth=2
	s_or_b64 exec, exec, s[18:19]
.LBB35_8:                               ;   in Loop: Header=BB35_10 Depth=2
	s_or_b64 exec, exec, s[16:17]
.LBB35_9:                               ;   in Loop: Header=BB35_10 Depth=2
	s_or_b64 exec, exec, s[4:5]
	s_addk_i32 s30, 0x800
	s_cmp_ge_u32 s30, s6
	s_cbranch_scc1 .LBB35_23
.LBB35_10:                              ;   Parent Loop BB35_4 Depth=1
                                        ; =>  This Inner Loop Header: Depth=2
	v_add_u32_e32 v164, s30, v138
	v_cmp_gt_u32_e32 vcc, s6, v164
	v_add_u32_e32 v166, 0x200, v164
	s_and_saveexec_b64 s[16:17], vcc
	s_cbranch_execz .LBB35_18
; %bb.11:                               ;   in Loop: Header=BB35_10 Depth=2
	v_add_u32_e32 v152, s30, v140
	v_mov_b32_e32 v165, v153
	v_add_u32_e32 v184, s30, v190
	v_mov_b32_e32 v185, v153
	;; [unrolled: 2-line block ×4, first 2 shown]
	s_waitcnt lgkmcnt(0)
	v_lshl_add_u64 v[8:9], v[152:153], 1, s[8:9]
	v_lshl_add_u64 v[16:17], v[164:165], 1, s[10:11]
	;; [unrolled: 1-line block ×5, first 2 shown]
	v_add_u32_e32 v178, s30, v188
	v_mov_b32_e32 v179, v153
	v_add_u32_e32 v176, s30, v144
	v_mov_b32_e32 v177, v153
	global_load_dwordx4 v[8:11], v[8:9], off nt
	s_nop 0
	global_load_dwordx4 v[28:31], v[16:17], off
	s_nop 0
	global_load_dwordx4 v[16:19], v[18:19], off
	;; [unrolled: 2-line block ×4, first 2 shown]
	v_lshl_add_u64 v[26:27], v[178:179], 1, s[10:11]
	v_lshl_add_u64 v[56:57], v[176:177], 1, s[10:11]
	v_add_u32_e32 v174, s30, v146
	v_mov_b32_e32 v175, v153
	v_add_u32_e32 v172, s30, v148
	v_mov_b32_e32 v173, v153
	global_load_dwordx4 v[72:75], v[26:27], off
	s_nop 0
	global_load_dwordx4 v[56:59], v[56:57], off
	v_lshl_add_u64 v[26:27], v[174:175], 1, s[10:11]
	v_lshl_add_u64 v[80:81], v[172:173], 1, s[10:11]
	v_add_u32_e32 v170, s30, v189
	v_mov_b32_e32 v171, v153
	v_add_u32_e32 v168, s30, v150
	v_mov_b32_e32 v169, v153
	global_load_dwordx4 v[92:95], v[26:27], off
	s_nop 0
	global_load_dwordx4 v[80:83], v[80:81], off
	v_lshl_add_u64 v[26:27], v[170:171], 1, s[10:11]
	v_lshl_add_u64 v[104:105], v[168:169], 1, s[10:11]
	global_load_dwordx4 v[116:119], v[26:27], off
	s_nop 0
	global_load_dwordx4 v[104:107], v[104:105], off
	v_cmp_gt_u32_e64 s[4:5], s6, v166
	s_and_saveexec_b64 s[18:19], s[4:5]
	s_cbranch_execz .LBB35_17
; %bb.12:                               ;   in Loop: Header=BB35_10 Depth=2
	v_add_u32_e32 v4, 0x200, v152
	v_mov_b32_e32 v5, v153
	v_mov_b32_e32 v167, v153
	v_add_u32_e32 v14, 0x200, v184
	v_mov_b32_e32 v15, v153
	v_add_u32_e32 v32, 0x200, v182
	;; [unrolled: 2-line block ×9, first 2 shown]
	v_mov_b32_e32 v103, v153
	v_lshl_add_u64 v[4:5], v[4:5], 1, s[8:9]
	v_lshl_add_u64 v[12:13], v[166:167], 1, s[10:11]
	v_lshl_add_u64 v[14:15], v[14:15], 1, s[10:11]
	v_lshl_add_u64 v[32:33], v[32:33], 1, s[10:11]
	v_lshl_add_u64 v[34:35], v[34:35], 1, s[10:11]
	v_lshl_add_u64 v[52:53], v[52:53], 1, s[10:11]
	v_lshl_add_u64 v[54:55], v[54:55], 1, s[10:11]
	v_lshl_add_u64 v[76:77], v[76:77], 1, s[10:11]
	v_lshl_add_u64 v[78:79], v[78:79], 1, s[10:11]
	v_lshl_add_u64 v[100:101], v[100:101], 1, s[10:11]
	v_lshl_add_u64 v[102:103], v[102:103], 1, s[10:11]
	global_load_dwordx4 v[4:7], v[4:5], off nt
	s_nop 0
	global_load_dwordx4 v[24:27], v[12:13], off
	s_nop 0
	global_load_dwordx4 v[12:15], v[14:15], off
	;; [unrolled: 2-line block ×10, first 2 shown]
	v_add_u32_e32 v22, 0x400, v164
	v_cmp_gt_u32_e64 s[4:5], s6, v22
	s_and_saveexec_b64 s[20:21], s[4:5]
	s_cbranch_execz .LBB35_16
; %bb.13:                               ;   in Loop: Header=BB35_10 Depth=2
	v_mov_b32_e32 v23, v153
	v_add_u32_e32 v0, 0x400, v152
	v_mov_b32_e32 v1, v153
	v_lshl_add_u64 v[20:21], v[22:23], 1, s[10:11]
	v_add_u32_e32 v22, 0x400, v184
	v_lshl_add_u64 v[0:1], v[0:1], 1, s[8:9]
	v_lshl_add_u64 v[40:41], v[22:23], 1, s[10:11]
	global_load_dwordx4 v[0:3], v[0:1], off nt
	s_nop 0
	global_load_dwordx4 v[20:23], v[20:21], off
	s_nop 0
	global_load_dwordx4 v[60:63], v[40:41], off
	v_add_u32_e32 v40, 0x400, v182
	v_mov_b32_e32 v41, v153
	v_add_u32_e32 v42, 0x400, v180
	v_mov_b32_e32 v43, v153
	v_lshl_add_u64 v[40:41], v[40:41], 1, s[10:11]
	v_lshl_add_u64 v[64:65], v[42:43], 1, s[10:11]
	global_load_dwordx4 v[40:43], v[40:41], off
	s_nop 0
	global_load_dwordx4 v[96:99], v[64:65], off
	v_add_u32_e32 v64, 0x400, v178
	v_mov_b32_e32 v65, v153
	v_add_u32_e32 v66, 0x400, v176
	v_mov_b32_e32 v67, v153
	v_lshl_add_u64 v[64:65], v[64:65], 1, s[10:11]
	v_lshl_add_u64 v[84:85], v[66:67], 1, s[10:11]
	;; [unrolled: 9-line block ×4, first 2 shown]
	global_load_dwordx4 v[108:111], v[108:109], off
	s_nop 0
	global_load_dwordx4 v[132:135], v[132:133], off
	v_add_u32_e32 v186, 0x600, v164
	v_cmp_gt_u32_e64 s[4:5], s6, v186
	s_and_saveexec_b64 s[22:23], s[4:5]
	s_cbranch_execz .LBB35_15
; %bb.14:                               ;   in Loop: Header=BB35_10 Depth=2
	v_add_u32_e32 v152, 0x600, v152
	v_lshl_add_u64 v[128:129], v[152:153], 1, s[8:9]
	v_mov_b32_e32 v187, v153
	v_add_u32_e32 v152, 0x600, v184
	v_lshl_add_u64 v[130:131], v[186:187], 1, s[10:11]
	v_lshl_add_u64 v[192:193], v[152:153], 1, s[10:11]
	v_add_u32_e32 v152, 0x600, v182
	global_load_dwordx4 v[184:187], v[130:131], off
	global_load_dwordx4 v[198:201], v[192:193], off
	v_lshl_add_u64 v[130:131], v[152:153], 1, s[10:11]
	v_add_u32_e32 v152, 0x600, v180
	v_lshl_add_u64 v[192:193], v[152:153], 1, s[10:11]
	v_add_u32_e32 v152, 0x600, v178
	global_load_dwordx4 v[180:183], v[130:131], off
	global_load_dwordx4 v[202:205], v[192:193], off
	v_lshl_add_u64 v[130:131], v[152:153], 1, s[10:11]
	v_add_u32_e32 v152, 0x600, v176
	;; [unrolled: 6-line block ×3, first 2 shown]
	v_lshl_add_u64 v[192:193], v[152:153], 1, s[10:11]
	global_load_dwordx4 v[172:175], v[130:131], off
	global_load_dwordx4 v[228:231], v[192:193], off
	v_add_u32_e32 v152, 0x600, v170
	v_lshl_add_u64 v[130:131], v[152:153], 1, s[10:11]
	v_add_u32_e32 v152, 0x600, v168
	v_lshl_add_u64 v[192:193], v[152:153], 1, s[10:11]
	global_load_dwordx4 v[168:171], v[130:131], off
	global_load_dwordx4 v[232:235], v[192:193], off
	s_nop 0
	global_load_dwordx4 v[128:131], v[128:129], off nt
	s_waitcnt vmcnt(9)
	v_perm_b32 v141, v185, v199, s26
	v_accvgpr_write_b32 a5, v141
	v_perm_b32 v141, v185, v199, s27
	v_perm_b32 v137, v187, v201, s26
	;; [unrolled: 1-line block ×3, first 2 shown]
	s_waitcnt vmcnt(7)
	v_perm_b32 v143, v181, v203, s26
	v_accvgpr_write_b32 a9, v143
	v_perm_b32 v143, v181, v203, s27
	v_perm_b32 v195, v184, v198, s26
	;; [unrolled: 1-line block ×4, first 2 shown]
	v_accvgpr_write_b32 a6, v141
	v_perm_b32 v141, v183, v205, s26
	v_perm_b32 v194, v182, v204, s26
	s_waitcnt vmcnt(3)
	v_perm_b32 v149, v172, v228, s26
	v_accvgpr_write_b32 a7, v149
	v_perm_b32 v149, v172, v228, s27
	v_perm_b32 v197, v180, v202, s26
	s_waitcnt vmcnt(1)
	v_perm_b32 v152, v168, v232, s26
	v_perm_b32 v151, v183, v205, s27
	;; [unrolled: 1-line block ×3, first 2 shown]
	v_accvgpr_write_b32 a10, v143
	v_perm_b32 v203, v180, v202, s27
	v_perm_b32 v143, v179, v227, s26
	v_perm_b32 v196, v178, v226, s26
	v_perm_b32 v215, v177, v225, s26
	v_perm_b32 v205, v176, v224, s26
	v_perm_b32 v187, v179, v227, s27
	v_perm_b32 v206, v178, v226, s27
	v_perm_b32 v221, v177, v225, s27
	v_perm_b32 v207, v176, v224, s27
	v_perm_b32 v145, v175, v231, s26
	v_perm_b32 v199, v174, v230, s26
	v_perm_b32 v226, v173, v229, s26
	v_perm_b32 v191, v175, v231, s27
	v_perm_b32 v208, v174, v230, s27
	v_perm_b32 v227, v173, v229, s27
	v_accvgpr_write_b32 a8, v149
	v_perm_b32 v149, v171, v235, s26
	v_perm_b32 v202, v170, v234, s26
	;; [unrolled: 1-line block ×3, first 2 shown]
	v_accvgpr_write_b32 a11, v152
	v_perm_b32 v193, v171, v235, s27
	v_perm_b32 v209, v170, v234, s27
	;; [unrolled: 1-line block ×5, first 2 shown]
.LBB35_15:                              ;   in Loop: Header=BB35_10 Depth=2
	s_or_b64 exec, exec, s[22:23]
	s_waitcnt vmcnt(9)
	v_lshrrev_b32_e32 v233, 16, v20
	s_waitcnt vmcnt(7)
	v_lshrrev_b32_e32 v232, 16, v40
	;; [unrolled: 2-line block ×5, first 2 shown]
	s_waitcnt vmcnt(0)
	v_perm_b32 v234, v111, v135, s26
	v_perm_b32 v236, v110, v134, s26
	;; [unrolled: 1-line block ×30, first 2 shown]
.LBB35_16:                              ;   in Loop: Header=BB35_10 Depth=2
	s_or_b64 exec, exec, s[20:21]
	s_waitcnt vmcnt(9)
	v_lshrrev_b32_e32 v247, 16, v24
	v_lshrrev_b32_e32 v246, 16, v25
	s_waitcnt vmcnt(8)
	v_lshrrev_b32_e32 v245, 16, v12
	s_waitcnt vmcnt(7)
	v_lshrrev_b32_e32 v244, 16, v44
	v_lshrrev_b32_e32 v243, 16, v45
	s_waitcnt vmcnt(6)
	v_lshrrev_b32_e32 v242, 16, v32
	;; [unrolled: 5-line block ×5, first 2 shown]
	v_perm_b32 v249, v115, v103, s26
	v_perm_b32 v248, v114, v102, s26
	;; [unrolled: 1-line block ×20, first 2 shown]
.LBB35_17:                              ;   in Loop: Header=BB35_10 Depth=2
	s_or_b64 exec, exec, s[18:19]
	s_waitcnt vmcnt(9)
	v_lshrrev_b32_e32 v253, 16, v28
	v_lshrrev_b32_e32 v252, 16, v29
	v_lshrrev_b32_e32 v251, 16, v30
	s_waitcnt vmcnt(8)
	v_lshrrev_b32_e32 v250, 16, v16
	v_lshrrev_b32_e32 v185, 16, v17
	s_waitcnt vmcnt(7)
	v_lshrrev_b32_e32 v184, 16, v48
	v_lshrrev_b32_e32 v183, 16, v49
	v_lshrrev_b32_e32 v182, 16, v50
	s_waitcnt vmcnt(6)
	v_lshrrev_b32_e32 v181, 16, v36
	v_lshrrev_b32_e32 v180, 16, v37
	;; [unrolled: 7-line block ×5, first 2 shown]
	v_perm_b32 v254, v119, v107, s26
	v_perm_b32 v119, v119, v107, s27
	;; [unrolled: 1-line block ×10, first 2 shown]
.LBB35_18:                              ;   in Loop: Header=BB35_10 Depth=2
	s_or_b64 exec, exec, s[16:17]
	s_and_saveexec_b64 s[4:5], vcc
	s_cbranch_execz .LBB35_9
; %bb.19:                               ;   in Loop: Header=BB35_10 Depth=2
	v_lshlrev_b32_e32 v152, 16, v8
	v_lshlrev_b32_e32 v211, 16, v28
	;; [unrolled: 1-line block ×3, first 2 shown]
	v_and_b32_e32 v198, 0xffff0000, v8
	v_lshlrev_b32_e32 v213, 16, v253
	v_lshlrev_b32_e32 v200, 16, v9
	;; [unrolled: 1-line block ×3, first 2 shown]
	v_pk_mul_f32 v[210:211], v[152:153], v[210:211] op_sel_hi:[0,1]
	v_lshlrev_b32_e32 v225, 16, v29
	v_lshlrev_b32_e32 v224, 16, v17
	v_and_b32_e32 v214, 0xffff0000, v9
	v_pk_mul_f32 v[212:213], v[198:199], v[212:213] op_sel_hi:[0,1]
	v_pk_fma_f32 v[210:211], v[224:225], v[200:201], v[210:211] op_sel_hi:[1,0,1]
	v_lshlrev_b32_e32 v225, 16, v252
	v_lshlrev_b32_e32 v224, 16, v185
	;; [unrolled: 1-line block ×3, first 2 shown]
	v_pk_fma_f32 v[212:213], v[224:225], v[214:215], v[212:213] op_sel_hi:[1,0,1]
	v_lshlrev_b32_e32 v225, 16, v30
	v_lshlrev_b32_e32 v224, 16, v18
	v_and_b32_e32 v218, 0xffff0000, v10
	v_pk_fma_f32 v[210:211], v[224:225], v[216:217], v[210:211] op_sel_hi:[1,0,1]
	v_and_b32_e32 v224, 0xffff0000, v18
	v_lshlrev_b32_e32 v225, 16, v251
	v_lshlrev_b32_e32 v220, 16, v11
	v_pk_fma_f32 v[212:213], v[224:225], v[218:219], v[212:213] op_sel_hi:[1,0,1]
	v_and_b32_e32 v225, 0xffff0000, v39
	v_lshlrev_b32_e32 v224, 16, v39
	v_and_b32_e32 v222, 0xffff0000, v11
	v_pk_fma_f32 v[210:211], v[224:225], v[220:221], v[210:211] op_sel_hi:[1,0,1]
	v_and_b32_e32 v225, 0xffff0000, v19
	v_lshlrev_b32_e32 v224, 16, v19
	v_pk_fma_f32 v[212:213], v[224:225], v[222:223], v[212:213] op_sel_hi:[1,0,1]
	v_lshlrev_b32_e32 v225, 16, v49
	v_pk_add_f32 v[210:211], v[210:211], v[212:213]
	v_lshlrev_b32_e32 v213, 16, v184
	v_pk_add_f32 v[162:163], v[210:211], v[162:163]
	v_lshlrev_b32_e32 v211, 16, v48
	v_lshlrev_b32_e32 v210, 16, v36
	v_lshlrev_b32_e32 v212, 16, v181
	v_pk_mul_f32 v[210:211], v[152:153], v[210:211] op_sel_hi:[0,1]
	v_lshlrev_b32_e32 v224, 16, v37
	v_pk_mul_f32 v[212:213], v[198:199], v[212:213] op_sel_hi:[0,1]
	v_pk_fma_f32 v[210:211], v[224:225], v[200:201], v[210:211] op_sel_hi:[1,0,1]
	v_lshlrev_b32_e32 v225, 16, v183
	v_lshlrev_b32_e32 v224, 16, v180
	v_pk_fma_f32 v[212:213], v[224:225], v[214:215], v[212:213] op_sel_hi:[1,0,1]
	v_lshlrev_b32_e32 v225, 16, v50
	v_lshlrev_b32_e32 v224, 16, v38
	v_pk_fma_f32 v[210:211], v[224:225], v[216:217], v[210:211] op_sel_hi:[1,0,1]
	v_and_b32_e32 v224, 0xffff0000, v38
	v_lshlrev_b32_e32 v225, 16, v182
	v_pk_fma_f32 v[212:213], v[224:225], v[218:219], v[212:213] op_sel_hi:[1,0,1]
	v_and_b32_e32 v225, 0xffff0000, v59
	v_lshlrev_b32_e32 v224, 16, v59
	v_pk_fma_f32 v[210:211], v[224:225], v[220:221], v[210:211] op_sel_hi:[1,0,1]
	v_and_b32_e32 v225, 0xffff0000, v51
	v_lshlrev_b32_e32 v224, 16, v51
	v_pk_fma_f32 v[212:213], v[224:225], v[222:223], v[212:213] op_sel_hi:[1,0,1]
	v_lshlrev_b32_e32 v225, 16, v73
	v_pk_add_f32 v[210:211], v[210:211], v[212:213]
	v_lshlrev_b32_e32 v213, 16, v179
	v_pk_add_f32 v[160:161], v[210:211], v[160:161]
	v_lshlrev_b32_e32 v211, 16, v72
	v_lshlrev_b32_e32 v210, 16, v56
	v_lshlrev_b32_e32 v212, 16, v176
	v_pk_mul_f32 v[210:211], v[152:153], v[210:211] op_sel_hi:[0,1]
	v_lshlrev_b32_e32 v224, 16, v57
	v_pk_mul_f32 v[212:213], v[198:199], v[212:213] op_sel_hi:[0,1]
	v_pk_fma_f32 v[210:211], v[224:225], v[200:201], v[210:211] op_sel_hi:[1,0,1]
	v_lshlrev_b32_e32 v225, 16, v178
	v_lshlrev_b32_e32 v224, 16, v175
	v_pk_fma_f32 v[212:213], v[224:225], v[214:215], v[212:213] op_sel_hi:[1,0,1]
	v_lshlrev_b32_e32 v225, 16, v74
	v_lshlrev_b32_e32 v224, 16, v58
	v_pk_fma_f32 v[210:211], v[224:225], v[216:217], v[210:211] op_sel_hi:[1,0,1]
	v_and_b32_e32 v224, 0xffff0000, v58
	v_lshlrev_b32_e32 v225, 16, v177
	v_pk_fma_f32 v[212:213], v[224:225], v[218:219], v[212:213] op_sel_hi:[1,0,1]
	v_and_b32_e32 v225, 0xffff0000, v83
	v_lshlrev_b32_e32 v224, 16, v83
	;; [unrolled: 26-line block ×4, first 2 shown]
	v_pk_fma_f32 v[210:211], v[224:225], v[220:221], v[210:211] op_sel_hi:[1,0,1]
	v_and_b32_e32 v225, 0xffff0000, v119
	v_lshlrev_b32_e32 v224, 16, v119
	v_pk_fma_f32 v[212:213], v[224:225], v[222:223], v[212:213] op_sel_hi:[1,0,1]
	v_cmp_gt_u32_e32 vcc, s6, v166
	v_pk_add_f32 v[210:211], v[210:211], v[212:213]
	s_nop 0
	v_pk_add_f32 v[154:155], v[210:211], v[154:155]
	s_and_saveexec_b64 s[16:17], vcc
	s_cbranch_execz .LBB35_8
; %bb.20:                               ;   in Loop: Header=BB35_10 Depth=2
	v_lshlrev_b32_e32 v152, 16, v4
	v_lshlrev_b32_e32 v225, 16, v24
	;; [unrolled: 1-line block ×3, first 2 shown]
	v_and_b32_e32 v166, 0xffff0000, v4
	v_lshlrev_b32_e32 v198, 16, v5
	v_pk_mul_f32 v[224:225], v[152:153], v[224:225] op_sel_hi:[0,1]
	v_lshlrev_b32_e32 v223, 16, v247
	v_lshlrev_b32_e32 v222, 16, v245
	;; [unrolled: 1-line block ×4, first 2 shown]
	v_and_b32_e32 v200, 0xffff0000, v5
	v_pk_mul_f32 v[222:223], v[166:167], v[222:223] op_sel_hi:[0,1]
	v_pk_fma_f32 v[218:219], v[218:219], v[198:199], v[224:225] op_sel_hi:[1,0,1]
	v_and_b32_e32 v224, 0xffff0000, v13
	v_lshlrev_b32_e32 v225, 16, v246
	v_lshlrev_b32_e32 v210, 16, v6
	v_pk_fma_f32 v[222:223], v[224:225], v[200:201], v[222:223] op_sel_hi:[1,0,1]
	v_and_b32_e32 v225, 0xffff0000, v34
	v_lshlrev_b32_e32 v224, 16, v34
	v_and_b32_e32 v212, 0xffff0000, v6
	v_pk_fma_f32 v[218:219], v[224:225], v[210:211], v[218:219] op_sel_hi:[1,0,1]
	v_and_b32_e32 v225, 0xffff0000, v14
	v_lshlrev_b32_e32 v224, 16, v14
	v_lshlrev_b32_e32 v214, 16, v7
	v_pk_fma_f32 v[222:223], v[224:225], v[212:213], v[222:223] op_sel_hi:[1,0,1]
	v_and_b32_e32 v225, 0xffff0000, v46
	v_lshlrev_b32_e32 v224, 16, v46
	v_and_b32_e32 v216, 0xffff0000, v7
	v_pk_fma_f32 v[218:219], v[224:225], v[214:215], v[218:219] op_sel_hi:[1,0,1]
	v_and_b32_e32 v225, 0xffff0000, v15
	v_lshlrev_b32_e32 v224, 16, v15
	v_pk_fma_f32 v[222:223], v[224:225], v[216:217], v[222:223] op_sel_hi:[1,0,1]
	v_lshlrev_b32_e32 v225, 16, v45
	v_pk_add_f32 v[218:219], v[218:219], v[222:223]
	v_lshlrev_b32_e32 v223, 16, v244
	v_pk_add_f32 v[162:163], v[218:219], v[162:163]
	v_lshlrev_b32_e32 v219, 16, v44
	v_lshlrev_b32_e32 v218, 16, v32
	v_pk_mul_f32 v[218:219], v[152:153], v[218:219] op_sel_hi:[0,1]
	v_lshlrev_b32_e32 v222, 16, v242
	v_lshlrev_b32_e32 v224, 16, v33
	v_pk_mul_f32 v[222:223], v[166:167], v[222:223] op_sel_hi:[0,1]
	v_pk_fma_f32 v[218:219], v[224:225], v[198:199], v[218:219] op_sel_hi:[1,0,1]
	v_and_b32_e32 v224, 0xffff0000, v33
	v_lshlrev_b32_e32 v225, 16, v243
	v_pk_fma_f32 v[222:223], v[224:225], v[200:201], v[222:223] op_sel_hi:[1,0,1]
	v_and_b32_e32 v225, 0xffff0000, v54
	v_lshlrev_b32_e32 v224, 16, v54
	v_pk_fma_f32 v[218:219], v[224:225], v[210:211], v[218:219] op_sel_hi:[1,0,1]
	v_and_b32_e32 v225, 0xffff0000, v35
	v_lshlrev_b32_e32 v224, 16, v35
	v_pk_fma_f32 v[222:223], v[224:225], v[212:213], v[222:223] op_sel_hi:[1,0,1]
	v_and_b32_e32 v225, 0xffff0000, v70
	v_lshlrev_b32_e32 v224, 16, v70
	v_pk_fma_f32 v[218:219], v[224:225], v[214:215], v[218:219] op_sel_hi:[1,0,1]
	v_and_b32_e32 v225, 0xffff0000, v47
	v_lshlrev_b32_e32 v224, 16, v47
	v_pk_fma_f32 v[222:223], v[224:225], v[216:217], v[222:223] op_sel_hi:[1,0,1]
	v_lshlrev_b32_e32 v225, 16, v69
	v_pk_add_f32 v[218:219], v[218:219], v[222:223]
	v_lshlrev_b32_e32 v223, 16, v241
	v_pk_add_f32 v[160:161], v[218:219], v[160:161]
	v_lshlrev_b32_e32 v219, 16, v68
	v_lshlrev_b32_e32 v218, 16, v52
	v_pk_mul_f32 v[218:219], v[152:153], v[218:219] op_sel_hi:[0,1]
	v_lshlrev_b32_e32 v222, 16, v239
	v_lshlrev_b32_e32 v224, 16, v53
	v_pk_mul_f32 v[222:223], v[166:167], v[222:223] op_sel_hi:[0,1]
	v_pk_fma_f32 v[218:219], v[224:225], v[198:199], v[218:219] op_sel_hi:[1,0,1]
	v_and_b32_e32 v224, 0xffff0000, v53
	v_lshlrev_b32_e32 v225, 16, v240
	v_pk_fma_f32 v[222:223], v[224:225], v[200:201], v[222:223] op_sel_hi:[1,0,1]
	v_and_b32_e32 v225, 0xffff0000, v78
	v_lshlrev_b32_e32 v224, 16, v78
	v_pk_fma_f32 v[218:219], v[224:225], v[210:211], v[218:219] op_sel_hi:[1,0,1]
	v_and_b32_e32 v225, 0xffff0000, v55
	v_lshlrev_b32_e32 v224, 16, v55
	v_pk_fma_f32 v[222:223], v[224:225], v[212:213], v[222:223] op_sel_hi:[1,0,1]
	v_and_b32_e32 v225, 0xffff0000, v90
	v_lshlrev_b32_e32 v224, 16, v90
	v_pk_fma_f32 v[218:219], v[224:225], v[214:215], v[218:219] op_sel_hi:[1,0,1]
	v_and_b32_e32 v225, 0xffff0000, v71
	v_lshlrev_b32_e32 v224, 16, v71
	v_pk_fma_f32 v[222:223], v[224:225], v[216:217], v[222:223] op_sel_hi:[1,0,1]
	v_lshlrev_b32_e32 v225, 16, v89
	v_pk_add_f32 v[218:219], v[218:219], v[222:223]
	v_lshlrev_b32_e32 v223, 16, v238
	v_pk_add_f32 v[158:159], v[218:219], v[158:159]
	v_lshlrev_b32_e32 v219, 16, v88
	v_lshlrev_b32_e32 v218, 16, v76
	v_pk_mul_f32 v[218:219], v[152:153], v[218:219] op_sel_hi:[0,1]
	v_lshlrev_b32_e32 v222, 16, v167
	v_lshlrev_b32_e32 v224, 16, v77
	v_pk_mul_f32 v[222:223], v[166:167], v[222:223] op_sel_hi:[0,1]
	v_pk_fma_f32 v[218:219], v[224:225], v[198:199], v[218:219] op_sel_hi:[1,0,1]
	v_and_b32_e32 v224, 0xffff0000, v77
	v_lshlrev_b32_e32 v225, 16, v237
	v_pk_fma_f32 v[222:223], v[224:225], v[200:201], v[222:223] op_sel_hi:[1,0,1]
	v_and_b32_e32 v225, 0xffff0000, v102
	v_lshlrev_b32_e32 v224, 16, v102
	v_pk_fma_f32 v[218:219], v[224:225], v[210:211], v[218:219] op_sel_hi:[1,0,1]
	v_and_b32_e32 v225, 0xffff0000, v79
	v_lshlrev_b32_e32 v224, 16, v79
	v_pk_fma_f32 v[222:223], v[224:225], v[212:213], v[222:223] op_sel_hi:[1,0,1]
	v_and_b32_e32 v225, 0xffff0000, v114
	v_lshlrev_b32_e32 v224, 16, v114
	v_pk_fma_f32 v[218:219], v[224:225], v[214:215], v[218:219] op_sel_hi:[1,0,1]
	v_and_b32_e32 v225, 0xffff0000, v91
	v_lshlrev_b32_e32 v224, 16, v91
	v_pk_fma_f32 v[222:223], v[224:225], v[216:217], v[222:223] op_sel_hi:[1,0,1]
	v_lshlrev_b32_e32 v225, 16, v113
	v_pk_add_f32 v[218:219], v[218:219], v[222:223]
	v_lshlrev_b32_e32 v223, 16, v63
	v_pk_add_f32 v[156:157], v[218:219], v[156:157]
	v_lshlrev_b32_e32 v219, 16, v112
	v_lshlrev_b32_e32 v218, 16, v100
	v_pk_mul_f32 v[218:219], v[152:153], v[218:219] op_sel_hi:[0,1]
	v_lshlrev_b32_e32 v222, 16, v22
	v_lshlrev_b32_e32 v224, 16, v101
	v_pk_mul_f32 v[222:223], v[166:167], v[222:223] op_sel_hi:[0,1]
	v_pk_fma_f32 v[218:219], v[224:225], v[198:199], v[218:219] op_sel_hi:[1,0,1]
	v_and_b32_e32 v224, 0xffff0000, v101
	v_lshlrev_b32_e32 v225, 16, v61
	v_pk_fma_f32 v[222:223], v[224:225], v[200:201], v[222:223] op_sel_hi:[1,0,1]
	v_and_b32_e32 v225, 0xffff0000, v248
	v_lshlrev_b32_e32 v224, 16, v248
	v_pk_fma_f32 v[210:211], v[224:225], v[210:211], v[218:219] op_sel_hi:[1,0,1]
	v_and_b32_e32 v219, 0xffff0000, v103
	v_lshlrev_b32_e32 v218, 16, v103
	v_pk_fma_f32 v[212:213], v[218:219], v[212:213], v[222:223] op_sel_hi:[1,0,1]
	v_and_b32_e32 v219, 0xffff0000, v249
	v_lshlrev_b32_e32 v218, 16, v249
	v_pk_fma_f32 v[210:211], v[218:219], v[214:215], v[210:211] op_sel_hi:[1,0,1]
	v_and_b32_e32 v219, 0xffff0000, v115
	v_lshlrev_b32_e32 v218, 16, v115
	v_pk_fma_f32 v[212:213], v[218:219], v[216:217], v[212:213] op_sel_hi:[1,0,1]
	v_add_u32_e32 v31, 0x400, v164
	v_pk_add_f32 v[210:211], v[210:211], v[212:213]
	v_cmp_gt_u32_e32 vcc, s6, v31
	v_pk_add_f32 v[154:155], v[210:211], v[154:155]
	s_and_saveexec_b64 s[18:19], vcc
	s_cbranch_execz .LBB35_7
; %bb.21:                               ;   in Loop: Header=BB35_10 Depth=2
	v_lshlrev_b32_e32 v152, 16, v0
	v_lshlrev_b32_e32 v219, 16, v20
	;; [unrolled: 1-line block ×3, first 2 shown]
	v_and_b32_e32 v166, 0xffff0000, v0
	v_lshlrev_b32_e32 v198, 16, v1
	v_pk_mul_f32 v[218:219], v[152:153], v[218:219] op_sel_hi:[0,1]
	v_and_b32_e32 v222, 0xffff0000, v60
	v_lshlrev_b32_e32 v223, 16, v233
	v_and_b32_e32 v225, 0xffff0000, v42
	v_lshlrev_b32_e32 v224, 16, v42
	v_and_b32_e32 v200, 0xffff0000, v1
	v_pk_mul_f32 v[222:223], v[166:167], v[222:223] op_sel_hi:[0,1]
	v_pk_fma_f32 v[218:219], v[224:225], v[198:199], v[218:219] op_sel_hi:[1,0,1]
	v_and_b32_e32 v225, 0xffff0000, v21
	v_lshlrev_b32_e32 v224, 16, v21
	v_lshlrev_b32_e32 v210, 16, v2
	v_pk_fma_f32 v[222:223], v[224:225], v[200:201], v[222:223] op_sel_hi:[1,0,1]
	v_and_b32_e32 v225, 0xffff0000, v98
	v_lshlrev_b32_e32 v224, 16, v98
	v_and_b32_e32 v212, 0xffff0000, v2
	v_pk_fma_f32 v[218:219], v[224:225], v[210:211], v[218:219] op_sel_hi:[1,0,1]
	v_and_b32_e32 v225, 0xffff0000, v62
	v_lshlrev_b32_e32 v224, 16, v62
	v_lshlrev_b32_e32 v214, 16, v3
	v_pk_fma_f32 v[222:223], v[224:225], v[212:213], v[222:223] op_sel_hi:[1,0,1]
	v_and_b32_e32 v225, 0xffff0000, v41
	v_lshlrev_b32_e32 v224, 16, v41
	v_and_b32_e32 v216, 0xffff0000, v3
	v_pk_fma_f32 v[218:219], v[224:225], v[214:215], v[218:219] op_sel_hi:[1,0,1]
	v_and_b32_e32 v225, 0xffff0000, v23
	v_lshlrev_b32_e32 v224, 16, v23
	v_pk_fma_f32 v[222:223], v[224:225], v[216:217], v[222:223] op_sel_hi:[1,0,1]
	v_and_b32_e32 v225, 0xffff0000, v66
	v_pk_add_f32 v[218:219], v[218:219], v[222:223]
	v_and_b32_e32 v222, 0xffff0000, v96
	v_pk_add_f32 v[162:163], v[218:219], v[162:163]
	v_lshlrev_b32_e32 v219, 16, v40
	v_lshlrev_b32_e32 v218, 16, v96
	v_pk_mul_f32 v[218:219], v[152:153], v[218:219] op_sel_hi:[0,1]
	v_lshlrev_b32_e32 v223, 16, v232
	v_lshlrev_b32_e32 v224, 16, v66
	v_pk_mul_f32 v[222:223], v[166:167], v[222:223] op_sel_hi:[0,1]
	v_pk_fma_f32 v[218:219], v[224:225], v[198:199], v[218:219] op_sel_hi:[1,0,1]
	v_and_b32_e32 v225, 0xffff0000, v97
	v_lshlrev_b32_e32 v224, 16, v97
	v_pk_fma_f32 v[222:223], v[224:225], v[200:201], v[222:223] op_sel_hi:[1,0,1]
	v_and_b32_e32 v225, 0xffff0000, v122
	v_lshlrev_b32_e32 v224, 16, v122
	v_pk_fma_f32 v[218:219], v[224:225], v[210:211], v[218:219] op_sel_hi:[1,0,1]
	v_and_b32_e32 v225, 0xffff0000, v99
	v_lshlrev_b32_e32 v224, 16, v99
	v_pk_fma_f32 v[222:223], v[224:225], v[212:213], v[222:223] op_sel_hi:[1,0,1]
	v_and_b32_e32 v225, 0xffff0000, v65
	v_lshlrev_b32_e32 v224, 16, v65
	v_pk_fma_f32 v[218:219], v[224:225], v[214:215], v[218:219] op_sel_hi:[1,0,1]
	v_and_b32_e32 v225, 0xffff0000, v43
	v_lshlrev_b32_e32 v224, 16, v43
	v_pk_fma_f32 v[222:223], v[224:225], v[216:217], v[222:223] op_sel_hi:[1,0,1]
	v_and_b32_e32 v225, 0xffff0000, v86
	v_pk_add_f32 v[218:219], v[218:219], v[222:223]
	v_and_b32_e32 v222, 0xffff0000, v120
	v_pk_add_f32 v[160:161], v[218:219], v[160:161]
	v_lshlrev_b32_e32 v219, 16, v64
	v_lshlrev_b32_e32 v218, 16, v120
	v_pk_mul_f32 v[218:219], v[152:153], v[218:219] op_sel_hi:[0,1]
	v_lshlrev_b32_e32 v223, 16, v231
	v_lshlrev_b32_e32 v224, 16, v86
	v_pk_mul_f32 v[222:223], v[166:167], v[222:223] op_sel_hi:[0,1]
	v_pk_fma_f32 v[218:219], v[224:225], v[198:199], v[218:219] op_sel_hi:[1,0,1]
	v_and_b32_e32 v225, 0xffff0000, v121
	v_lshlrev_b32_e32 v224, 16, v121
	v_pk_fma_f32 v[222:223], v[224:225], v[200:201], v[222:223] op_sel_hi:[1,0,1]
	v_and_b32_e32 v225, 0xffff0000, v126
	v_lshlrev_b32_e32 v224, 16, v126
	v_pk_fma_f32 v[218:219], v[224:225], v[210:211], v[218:219] op_sel_hi:[1,0,1]
	v_and_b32_e32 v225, 0xffff0000, v123
	v_lshlrev_b32_e32 v224, 16, v123
	v_pk_fma_f32 v[222:223], v[224:225], v[212:213], v[222:223] op_sel_hi:[1,0,1]
	v_and_b32_e32 v225, 0xffff0000, v85
	v_lshlrev_b32_e32 v224, 16, v85
	;; [unrolled: 26-line block ×4, first 2 shown]
	v_pk_fma_f32 v[210:211], v[218:219], v[214:215], v[210:211] op_sel_hi:[1,0,1]
	v_and_b32_e32 v219, 0xffff0000, v111
	v_lshlrev_b32_e32 v218, 16, v111
	v_pk_fma_f32 v[212:213], v[218:219], v[216:217], v[212:213] op_sel_hi:[1,0,1]
	v_add_u32_e32 v31, 0x600, v164
	v_pk_add_f32 v[210:211], v[210:211], v[212:213]
	v_cmp_gt_u32_e32 vcc, s6, v31
	v_pk_add_f32 v[154:155], v[210:211], v[154:155]
	s_and_saveexec_b64 s[20:21], vcc
	s_cbranch_execz .LBB35_6
; %bb.22:                               ;   in Loop: Header=BB35_10 Depth=2
	v_lshlrev_b32_e32 v152, 16, v128
	v_and_b32_e32 v219, 0xffff0000, v195
	v_lshlrev_b32_e32 v218, 16, v195
	v_accvgpr_read_b32 v31, a5
	v_and_b32_e32 v164, 0xffff0000, v128
	v_lshlrev_b32_e32 v166, 16, v129
	v_pk_mul_f32 v[218:219], v[152:153], v[218:219] op_sel_hi:[0,1]
	v_and_b32_e32 v223, 0xffff0000, v255
	v_lshlrev_b32_e32 v222, 16, v255
	v_and_b32_e32 v225, 0xffff0000, v31
	v_lshlrev_b32_e32 v224, 16, v31
	v_accvgpr_read_b32 v31, a6
	v_and_b32_e32 v198, 0xffff0000, v129
	v_pk_mul_f32 v[222:223], v[164:165], v[222:223] op_sel_hi:[0,1]
	v_pk_fma_f32 v[218:219], v[224:225], v[166:167], v[218:219] op_sel_hi:[1,0,1]
	v_and_b32_e32 v225, 0xffff0000, v31
	v_lshlrev_b32_e32 v224, 16, v31
	v_lshlrev_b32_e32 v200, 16, v130
	v_pk_fma_f32 v[222:223], v[224:225], v[198:199], v[222:223] op_sel_hi:[1,0,1]
	v_and_b32_e32 v225, 0xffff0000, v192
	v_lshlrev_b32_e32 v224, 16, v192
	v_and_b32_e32 v210, 0xffff0000, v130
	v_pk_fma_f32 v[218:219], v[224:225], v[200:201], v[218:219] op_sel_hi:[1,0,1]
	v_and_b32_e32 v225, 0xffff0000, v201
	v_lshlrev_b32_e32 v224, 16, v201
	v_lshlrev_b32_e32 v212, 16, v131
	v_pk_fma_f32 v[222:223], v[224:225], v[210:211], v[222:223] op_sel_hi:[1,0,1]
	v_and_b32_e32 v225, 0xffff0000, v137
	v_lshlrev_b32_e32 v224, 16, v137
	v_and_b32_e32 v214, 0xffff0000, v131
	v_pk_fma_f32 v[218:219], v[224:225], v[212:213], v[218:219] op_sel_hi:[1,0,1]
	v_and_b32_e32 v225, 0xffff0000, v147
	v_lshlrev_b32_e32 v224, 16, v147
	v_pk_fma_f32 v[222:223], v[224:225], v[214:215], v[222:223] op_sel_hi:[1,0,1]
	v_accvgpr_read_b32 v31, a9
	v_pk_add_f32 v[218:219], v[218:219], v[222:223]
	v_and_b32_e32 v223, 0xffff0000, v203
	v_pk_add_f32 v[162:163], v[218:219], v[162:163]
	v_and_b32_e32 v219, 0xffff0000, v197
	v_lshlrev_b32_e32 v218, 16, v197
	v_pk_mul_f32 v[218:219], v[152:153], v[218:219] op_sel_hi:[0,1]
	v_lshlrev_b32_e32 v222, 16, v203
	v_and_b32_e32 v225, 0xffff0000, v31
	v_lshlrev_b32_e32 v224, 16, v31
	v_accvgpr_read_b32 v31, a10
	v_pk_mul_f32 v[222:223], v[164:165], v[222:223] op_sel_hi:[0,1]
	v_pk_fma_f32 v[218:219], v[224:225], v[166:167], v[218:219] op_sel_hi:[1,0,1]
	v_and_b32_e32 v225, 0xffff0000, v31
	v_lshlrev_b32_e32 v224, 16, v31
	v_pk_fma_f32 v[222:223], v[224:225], v[198:199], v[222:223] op_sel_hi:[1,0,1]
	v_and_b32_e32 v225, 0xffff0000, v194
	v_lshlrev_b32_e32 v224, 16, v194
	;; [unrolled: 3-line block ×5, first 2 shown]
	v_pk_fma_f32 v[222:223], v[224:225], v[214:215], v[222:223] op_sel_hi:[1,0,1]
	v_and_b32_e32 v225, 0xffff0000, v215
	v_pk_add_f32 v[218:219], v[218:219], v[222:223]
	v_and_b32_e32 v223, 0xffff0000, v207
	v_pk_add_f32 v[160:161], v[218:219], v[160:161]
	v_and_b32_e32 v219, 0xffff0000, v205
	v_lshlrev_b32_e32 v218, 16, v205
	v_pk_mul_f32 v[218:219], v[152:153], v[218:219] op_sel_hi:[0,1]
	v_lshlrev_b32_e32 v222, 16, v207
	v_lshlrev_b32_e32 v224, 16, v215
	v_pk_mul_f32 v[222:223], v[164:165], v[222:223] op_sel_hi:[0,1]
	v_pk_fma_f32 v[218:219], v[224:225], v[166:167], v[218:219] op_sel_hi:[1,0,1]
	v_and_b32_e32 v225, 0xffff0000, v221
	v_lshlrev_b32_e32 v224, 16, v221
	v_pk_fma_f32 v[222:223], v[224:225], v[198:199], v[222:223] op_sel_hi:[1,0,1]
	v_and_b32_e32 v225, 0xffff0000, v196
	v_lshlrev_b32_e32 v224, 16, v196
	;; [unrolled: 3-line block ×5, first 2 shown]
	v_pk_fma_f32 v[222:223], v[224:225], v[214:215], v[222:223] op_sel_hi:[1,0,1]
	v_accvgpr_read_b32 v31, a7
	v_pk_add_f32 v[218:219], v[218:219], v[222:223]
	v_and_b32_e32 v225, 0xffff0000, v226
	v_pk_add_f32 v[158:159], v[218:219], v[158:159]
	v_and_b32_e32 v219, 0xffff0000, v31
	v_lshlrev_b32_e32 v218, 16, v31
	v_accvgpr_read_b32 v31, a8
	v_pk_mul_f32 v[218:219], v[152:153], v[218:219] op_sel_hi:[0,1]
	v_and_b32_e32 v223, 0xffff0000, v31
	v_lshlrev_b32_e32 v222, 16, v31
	v_lshlrev_b32_e32 v224, 16, v226
	v_pk_mul_f32 v[222:223], v[164:165], v[222:223] op_sel_hi:[0,1]
	v_pk_fma_f32 v[218:219], v[224:225], v[166:167], v[218:219] op_sel_hi:[1,0,1]
	v_and_b32_e32 v225, 0xffff0000, v227
	v_lshlrev_b32_e32 v224, 16, v227
	v_pk_fma_f32 v[222:223], v[224:225], v[198:199], v[222:223] op_sel_hi:[1,0,1]
	v_and_b32_e32 v225, 0xffff0000, v199
	v_lshlrev_b32_e32 v224, 16, v199
	v_pk_fma_f32 v[218:219], v[224:225], v[200:201], v[218:219] op_sel_hi:[1,0,1]
	v_and_b32_e32 v225, 0xffff0000, v208
	v_lshlrev_b32_e32 v224, 16, v208
	v_pk_fma_f32 v[222:223], v[224:225], v[210:211], v[222:223] op_sel_hi:[1,0,1]
	v_and_b32_e32 v225, 0xffff0000, v145
	v_lshlrev_b32_e32 v224, 16, v145
	v_pk_fma_f32 v[218:219], v[224:225], v[212:213], v[218:219] op_sel_hi:[1,0,1]
	v_and_b32_e32 v225, 0xffff0000, v191
	v_lshlrev_b32_e32 v224, 16, v191
	v_pk_fma_f32 v[222:223], v[224:225], v[214:215], v[222:223] op_sel_hi:[1,0,1]
	v_accvgpr_read_b32 v31, a11
	v_pk_add_f32 v[218:219], v[218:219], v[222:223]
	v_and_b32_e32 v223, 0xffff0000, v217
	v_pk_add_f32 v[156:157], v[218:219], v[156:157]
	v_and_b32_e32 v219, 0xffff0000, v31
	v_lshlrev_b32_e32 v218, 16, v31
	v_pk_mul_f32 v[218:219], v[152:153], v[218:219] op_sel_hi:[0,1]
	v_lshlrev_b32_e32 v222, 16, v217
	v_and_b32_e32 v225, 0xffff0000, v228
	v_lshlrev_b32_e32 v224, 16, v228
	v_pk_mul_f32 v[222:223], v[164:165], v[222:223] op_sel_hi:[0,1]
	v_pk_fma_f32 v[218:219], v[224:225], v[166:167], v[218:219] op_sel_hi:[1,0,1]
	v_and_b32_e32 v225, 0xffff0000, v229
	v_lshlrev_b32_e32 v224, 16, v229
	v_pk_fma_f32 v[222:223], v[224:225], v[198:199], v[222:223] op_sel_hi:[1,0,1]
	v_and_b32_e32 v225, 0xffff0000, v202
	v_lshlrev_b32_e32 v224, 16, v202
	;; [unrolled: 3-line block ×5, first 2 shown]
	v_pk_fma_f32 v[210:211], v[218:219], v[214:215], v[210:211] op_sel_hi:[1,0,1]
	s_nop 0
	v_pk_add_f32 v[210:211], v[212:213], v[210:211]
	s_nop 0
	v_pk_add_f32 v[154:155], v[210:211], v[154:155]
	s_branch .LBB35_6
.LBB35_23:                              ;   in Loop: Header=BB35_4 Depth=1
	v_accvgpr_write_b32 a4, v255
	v_accvgpr_write_b32 a3, v207
	;; [unrolled: 1-line block ×5, first 2 shown]
	v_mov_b32_e32 v225, v195
	v_mov_b32_e32 v224, v193
	;; [unrolled: 1-line block ×11, first 2 shown]
	v_lshrrev_b32_e32 v31, 16, v23
	v_lshrrev_b32_e32 v141, 16, v41
	;; [unrolled: 1-line block ×20, first 2 shown]
	s_branch .LBB35_25
.LBB35_24:                              ;   in Loop: Header=BB35_4 Depth=1
	v_lshrrev_b32_e32 v207, 16, v202
	v_lshrrev_b32_e32 v205, 16, v209
	;; [unrolled: 1-line block ×20, first 2 shown]
	v_mov_b32_e32 v163, v153
	v_mov_b32_e32 v162, v153
	;; [unrolled: 1-line block ×10, first 2 shown]
.LBB35_25:                              ;   in Loop: Header=BB35_4 Depth=1
	;;#ASMSTART
	s_nop 0
	v_add_f32 v163, v163, v163 row_shr:8 bound_ctrl:0 
	;;#ASMEND
	;;#ASMSTART
	s_nop 0
	v_add_f32 v162, v162, v162 row_shr:8 bound_ctrl:0 
	;;#ASMEND
	;;#ASMSTART
	s_nop 0
	v_add_f32 v161, v161, v161 row_shr:8 bound_ctrl:0 
	;;#ASMEND
	;;#ASMSTART
	s_nop 0
	v_add_f32 v160, v160, v160 row_shr:8 bound_ctrl:0 
	;;#ASMEND
	;;#ASMSTART
	s_nop 0
	v_add_f32 v159, v159, v159 row_shr:8 bound_ctrl:0 
	;;#ASMEND
	;;#ASMSTART
	s_nop 0
	v_add_f32 v158, v158, v158 row_shr:8 bound_ctrl:0 
	;;#ASMEND
	;;#ASMSTART
	s_nop 0
	v_add_f32 v157, v157, v157 row_shr:8 bound_ctrl:0 
	;;#ASMEND
	;;#ASMSTART
	s_nop 0
	v_add_f32 v156, v156, v156 row_shr:8 bound_ctrl:0 
	;;#ASMEND
	;;#ASMSTART
	s_nop 0
	v_add_f32 v155, v155, v155 row_shr:8 bound_ctrl:0 
	;;#ASMEND
	;;#ASMSTART
	s_nop 0
	v_add_f32 v154, v154, v154 row_shr:8 bound_ctrl:0 
	;;#ASMEND
	s_nop 0
	;;#ASMSTART
	s_nop 0
	v_add_f32 v163, v163, v163 row_shr:4 bound_ctrl:0 
	;;#ASMEND
	;;#ASMSTART
	s_nop 0
	v_add_f32 v162, v162, v162 row_shr:4 bound_ctrl:0 
	;;#ASMEND
	;;#ASMSTART
	s_nop 0
	v_add_f32 v161, v161, v161 row_shr:4 bound_ctrl:0 
	;;#ASMEND
	;;#ASMSTART
	s_nop 0
	v_add_f32 v160, v160, v160 row_shr:4 bound_ctrl:0 
	;;#ASMEND
	;;#ASMSTART
	s_nop 0
	v_add_f32 v159, v159, v159 row_shr:4 bound_ctrl:0 
	;;#ASMEND
	;;#ASMSTART
	s_nop 0
	v_add_f32 v158, v158, v158 row_shr:4 bound_ctrl:0 
	;;#ASMEND
	;;#ASMSTART
	s_nop 0
	v_add_f32 v157, v157, v157 row_shr:4 bound_ctrl:0 
	;;#ASMEND
	;;#ASMSTART
	s_nop 0
	v_add_f32 v156, v156, v156 row_shr:4 bound_ctrl:0 
	;;#ASMEND
	;;#ASMSTART
	s_nop 0
	v_add_f32 v155, v155, v155 row_shr:4 bound_ctrl:0 
	;;#ASMEND
	;;#ASMSTART
	s_nop 0
	v_add_f32 v154, v154, v154 row_shr:4 bound_ctrl:0 
	;;#ASMEND
	s_nop 0
	;; [unrolled: 41-line block ×3, first 2 shown]
	;;#ASMSTART
	s_nop 0
	v_add_f32 v163, v163, v163 wave_shr:1 bound_ctrl:0
	;;#ASMEND
	;;#ASMSTART
	s_nop 0
	v_add_f32 v162, v162, v162 wave_shr:1 bound_ctrl:0
	;;#ASMEND
	;; [unrolled: 4-line block ×10, first 2 shown]
	s_nop 0
	;;#ASMSTART
	s_nop 0
	v_add_f32 v163, v163, v163 row_bcast:15 bound_ctrl:0
	;;#ASMEND
	;;#ASMSTART
	s_nop 0
	v_add_f32 v162, v162, v162 row_bcast:15 bound_ctrl:0
	;;#ASMEND
	;; [unrolled: 4-line block ×10, first 2 shown]
	s_nop 0
	;;#ASMSTART
	s_nop 0
	v_add_f32 v163, v163, v163 row_bcast:31 bound_ctrl:0
	;;#ASMEND
	;;#ASMSTART
	s_nop 0
	v_add_f32 v162, v162, v162 row_bcast:31 bound_ctrl:0
	;;#ASMEND
	;; [unrolled: 4-line block ×10, first 2 shown]
	s_and_saveexec_b64 s[4:5], s[0:1]
	s_cbranch_execz .LBB35_3
; %bb.26:                               ;   in Loop: Header=BB35_4 Depth=1
	v_and_b32_e32 v137, 0x7f800000, v163
	v_cmp_ne_u32_e32 vcc, s28, v137
                                        ; implicit-def: $vgpr152
	s_and_saveexec_b64 s[16:17], vcc
	s_xor_b64 s[16:17], exec, s[16:17]
; %bb.27:                               ;   in Loop: Header=BB35_4 Depth=1
	v_bfe_u32 v137, v163, 16, 1
	v_add3_u32 v152, v163, v137, s29
; %bb.28:                               ;   in Loop: Header=BB35_4 Depth=1
	s_andn2_saveexec_b64 s[16:17], s[16:17]
; %bb.29:                               ;   in Loop: Header=BB35_4 Depth=1
	v_or_b32_e32 v137, 0x10000, v163
	v_cmp_eq_u32_sdwa vcc, v163, v153 src0_sel:WORD_0 src1_sel:DWORD
	s_nop 1
	v_cndmask_b32_e32 v152, v137, v163, vcc
; %bb.30:                               ;   in Loop: Header=BB35_4 Depth=1
	s_or_b64 exec, exec, s[16:17]
	v_mov_b32_e32 v137, v153
	s_waitcnt lgkmcnt(0)
	v_lshl_add_u64 v[210:211], v[136:137], 1, s[12:13]
	v_and_b32_e32 v137, 0x7f800000, v162
	v_cmp_ne_u32_e32 vcc, s28, v137
	global_store_short_d16_hi v[210:211], v152, off
                                        ; implicit-def: $vgpr137
	s_and_saveexec_b64 s[16:17], vcc
	s_xor_b64 s[16:17], exec, s[16:17]
; %bb.31:                               ;   in Loop: Header=BB35_4 Depth=1
	v_bfe_u32 v137, v162, 16, 1
	v_add3_u32 v137, v162, v137, s29
                                        ; implicit-def: $vgpr162
; %bb.32:                               ;   in Loop: Header=BB35_4 Depth=1
	s_andn2_saveexec_b64 s[16:17], s[16:17]
; %bb.33:                               ;   in Loop: Header=BB35_4 Depth=1
	v_or_b32_e32 v137, 0x10000, v162
	v_cmp_eq_u32_sdwa vcc, v162, v153 src0_sel:WORD_0 src1_sel:DWORD
	s_nop 1
	v_cndmask_b32_e32 v137, v137, v162, vcc
; %bb.34:                               ;   in Loop: Header=BB35_4 Depth=1
	s_or_b64 exec, exec, s[16:17]
	v_add_u32_e32 v152, s7, v136
	v_lshl_add_u64 v[162:163], v[152:153], 1, s[12:13]
	global_store_short_d16_hi v[162:163], v137, off
	v_and_b32_e32 v137, 0x7f800000, v161
	v_cmp_ne_u32_e32 vcc, s28, v137
                                        ; implicit-def: $vgpr137
	s_and_saveexec_b64 s[16:17], vcc
	s_xor_b64 s[16:17], exec, s[16:17]
; %bb.35:                               ;   in Loop: Header=BB35_4 Depth=1
	v_bfe_u32 v137, v161, 16, 1
	v_add3_u32 v137, v161, v137, s29
; %bb.36:                               ;   in Loop: Header=BB35_4 Depth=1
	s_andn2_saveexec_b64 s[16:17], s[16:17]
; %bb.37:                               ;   in Loop: Header=BB35_4 Depth=1
	v_or_b32_e32 v137, 0x10000, v161
	v_cmp_eq_u32_sdwa vcc, v161, v153 src0_sel:WORD_0 src1_sel:DWORD
	s_nop 1
	v_cndmask_b32_e32 v137, v137, v161, vcc
; %bb.38:                               ;   in Loop: Header=BB35_4 Depth=1
	s_or_b64 exec, exec, s[16:17]
	v_add_u32_e32 v152, s7, v152
	v_lshl_add_u64 v[162:163], v[152:153], 1, s[12:13]
	global_store_short_d16_hi v[162:163], v137, off
	v_and_b32_e32 v137, 0x7f800000, v160
	v_cmp_ne_u32_e32 vcc, s28, v137
                                        ; implicit-def: $vgpr137
	s_and_saveexec_b64 s[16:17], vcc
	s_xor_b64 s[16:17], exec, s[16:17]
; %bb.39:                               ;   in Loop: Header=BB35_4 Depth=1
	v_bfe_u32 v137, v160, 16, 1
	v_add3_u32 v137, v160, v137, s29
                                        ; implicit-def: $vgpr160
; %bb.40:                               ;   in Loop: Header=BB35_4 Depth=1
	s_andn2_saveexec_b64 s[16:17], s[16:17]
; %bb.41:                               ;   in Loop: Header=BB35_4 Depth=1
	v_or_b32_e32 v137, 0x10000, v160
	v_cmp_eq_u32_sdwa vcc, v160, v153 src0_sel:WORD_0 src1_sel:DWORD
	s_nop 1
	v_cndmask_b32_e32 v137, v137, v160, vcc
; %bb.42:                               ;   in Loop: Header=BB35_4 Depth=1
	s_or_b64 exec, exec, s[16:17]
	v_add_u32_e32 v152, s7, v152
	v_lshl_add_u64 v[160:161], v[152:153], 1, s[12:13]
	global_store_short_d16_hi v[160:161], v137, off
	v_and_b32_e32 v137, 0x7f800000, v159
	v_cmp_ne_u32_e32 vcc, s28, v137
                                        ; implicit-def: $vgpr137
	s_and_saveexec_b64 s[16:17], vcc
	s_xor_b64 s[16:17], exec, s[16:17]
; %bb.43:                               ;   in Loop: Header=BB35_4 Depth=1
	v_bfe_u32 v137, v159, 16, 1
	v_add3_u32 v137, v159, v137, s29
; %bb.44:                               ;   in Loop: Header=BB35_4 Depth=1
	s_andn2_saveexec_b64 s[16:17], s[16:17]
; %bb.45:                               ;   in Loop: Header=BB35_4 Depth=1
	v_or_b32_e32 v137, 0x10000, v159
	v_cmp_eq_u32_sdwa vcc, v159, v153 src0_sel:WORD_0 src1_sel:DWORD
	s_nop 1
	v_cndmask_b32_e32 v137, v137, v159, vcc
; %bb.46:                               ;   in Loop: Header=BB35_4 Depth=1
	s_or_b64 exec, exec, s[16:17]
	v_add_u32_e32 v152, s7, v152
	v_lshl_add_u64 v[160:161], v[152:153], 1, s[12:13]
	global_store_short_d16_hi v[160:161], v137, off
	v_and_b32_e32 v137, 0x7f800000, v158
	v_cmp_ne_u32_e32 vcc, s28, v137
                                        ; implicit-def: $vgpr137
	s_and_saveexec_b64 s[16:17], vcc
	s_xor_b64 s[16:17], exec, s[16:17]
; %bb.47:                               ;   in Loop: Header=BB35_4 Depth=1
	v_bfe_u32 v137, v158, 16, 1
	v_add3_u32 v137, v158, v137, s29
                                        ; implicit-def: $vgpr158
; %bb.48:                               ;   in Loop: Header=BB35_4 Depth=1
	s_andn2_saveexec_b64 s[16:17], s[16:17]
; %bb.49:                               ;   in Loop: Header=BB35_4 Depth=1
	v_or_b32_e32 v137, 0x10000, v158
	v_cmp_eq_u32_sdwa vcc, v158, v153 src0_sel:WORD_0 src1_sel:DWORD
	s_nop 1
	v_cndmask_b32_e32 v137, v137, v158, vcc
; %bb.50:                               ;   in Loop: Header=BB35_4 Depth=1
	s_or_b64 exec, exec, s[16:17]
	v_add_u32_e32 v152, s7, v152
	v_lshl_add_u64 v[158:159], v[152:153], 1, s[12:13]
	global_store_short_d16_hi v[158:159], v137, off
	v_and_b32_e32 v137, 0x7f800000, v157
	v_cmp_ne_u32_e32 vcc, s28, v137
                                        ; implicit-def: $vgpr137
	s_and_saveexec_b64 s[16:17], vcc
	s_xor_b64 s[16:17], exec, s[16:17]
; %bb.51:                               ;   in Loop: Header=BB35_4 Depth=1
	v_bfe_u32 v137, v157, 16, 1
	v_add3_u32 v137, v157, v137, s29
; %bb.52:                               ;   in Loop: Header=BB35_4 Depth=1
	s_andn2_saveexec_b64 s[16:17], s[16:17]
; %bb.53:                               ;   in Loop: Header=BB35_4 Depth=1
	v_or_b32_e32 v137, 0x10000, v157
	v_cmp_eq_u32_sdwa vcc, v157, v153 src0_sel:WORD_0 src1_sel:DWORD
	s_nop 1
	v_cndmask_b32_e32 v137, v137, v157, vcc
; %bb.54:                               ;   in Loop: Header=BB35_4 Depth=1
	s_or_b64 exec, exec, s[16:17]
	v_add_u32_e32 v152, s7, v152
	v_lshl_add_u64 v[158:159], v[152:153], 1, s[12:13]
	global_store_short_d16_hi v[158:159], v137, off
	v_and_b32_e32 v137, 0x7f800000, v156
	v_cmp_ne_u32_e32 vcc, s28, v137
                                        ; implicit-def: $vgpr137
	s_and_saveexec_b64 s[16:17], vcc
	s_xor_b64 s[16:17], exec, s[16:17]
; %bb.55:                               ;   in Loop: Header=BB35_4 Depth=1
	v_bfe_u32 v137, v156, 16, 1
	v_add3_u32 v137, v156, v137, s29
                                        ; implicit-def: $vgpr156
; %bb.56:                               ;   in Loop: Header=BB35_4 Depth=1
	s_andn2_saveexec_b64 s[16:17], s[16:17]
; %bb.57:                               ;   in Loop: Header=BB35_4 Depth=1
	v_or_b32_e32 v137, 0x10000, v156
	v_cmp_eq_u32_sdwa vcc, v156, v153 src0_sel:WORD_0 src1_sel:DWORD
	s_nop 1
	v_cndmask_b32_e32 v137, v137, v156, vcc
; %bb.58:                               ;   in Loop: Header=BB35_4 Depth=1
	s_or_b64 exec, exec, s[16:17]
	v_add_u32_e32 v152, s7, v152
	v_lshl_add_u64 v[156:157], v[152:153], 1, s[12:13]
	global_store_short_d16_hi v[156:157], v137, off
	v_and_b32_e32 v137, 0x7f800000, v155
	v_cmp_ne_u32_e32 vcc, s28, v137
                                        ; implicit-def: $vgpr137
	s_and_saveexec_b64 s[16:17], vcc
	s_xor_b64 s[16:17], exec, s[16:17]
; %bb.59:                               ;   in Loop: Header=BB35_4 Depth=1
	v_bfe_u32 v137, v155, 16, 1
	v_add3_u32 v137, v155, v137, s29
; %bb.60:                               ;   in Loop: Header=BB35_4 Depth=1
	s_andn2_saveexec_b64 s[16:17], s[16:17]
; %bb.61:                               ;   in Loop: Header=BB35_4 Depth=1
	v_or_b32_e32 v137, 0x10000, v155
	v_cmp_eq_u32_sdwa vcc, v155, v153 src0_sel:WORD_0 src1_sel:DWORD
	s_nop 1
	v_cndmask_b32_e32 v137, v137, v155, vcc
; %bb.62:                               ;   in Loop: Header=BB35_4 Depth=1
	s_or_b64 exec, exec, s[16:17]
	v_add_u32_e32 v152, s7, v152
	v_lshl_add_u64 v[156:157], v[152:153], 1, s[12:13]
	global_store_short_d16_hi v[156:157], v137, off
	v_and_b32_e32 v137, 0x7f800000, v154
	v_cmp_ne_u32_e32 vcc, s28, v137
                                        ; implicit-def: $vgpr137
	s_and_saveexec_b64 s[16:17], vcc
	s_xor_b64 s[16:17], exec, s[16:17]
; %bb.63:                               ;   in Loop: Header=BB35_4 Depth=1
	v_bfe_u32 v137, v154, 16, 1
	v_add3_u32 v137, v154, v137, s29
                                        ; implicit-def: $vgpr154
; %bb.64:                               ;   in Loop: Header=BB35_4 Depth=1
	s_andn2_saveexec_b64 s[16:17], s[16:17]
	s_cbranch_execz .LBB35_2
; %bb.65:                               ;   in Loop: Header=BB35_4 Depth=1
	v_or_b32_e32 v137, 0x10000, v154
	v_cmp_eq_u32_sdwa vcc, v154, v153 src0_sel:WORD_0 src1_sel:DWORD
	s_nop 1
	v_cndmask_b32_e32 v137, v137, v154, vcc
	s_branch .LBB35_2
.LBB35_66:
	s_endpgm
	.section	.rodata,"a",@progbits
	.p2align	6, 0x0
	.amdhsa_kernel _ZN5aiter32wv_splitk_small_fp16_bf16_kernelI14__hip_bfloat16Li64ELi1ELi1ELi8ELi4ELi10EEEviiPKT_S4_PS2_ii
		.amdhsa_group_segment_fixed_size 0
		.amdhsa_private_segment_fixed_size 0
		.amdhsa_kernarg_size 40
		.amdhsa_user_sgpr_count 2
		.amdhsa_user_sgpr_dispatch_ptr 0
		.amdhsa_user_sgpr_queue_ptr 0
		.amdhsa_user_sgpr_kernarg_segment_ptr 1
		.amdhsa_user_sgpr_dispatch_id 0
		.amdhsa_user_sgpr_kernarg_preload_length 0
		.amdhsa_user_sgpr_kernarg_preload_offset 0
		.amdhsa_user_sgpr_private_segment_size 0
		.amdhsa_uses_dynamic_stack 0
		.amdhsa_enable_private_segment 0
		.amdhsa_system_sgpr_workgroup_id_x 1
		.amdhsa_system_sgpr_workgroup_id_y 0
		.amdhsa_system_sgpr_workgroup_id_z 0
		.amdhsa_system_sgpr_workgroup_info 0
		.amdhsa_system_vgpr_workitem_id 1
		.amdhsa_next_free_vgpr 268
		.amdhsa_next_free_sgpr 31
		.amdhsa_accum_offset 256
		.amdhsa_reserve_vcc 1
		.amdhsa_float_round_mode_32 0
		.amdhsa_float_round_mode_16_64 0
		.amdhsa_float_denorm_mode_32 3
		.amdhsa_float_denorm_mode_16_64 3
		.amdhsa_dx10_clamp 1
		.amdhsa_ieee_mode 1
		.amdhsa_fp16_overflow 0
		.amdhsa_tg_split 0
		.amdhsa_exception_fp_ieee_invalid_op 0
		.amdhsa_exception_fp_denorm_src 0
		.amdhsa_exception_fp_ieee_div_zero 0
		.amdhsa_exception_fp_ieee_overflow 0
		.amdhsa_exception_fp_ieee_underflow 0
		.amdhsa_exception_fp_ieee_inexact 0
		.amdhsa_exception_int_div_zero 0
	.end_amdhsa_kernel
	.section	.text._ZN5aiter32wv_splitk_small_fp16_bf16_kernelI14__hip_bfloat16Li64ELi1ELi1ELi8ELi4ELi10EEEviiPKT_S4_PS2_ii,"axG",@progbits,_ZN5aiter32wv_splitk_small_fp16_bf16_kernelI14__hip_bfloat16Li64ELi1ELi1ELi8ELi4ELi10EEEviiPKT_S4_PS2_ii,comdat
.Lfunc_end35:
	.size	_ZN5aiter32wv_splitk_small_fp16_bf16_kernelI14__hip_bfloat16Li64ELi1ELi1ELi8ELi4ELi10EEEviiPKT_S4_PS2_ii, .Lfunc_end35-_ZN5aiter32wv_splitk_small_fp16_bf16_kernelI14__hip_bfloat16Li64ELi1ELi1ELi8ELi4ELi10EEEviiPKT_S4_PS2_ii
                                        ; -- End function
	.section	.AMDGPU.csdata,"",@progbits
; Kernel info:
; codeLenInByte = 8896
; NumSgprs: 37
; NumVgprs: 256
; NumAgprs: 12
; TotalNumVgprs: 268
; ScratchSize: 0
; MemoryBound: 0
; FloatMode: 240
; IeeeMode: 1
; LDSByteSize: 0 bytes/workgroup (compile time only)
; SGPRBlocks: 4
; VGPRBlocks: 33
; NumSGPRsForWavesPerEU: 37
; NumVGPRsForWavesPerEU: 268
; AccumOffset: 256
; Occupancy: 1
; WaveLimiterHint : 0
; COMPUTE_PGM_RSRC2:SCRATCH_EN: 0
; COMPUTE_PGM_RSRC2:USER_SGPR: 2
; COMPUTE_PGM_RSRC2:TRAP_HANDLER: 0
; COMPUTE_PGM_RSRC2:TGID_X_EN: 1
; COMPUTE_PGM_RSRC2:TGID_Y_EN: 0
; COMPUTE_PGM_RSRC2:TGID_Z_EN: 0
; COMPUTE_PGM_RSRC2:TIDIG_COMP_CNT: 1
; COMPUTE_PGM_RSRC3_GFX90A:ACCUM_OFFSET: 63
; COMPUTE_PGM_RSRC3_GFX90A:TG_SPLIT: 0
	.section	.text._ZN5aiter32wv_splitk_small_fp16_bf16_kernelI14__hip_bfloat16Li64ELi1ELi1ELi8ELi4ELi11EEEviiPKT_S4_PS2_ii,"axG",@progbits,_ZN5aiter32wv_splitk_small_fp16_bf16_kernelI14__hip_bfloat16Li64ELi1ELi1ELi8ELi4ELi11EEEviiPKT_S4_PS2_ii,comdat
	.protected	_ZN5aiter32wv_splitk_small_fp16_bf16_kernelI14__hip_bfloat16Li64ELi1ELi1ELi8ELi4ELi11EEEviiPKT_S4_PS2_ii ; -- Begin function _ZN5aiter32wv_splitk_small_fp16_bf16_kernelI14__hip_bfloat16Li64ELi1ELi1ELi8ELi4ELi11EEEviiPKT_S4_PS2_ii
	.globl	_ZN5aiter32wv_splitk_small_fp16_bf16_kernelI14__hip_bfloat16Li64ELi1ELi1ELi8ELi4ELi11EEEviiPKT_S4_PS2_ii
	.p2align	8
	.type	_ZN5aiter32wv_splitk_small_fp16_bf16_kernelI14__hip_bfloat16Li64ELi1ELi1ELi8ELi4ELi11EEEviiPKT_S4_PS2_ii,@function
_ZN5aiter32wv_splitk_small_fp16_bf16_kernelI14__hip_bfloat16Li64ELi1ELi1ELi8ELi4ELi11EEEviiPKT_S4_PS2_ii: ; @_ZN5aiter32wv_splitk_small_fp16_bf16_kernelI14__hip_bfloat16Li64ELi1ELi1ELi8ELi4ELi11EEEviiPKT_S4_PS2_ii
; %bb.0:
	s_load_dwordx2 s[4:5], s[0:1], 0x20
	s_load_dwordx2 s[6:7], s[0:1], 0x0
	v_bfe_u32 v1, v0, 10, 10
	s_waitcnt lgkmcnt(0)
	s_mul_i32 s2, s2, s4
	v_add_u32_e32 v152, s2, v1
	v_cmp_gt_u32_e32 vcc, s7, v152
	s_and_saveexec_b64 s[2:3], vcc
	s_cbranch_execz .LBB36_70
; %bb.1:
	v_and_b32_e32 v0, 0x3ff, v0
	v_lshlrev_b32_e32 v154, 3, v0
	s_load_dwordx4 s[8:11], s[0:1], 0x8
	s_load_dwordx2 s[12:13], s[0:1], 0x18
	v_cmp_eq_u32_e64 s[0:1], 63, v0
	v_lshl_add_u32 v0, s6, 1, v154
	v_accvgpr_write_b32 a0, v0
	v_lshl_add_u32 v0, s6, 2, v154
	s_cmp_lg_u32 s6, 0
	v_accvgpr_write_b32 a1, v0
	v_lshl_add_u32 v0, s6, 3, v154
	v_accvgpr_write_b32 a2, v0
	v_add_u32_e32 v0, s6, v154
	s_cselect_b64 s[2:3], -1, 0
	s_mul_i32 s24, s5, s4
	v_accvgpr_write_b32 a3, v0
	v_cndmask_b32_e64 v0, 0, 1, s[2:3]
	s_mul_i32 s25, s24, s6
	s_mov_b64 s[14:15], 0
	s_mov_b32 s26, 0x5040100
	s_mov_b32 s27, 0x7060302
	;; [unrolled: 1-line block ×3, first 2 shown]
	s_movk_i32 s29, 0x7fff
	v_cmp_ne_u32_e64 s[2:3], 1, v0
                                        ; implicit-def: $vgpr155
	v_mad_u64_u32 v[156:157], s[4:5], s6, v152, v[154:155]
	v_mad_u64_u32 v[158:159], s[4:5], s6, 3, v[154:155]
	;; [unrolled: 1-line block ×7, first 2 shown]
	v_mov_b32_e32 v171, 0
                                        ; implicit-def: $vgpr14
                                        ; implicit-def: $vgpr38
                                        ; implicit-def: $vgpr39
                                        ; implicit-def: $agpr30
                                        ; implicit-def: $vgpr97
                                        ; implicit-def: $vgpr99
                                        ; implicit-def: $vgpr183
                                        ; implicit-def: $vgpr186
                                        ; implicit-def: $vgpr187
                                        ; implicit-def: $vgpr131
                                        ; implicit-def: $vgpr188
                                        ; implicit-def: $vgpr189
                                        ; implicit-def: $vgpr251
                                        ; implicit-def: $vgpr185
                                        ; implicit-def: $vgpr213
                                        ; implicit-def: $vgpr190
                                        ; implicit-def: $vgpr191
                                        ; implicit-def: $vgpr192
                                        ; implicit-def: $vgpr215
                                        ; implicit-def: $vgpr193
                                        ; implicit-def: $vgpr194
                                        ; implicit-def: $vgpr217
                                        ; implicit-def: $vgpr218
                                        ; implicit-def: $vgpr195
                                        ; implicit-def: $vgpr196
                                        ; implicit-def: $vgpr197
                                        ; implicit-def: $vgpr220
                                        ; implicit-def: $vgpr198
                                        ; implicit-def: $vgpr199
                                        ; implicit-def: $vgpr253
                                        ; implicit-def: $vgpr223
                                        ; implicit-def: $vgpr225
                                        ; implicit-def: $vgpr200
                                        ; implicit-def: $vgpr201
                                        ; implicit-def: $vgpr202
                                        ; implicit-def: $vgpr227
                                        ; implicit-def: $vgpr203
                                        ; implicit-def: $vgpr204
                                        ; implicit-def: $vgpr210
                                        ; implicit-def: $vgpr230
                                        ; implicit-def: $vgpr231
                                        ; implicit-def: $vgpr205
                                        ; implicit-def: $vgpr234
                                        ; implicit-def: $vgpr235
                                        ; implicit-def: $agpr5
                                        ; implicit-def: $vgpr222
                                        ; implicit-def: $agpr9
                                        ; implicit-def: $vgpr229
                                        ; implicit-def: $vgpr254
                                        ; implicit-def: $vgpr103
                                        ; implicit-def: $vgpr250
                                        ; implicit-def: $vgpr219
                                        ; implicit-def: $agpr8
                                        ; implicit-def: $vgpr228
                                        ; implicit-def: $vgpr101
                                        ; implicit-def: $vgpr79
                                        ; implicit-def: $vgpr249
                                        ; implicit-def: $vgpr216
                                        ; implicit-def: $agpr7
                                        ; implicit-def: $vgpr226
                                        ; implicit-def: $vgpr77
                                        ; implicit-def: $vgpr51
                                        ; implicit-def: $vgpr248
                                        ; implicit-def: $vgpr214
                                        ; implicit-def: $agpr6
                                        ; implicit-def: $vgpr224
                                        ; implicit-def: $vgpr49
                                        ; implicit-def: $vgpr27
                                        ; implicit-def: $vgpr247
                                        ; implicit-def: $vgpr212
                                        ; implicit-def: $agpr4
                                        ; implicit-def: $vgpr221
                                        ; implicit-def: $vgpr25
                                        ; implicit-def: $vgpr15
                                        ; implicit-def: $vgpr23
                                        ; implicit-def: $vgpr35
                                        ; implicit-def: $vgpr18
                                        ; implicit-def: $vgpr30
                                        ; implicit-def: $vgpr13
                                        ; implicit-def: $vgpr26
                                        ; implicit-def: $agpr15
                                        ; implicit-def: $agpr10
                                        ; implicit-def: $vgpr75
                                        ; implicit-def: $vgpr67
                                        ; implicit-def: $vgpr31
                                        ; implicit-def: $vgpr58
                                        ; implicit-def: $vgpr102
                                        ; implicit-def: $vgpr50
                                        ; implicit-def: $agpr12
                                        ; implicit-def: $agpr11
                                        ; implicit-def: $vgpr95
                                        ; implicit-def: $vgpr87
                                        ; implicit-def: $vgpr59
                                        ; implicit-def: $vgpr82
                                        ; implicit-def: $vgpr133
                                        ; implicit-def: $vgpr78
                                        ; implicit-def: $agpr14
                                        ; implicit-def: $agpr13
                                        ; implicit-def: $vgpr119
                                        ; implicit-def: $vgpr111
                                        ; implicit-def: $vgpr83
                                        ; implicit-def: $vgpr106
                                        ; implicit-def: $vgpr137
                                        ; implicit-def: $vgpr141
                                        ; implicit-def: $agpr19
                                        ; implicit-def: $agpr18
                                        ; implicit-def: $vgpr127
                                        ; implicit-def: $vgpr236
                                        ; implicit-def: $vgpr107
                                        ; implicit-def: $vgpr232
                                        ; implicit-def: $vgpr143
                                        ; implicit-def: $vgpr255
                                        ; implicit-def: $agpr24
                                        ; implicit-def: $agpr22
                                        ; implicit-def: $vgpr19
                                        ; implicit-def: $vgpr70
                                        ; implicit-def: $vgpr98
                                        ; implicit-def: $vgpr129
                                        ; implicit-def: $agpr17
                                        ; implicit-def: $agpr16
                                        ; implicit-def: $vgpr71
                                        ; implicit-def: $vgpr90
                                        ; implicit-def: $vgpr130
                                        ; implicit-def: $vgpr134
                                        ; implicit-def: $agpr21
                                        ; implicit-def: $agpr20
                                        ; implicit-def: $vgpr91
                                        ; implicit-def: $vgpr114
                                        ; implicit-def: $vgpr135
                                        ; implicit-def: $vgpr138
                                        ; implicit-def: $agpr25
                                        ; implicit-def: $agpr23
                                        ; implicit-def: $vgpr115
                                        ; implicit-def: $vgpr122
                                        ; implicit-def: $vgpr139
                                        ; implicit-def: $vgpr206
                                        ; implicit-def: $agpr27
                                        ; implicit-def: $agpr26
                                        ; implicit-def: $vgpr123
                                        ; implicit-def: $vgpr233
                                        ; implicit-def: $vgpr211
                                        ; implicit-def: $vgpr207
                                        ; implicit-def: $agpr29
                                        ; implicit-def: $agpr28
                                        ; implicit-def: $vgpr120
                                        ; implicit-def: $vgpr125
                                        ; implicit-def: $vgpr100
                                        ; implicit-def: $vgpr105
                                        ; implicit-def: $vgpr110
                                        ; implicit-def: $vgpr112
                                        ; implicit-def: $vgpr117
                                        ; implicit-def: $vgpr76
                                        ; implicit-def: $vgpr81
                                        ; implicit-def: $vgpr86
                                        ; implicit-def: $vgpr88
                                        ; implicit-def: $vgpr93
                                        ; implicit-def: $vgpr48
                                        ; implicit-def: $vgpr57
                                        ; implicit-def: $vgpr66
                                        ; implicit-def: $vgpr68
                                        ; implicit-def: $vgpr73
                                        ; implicit-def: $vgpr24
                                        ; implicit-def: $vgpr29
                                        ; implicit-def: $vgpr34
                                        ; implicit-def: $vgpr36
                                        ; implicit-def: $vgpr41
                                        ; implicit-def: $vgpr12
                                        ; implicit-def: $vgpr17
                                        ; implicit-def: $vgpr22
                                        ; implicit-def: $vgpr144_vgpr145_vgpr146_vgpr147
                                        ; implicit-def: $vgpr0_vgpr1_vgpr2_vgpr3
                                        ; implicit-def: $vgpr4_vgpr5_vgpr6_vgpr7
                                        ; implicit-def: $vgpr8_vgpr9_vgpr10_vgpr11
                                        ; implicit-def: $vgpr140
                                        ; implicit-def: $vgpr136
                                        ; implicit-def: $vgpr132
                                        ; implicit-def: $vgpr128
                                        ; implicit-def: $vgpr96
                                        ; implicit-def: $vgpr151
                                        ; implicit-def: $vgpr47
                                        ; implicit-def: $vgpr55
                                        ; implicit-def: $vgpr63
	s_branch .LBB36_4
.LBB36_2:                               ;   in Loop: Header=BB36_4 Depth=1
	s_or_b64 exec, exec, s[16:17]
	v_add_u32_e32 v170, s7, v170
	v_lshl_add_u64 v[172:173], v[170:171], 1, s[12:13]
	global_store_short_d16_hi v[172:173], v153, off
.LBB36_3:                               ;   in Loop: Header=BB36_4 Depth=1
	s_or_b64 exec, exec, s[4:5]
	v_add_u32_e32 v152, s24, v152
	v_cmp_le_u32_e32 vcc, s7, v152
	v_perm_b32 v222, v246, v222, s26
	v_perm_b32 v229, v245, v229, s26
	;; [unrolled: 1-line block ×20, first 2 shown]
	s_or_b64 s[14:15], vcc, s[14:15]
	v_add_u32_e32 v156, s25, v156
	s_andn2_b64 exec, exec, s[14:15]
	s_cbranch_execz .LBB36_70
.LBB36_4:                               ; =>This Loop Header: Depth=1
                                        ;     Child Loop BB36_10 Depth 2
	s_and_b64 vcc, exec, s[2:3]
	s_mov_b32 s30, 0
	s_cbranch_vccnz .LBB36_24
; %bb.5:                                ;   in Loop: Header=BB36_4 Depth=1
	v_mov_b32_e32 v153, 0
	v_mov_b32_e32 v237, v250
	;; [unrolled: 1-line block ×12, first 2 shown]
	v_accvgpr_read_b32 v157, a0
	v_accvgpr_read_b32 v159, a1
	;; [unrolled: 1-line block ×4, first 2 shown]
	v_mov_b32_e32 v165, v247
	v_mov_b32_e32 v167, v248
	;; [unrolled: 1-line block ×3, first 2 shown]
	s_branch .LBB36_10
.LBB36_6:                               ;   in Loop: Header=BB36_10 Depth=2
	s_or_b64 exec, exec, s[20:21]
.LBB36_7:                               ;   in Loop: Header=BB36_10 Depth=2
	s_or_b64 exec, exec, s[18:19]
.LBB36_8:                               ;   in Loop: Header=BB36_10 Depth=2
	s_or_b64 exec, exec, s[16:17]
.LBB36_9:                               ;   in Loop: Header=BB36_10 Depth=2
	s_or_b64 exec, exec, s[4:5]
	s_addk_i32 s30, 0x800
	s_cmp_ge_u32 s30, s6
	s_cbranch_scc1 .LBB36_23
.LBB36_10:                              ;   Parent Loop BB36_4 Depth=1
                                        ; =>  This Inner Loop Header: Depth=2
	v_add_u32_e32 v182, s30, v154
	v_cmp_gt_u32_e32 vcc, s6, v182
	v_add_u32_e32 v184, 0x200, v182
	s_and_saveexec_b64 s[16:17], vcc
	s_cbranch_execz .LBB36_18
; %bb.11:                               ;   in Loop: Header=BB36_10 Depth=2
	v_add_u32_e32 v170, s30, v156
	v_mov_b32_e32 v183, v171
	v_add_u32_e32 v186, s30, v163
	v_mov_b32_e32 v187, v171
	;; [unrolled: 2-line block ×6, first 2 shown]
	s_waitcnt lgkmcnt(0)
	v_lshl_add_u64 v[8:9], v[170:171], 1, s[8:9]
	v_lshl_add_u64 v[20:21], v[182:183], 1, s[10:11]
	;; [unrolled: 1-line block ×7, first 2 shown]
	v_add_u32_e32 v204, s30, v162
	v_mov_b32_e32 v205, v171
	v_add_u32_e32 v194, s30, v164
	v_mov_b32_e32 v195, v171
	global_load_dwordx4 v[8:11], v[8:9], off nt
	s_nop 0
	global_load_dwordx4 v[60:63], v[20:21], off
	s_nop 0
	global_load_dwordx4 v[20:23], v[22:23], off
	;; [unrolled: 2-line block ×6, first 2 shown]
	v_lshl_add_u64 v[38:39], v[204:205], 1, s[10:11]
	v_lshl_add_u64 v[84:85], v[194:195], 1, s[10:11]
	v_add_u32_e32 v202, s30, v161
	v_mov_b32_e32 v203, v171
	v_add_u32_e32 v192, s30, v166
	v_mov_b32_e32 v193, v171
	global_load_dwordx4 v[92:95], v[38:39], off
	s_nop 0
	global_load_dwordx4 v[84:87], v[84:85], off
	v_lshl_add_u64 v[38:39], v[202:203], 1, s[10:11]
	v_lshl_add_u64 v[108:109], v[192:193], 1, s[10:11]
	v_add_u32_e32 v200, s30, v168
	v_mov_b32_e32 v201, v171
	global_load_dwordx4 v[116:119], v[38:39], off
	s_nop 0
	global_load_dwordx4 v[108:111], v[108:109], off
	v_lshl_add_u64 v[38:39], v[200:201], 1, s[10:11]
	global_load_dwordx4 v[124:127], v[38:39], off
	v_cmp_gt_u32_e64 s[4:5], s6, v184
	s_and_saveexec_b64 s[18:19], s[4:5]
	s_cbranch_execz .LBB36_17
; %bb.12:                               ;   in Loop: Header=BB36_10 Depth=2
	v_add_u32_e32 v4, 0x200, v170
	v_mov_b32_e32 v5, v171
	v_mov_b32_e32 v185, v171
	v_add_u32_e32 v18, 0x200, v186
	v_mov_b32_e32 v19, v171
	v_add_u32_e32 v28, 0x200, v190
	;; [unrolled: 2-line block ×10, first 2 shown]
	v_mov_b32_e32 v121, v171
	v_lshl_add_u64 v[4:5], v[4:5], 1, s[8:9]
	v_lshl_add_u64 v[16:17], v[184:185], 1, s[10:11]
	;; [unrolled: 1-line block ×12, first 2 shown]
	global_load_dwordx4 v[4:7], v[4:5], off nt
	s_nop 0
	global_load_dwordx4 v[52:55], v[16:17], off
	s_nop 0
	global_load_dwordx4 v[16:19], v[18:19], off
	s_nop 0
	global_load_dwordx4 v[36:39], v[28:29], off
	s_nop 0
	global_load_dwordx4 v[28:31], v[30:31], off
	s_nop 0
	global_load_dwordx4 v[68:71], v[56:57], off
	s_nop 0
	global_load_dwordx4 v[56:59], v[58:59], off
	s_nop 0
	global_load_dwordx4 v[88:91], v[80:81], off
	s_nop 0
	global_load_dwordx4 v[80:83], v[82:83], off
	s_nop 0
	global_load_dwordx4 v[112:115], v[104:105], off
	s_nop 0
	global_load_dwordx4 v[104:107], v[106:107], off
	v_add_u32_e32 v14, 0x400, v182
	global_load_dwordx4 v[120:123], v[120:121], off
	v_cmp_gt_u32_e64 s[4:5], s6, v14
	s_and_saveexec_b64 s[20:21], s[4:5]
	s_cbranch_execz .LBB36_16
; %bb.13:                               ;   in Loop: Header=BB36_10 Depth=2
	v_mov_b32_e32 v15, v171
	v_add_u32_e32 v0, 0x400, v170
	v_mov_b32_e32 v1, v171
	v_lshl_add_u64 v[12:13], v[14:15], 1, s[10:11]
	v_add_u32_e32 v14, 0x400, v186
	v_add_u32_e32 v24, 0x400, v190
	v_mov_b32_e32 v25, v171
	v_add_u32_e32 v26, 0x400, v188
	v_mov_b32_e32 v27, v171
	;; [unrolled: 2-line block ×9, first 2 shown]
	v_lshl_add_u64 v[0:1], v[0:1], 1, s[8:9]
	v_lshl_add_u64 v[14:15], v[14:15], 1, s[10:11]
	;; [unrolled: 1-line block ×11, first 2 shown]
	global_load_dwordx4 v[0:3], v[0:1], off nt
	s_nop 0
	global_load_dwordx4 v[44:47], v[12:13], off
	s_nop 0
	global_load_dwordx4 v[12:15], v[14:15], off
	;; [unrolled: 2-line block ×10, first 2 shown]
	v_add_u32_e32 v206, 0x600, v182
	global_load_dwordx4 v[140:143], v[140:141], off
	v_cmp_gt_u32_e64 s[4:5], s6, v206
	s_and_saveexec_b64 s[22:23], s[4:5]
	s_cbranch_execz .LBB36_15
; %bb.14:                               ;   in Loop: Header=BB36_10 Depth=2
	v_add_u32_e32 v170, 0x600, v170
	v_lshl_add_u64 v[144:145], v[170:171], 1, s[8:9]
	v_add_u32_e32 v170, 0x600, v186
	v_lshl_add_u64 v[146:147], v[170:171], 1, s[10:11]
	v_add_u32_e32 v170, 0x600, v190
	global_load_dwordx4 v[218:221], v[146:147], off
	v_lshl_add_u64 v[146:147], v[170:171], 1, s[10:11]
	global_load_dwordx4 v[230:233], v[146:147], off
	v_add_u32_e32 v170, 0x600, v188
	v_lshl_add_u64 v[146:147], v[170:171], 1, s[10:11]
	v_add_u32_e32 v170, 0x600, v198
	global_load_dwordx4 v[186:189], v[146:147], off
	v_lshl_add_u64 v[146:147], v[170:171], 1, s[10:11]
	global_load_dwordx4 v[222:225], v[146:147], off
	v_add_u32_e32 v170, 0x600, v196
	v_lshl_add_u64 v[146:147], v[170:171], 1, s[10:11]
	v_add_u32_e32 v170, 0x600, v204
	global_load_dwordx4 v[196:199], v[146:147], off
	v_lshl_add_u64 v[146:147], v[170:171], 1, s[10:11]
	global_load_dwordx4 v[234:237], v[146:147], off
	v_add_u32_e32 v170, 0x600, v194
	v_lshl_add_u64 v[146:147], v[170:171], 1, s[10:11]
	v_add_u32_e32 v170, 0x600, v202
	global_load_dwordx4 v[202:205], v[146:147], off
	v_lshl_add_u64 v[146:147], v[170:171], 1, s[10:11]
	global_load_dwordx4 v[238:241], v[146:147], off
	v_add_u32_e32 v170, 0x600, v192
	v_lshl_add_u64 v[146:147], v[170:171], 1, s[10:11]
	v_add_u32_e32 v170, 0x600, v200
	global_load_dwordx4 v[190:193], v[146:147], off
	v_lshl_add_u64 v[146:147], v[170:171], 1, s[10:11]
	global_load_dwordx4 v[242:245], v[146:147], off
	v_mov_b32_e32 v207, v171
	v_lshl_add_u64 v[146:147], v[206:207], 1, s[10:11]
	global_load_dwordx4 v[148:151], v[146:147], off
	s_nop 0
	global_load_dwordx4 v[144:147], v[144:145], off nt
	s_waitcnt vmcnt(10)
	v_perm_b32 v155, v219, v231, s26
	v_accvgpr_write_b32 a16, v155
	v_perm_b32 v155, v218, v230, s26
	v_accvgpr_write_b32 a10, v155
	v_perm_b32 v155, v221, v233, s27
	v_accvgpr_write_b32 a4, v155
	v_perm_b32 v155, v219, v231, s27
	v_accvgpr_write_b32 a17, v155
	s_waitcnt vmcnt(8)
	v_perm_b32 v155, v187, v223, s26
	v_accvgpr_write_b32 a20, v155
	v_perm_b32 v155, v186, v222, s26
	v_accvgpr_write_b32 a11, v155
	v_perm_b32 v155, v189, v225, s27
	v_accvgpr_write_b32 a6, v155
	v_perm_b32 v155, v187, v223, s27
	v_accvgpr_write_b32 a21, v155
	v_perm_b32 v155, v186, v222, s27
	v_accvgpr_write_b32 a12, v155
	s_waitcnt vmcnt(6)
	v_perm_b32 v155, v197, v235, s26
	v_accvgpr_write_b32 a23, v155
	;; [unrolled: 11-line block ×4, first 2 shown]
	v_perm_b32 v155, v191, v243, s26
	v_accvgpr_write_b32 a28, v155
	v_perm_b32 v155, v190, v242, s26
	v_accvgpr_write_b32 a22, v155
	;; [unrolled: 2-line block ×5, first 2 shown]
	v_perm_b32 v155, v218, v230, s27
	v_perm_b32 v165, v221, v233, s26
	;; [unrolled: 1-line block ×15, first 2 shown]
	v_accvgpr_write_b32 a15, v155
.LBB36_15:                              ;   in Loop: Header=BB36_10 Depth=2
	s_or_b64 exec, exec, s[22:23]
	s_waitcnt vmcnt(1)
	v_lshrrev_b32_e32 v170, 16, v100
	v_lshrrev_b32_e32 v210, 16, v12
	;; [unrolled: 1-line block ×5, first 2 shown]
	v_accvgpr_write_b32 a30, v170
	s_waitcnt vmcnt(0)
	v_perm_b32 v254, v103, v143, s26
	v_perm_b32 v207, v102, v142, s26
	;; [unrolled: 1-line block ×30, first 2 shown]
.LBB36_16:                              ;   in Loop: Header=BB36_10 Depth=2
	s_or_b64 exec, exec, s[20:21]
	s_waitcnt vmcnt(9)
	v_lshrrev_b32_e32 v231, 16, v16
	v_lshrrev_b32_e32 v230, 16, v17
	s_waitcnt vmcnt(8)
	v_lshrrev_b32_e32 v227, 16, v36
	s_waitcnt vmcnt(7)
	v_lshrrev_b32_e32 v225, 16, v28
	v_lshrrev_b32_e32 v223, 16, v29
	s_waitcnt vmcnt(6)
	v_lshrrev_b32_e32 v220, 16, v68
	;; [unrolled: 5-line block ×5, first 2 shown]
	v_perm_b32 v233, v107, v123, s26
	v_perm_b32 v232, v106, v122, s26
	;; [unrolled: 1-line block ×20, first 2 shown]
.LBB36_17:                              ;   in Loop: Header=BB36_10 Depth=2
	s_or_b64 exec, exec, s[18:19]
	s_waitcnt vmcnt(9)
	v_lshrrev_b32_e32 v235, 16, v20
	v_lshrrev_b32_e32 v234, 16, v21
	v_lshrrev_b32_e32 v205, 16, v22
	s_waitcnt vmcnt(8)
	v_lshrrev_b32_e32 v204, 16, v40
	v_lshrrev_b32_e32 v203, 16, v41
	s_waitcnt vmcnt(7)
	v_lshrrev_b32_e32 v202, 16, v32
	v_lshrrev_b32_e32 v201, 16, v33
	v_lshrrev_b32_e32 v200, 16, v34
	s_waitcnt vmcnt(6)
	v_lshrrev_b32_e32 v199, 16, v72
	v_lshrrev_b32_e32 v198, 16, v73
	;; [unrolled: 7-line block ×5, first 2 shown]
	v_perm_b32 v236, v111, v127, s26
	v_perm_b32 v127, v111, v127, s27
	;; [unrolled: 1-line block ×10, first 2 shown]
.LBB36_18:                              ;   in Loop: Header=BB36_10 Depth=2
	s_or_b64 exec, exec, s[16:17]
	s_and_saveexec_b64 s[4:5], vcc
	s_cbranch_execz .LBB36_9
; %bb.19:                               ;   in Loop: Header=BB36_10 Depth=2
	v_and_b32_e32 v239, 0xffff0000, v8
	v_lshlrev_b32_e32 v238, 16, v8
	v_and_b32_e32 v241, 0xffff0000, v60
	v_lshlrev_b32_e32 v240, 16, v60
	v_pk_mul_f32 v[240:241], v[240:241], v[238:239]
	v_and_b32_e32 v243, 0xffff0000, v61
	v_lshlrev_b32_e32 v242, 16, v61
	v_and_b32_e32 v245, 0xffff0000, v9
	v_lshlrev_b32_e32 v244, 16, v9
	v_pk_fma_f32 v[240:241], v[242:243], v[244:245], v[240:241]
	v_and_b32_e32 v243, 0xffff0000, v62
	v_lshlrev_b32_e32 v242, 16, v62
	v_and_b32_e32 v247, 0xffff0000, v10
	v_lshlrev_b32_e32 v246, 16, v10
	v_pk_fma_f32 v[240:241], v[242:243], v[246:247], v[240:241]
	;; [unrolled: 5-line block ×3, first 2 shown]
	v_lshlrev_b32_e32 v243, 16, v235
	v_add_f32_e32 v43, v240, v241
	v_lshlrev_b32_e32 v241, 16, v20
	v_lshlrev_b32_e32 v240, 16, v40
	;; [unrolled: 1-line block ×3, first 2 shown]
	v_pk_mul_f32 v[240:241], v[238:239], v[240:241] op_sel_hi:[0,1]
	v_mov_b32_e32 v170, v239
	v_lshlrev_b32_e32 v209, 16, v21
	v_lshlrev_b32_e32 v208, 16, v41
	v_pk_mul_f32 v[242:243], v[170:171], v[242:243] op_sel_hi:[0,1]
	v_pk_fma_f32 v[208:209], v[208:209], v[244:245], v[240:241] op_sel_hi:[1,0,1]
	v_lshlrev_b32_e32 v241, 16, v234
	v_lshlrev_b32_e32 v240, 16, v203
	v_mov_b32_e32 v250, v245
	v_pk_fma_f32 v[240:241], v[240:241], v[250:251], v[242:243] op_sel_hi:[1,0,1]
	v_lshlrev_b32_e32 v243, 16, v22
	v_lshlrev_b32_e32 v242, 16, v42
	v_pk_fma_f32 v[208:209], v[242:243], v[246:247], v[208:209] op_sel_hi:[1,0,1]
	v_and_b32_e32 v242, 0xffff0000, v42
	v_lshlrev_b32_e32 v243, 16, v205
	v_mov_b32_e32 v252, v247
	v_pk_fma_f32 v[240:241], v[242:243], v[252:253], v[240:241] op_sel_hi:[1,0,1]
	v_and_b32_e32 v243, 0xffff0000, v35
	v_lshlrev_b32_e32 v242, 16, v35
	v_pk_fma_f32 v[208:209], v[242:243], v[248:249], v[208:209] op_sel_hi:[1,0,1]
	v_and_b32_e32 v243, 0xffff0000, v23
	v_lshlrev_b32_e32 v242, 16, v23
	v_mov_b32_e32 v142, v249
	v_pk_fma_f32 v[240:241], v[242:243], v[142:143], v[240:241] op_sel_hi:[1,0,1]
	v_lshlrev_b32_e32 v243, 16, v33
	v_pk_add_f32 v[208:209], v[208:209], v[240:241]
	v_lshlrev_b32_e32 v241, 16, v202
	v_pk_add_f32 v[180:181], v[208:209], v[180:181]
	v_lshlrev_b32_e32 v209, 16, v32
	v_lshlrev_b32_e32 v208, 16, v72
	v_lshlrev_b32_e32 v240, 16, v199
	v_pk_mul_f32 v[208:209], v[238:239], v[208:209] op_sel_hi:[0,1]
	v_lshlrev_b32_e32 v242, 16, v73
	v_pk_mul_f32 v[240:241], v[170:171], v[240:241] op_sel_hi:[0,1]
	v_pk_fma_f32 v[208:209], v[242:243], v[244:245], v[208:209] op_sel_hi:[1,0,1]
	v_lshlrev_b32_e32 v243, 16, v201
	v_lshlrev_b32_e32 v242, 16, v198
	v_pk_fma_f32 v[240:241], v[242:243], v[250:251], v[240:241] op_sel_hi:[1,0,1]
	v_lshlrev_b32_e32 v243, 16, v34
	v_lshlrev_b32_e32 v242, 16, v74
	v_pk_fma_f32 v[208:209], v[242:243], v[246:247], v[208:209] op_sel_hi:[1,0,1]
	v_and_b32_e32 v242, 0xffff0000, v74
	v_lshlrev_b32_e32 v243, 16, v200
	v_pk_fma_f32 v[240:241], v[242:243], v[252:253], v[240:241] op_sel_hi:[1,0,1]
	v_and_b32_e32 v243, 0xffff0000, v67
	v_lshlrev_b32_e32 v242, 16, v67
	v_pk_fma_f32 v[208:209], v[242:243], v[248:249], v[208:209] op_sel_hi:[1,0,1]
	v_and_b32_e32 v243, 0xffff0000, v75
	v_lshlrev_b32_e32 v242, 16, v75
	v_pk_fma_f32 v[240:241], v[242:243], v[142:143], v[240:241] op_sel_hi:[1,0,1]
	v_lshlrev_b32_e32 v243, 16, v65
	v_pk_add_f32 v[208:209], v[208:209], v[240:241]
	v_lshlrev_b32_e32 v241, 16, v197
	v_pk_add_f32 v[178:179], v[208:209], v[178:179]
	v_lshlrev_b32_e32 v209, 16, v64
	v_lshlrev_b32_e32 v208, 16, v92
	v_lshlrev_b32_e32 v240, 16, v194
	v_pk_mul_f32 v[208:209], v[238:239], v[208:209] op_sel_hi:[0,1]
	v_lshlrev_b32_e32 v242, 16, v93
	v_pk_mul_f32 v[240:241], v[170:171], v[240:241] op_sel_hi:[0,1]
	v_pk_fma_f32 v[208:209], v[242:243], v[244:245], v[208:209] op_sel_hi:[1,0,1]
	v_lshlrev_b32_e32 v243, 16, v196
	v_lshlrev_b32_e32 v242, 16, v193
	v_pk_fma_f32 v[240:241], v[242:243], v[250:251], v[240:241] op_sel_hi:[1,0,1]
	v_lshlrev_b32_e32 v243, 16, v66
	v_lshlrev_b32_e32 v242, 16, v94
	v_pk_fma_f32 v[208:209], v[242:243], v[246:247], v[208:209] op_sel_hi:[1,0,1]
	v_and_b32_e32 v242, 0xffff0000, v94
	v_lshlrev_b32_e32 v243, 16, v195
	v_pk_fma_f32 v[240:241], v[242:243], v[252:253], v[240:241] op_sel_hi:[1,0,1]
	v_and_b32_e32 v243, 0xffff0000, v87
	v_lshlrev_b32_e32 v242, 16, v87
	v_pk_fma_f32 v[208:209], v[242:243], v[248:249], v[208:209] op_sel_hi:[1,0,1]
	v_and_b32_e32 v243, 0xffff0000, v95
	v_lshlrev_b32_e32 v242, 16, v95
	;; [unrolled: 26-line block ×3, first 2 shown]
	v_pk_fma_f32 v[240:241], v[242:243], v[142:143], v[240:241] op_sel_hi:[1,0,1]
	v_add_f32_e32 v153, v43, v153
	v_pk_add_f32 v[208:209], v[208:209], v[240:241]
	v_lshlrev_b32_e32 v241, 16, v187
	v_pk_add_f32 v[174:175], v[208:209], v[174:175]
	v_lshlrev_b32_e32 v209, 16, v108
	v_lshlrev_b32_e32 v208, 16, v124
	;; [unrolled: 1-line block ×3, first 2 shown]
	v_pk_mul_f32 v[208:209], v[238:239], v[208:209] op_sel_hi:[0,1]
	v_pk_mul_f32 v[238:239], v[170:171], v[240:241] op_sel_hi:[0,1]
	v_lshlrev_b32_e32 v241, 16, v109
	v_lshlrev_b32_e32 v240, 16, v125
	v_pk_fma_f32 v[208:209], v[240:241], v[244:245], v[208:209] op_sel_hi:[1,0,1]
	v_lshlrev_b32_e32 v241, 16, v186
	v_lshlrev_b32_e32 v240, 16, v38
	v_pk_fma_f32 v[238:239], v[240:241], v[250:251], v[238:239] op_sel_hi:[1,0,1]
	;; [unrolled: 3-line block ×3, first 2 shown]
	v_and_b32_e32 v240, 0xffff0000, v126
	v_lshlrev_b32_e32 v241, 16, v183
	v_pk_fma_f32 v[238:239], v[240:241], v[252:253], v[238:239] op_sel_hi:[1,0,1]
	v_and_b32_e32 v241, 0xffff0000, v236
	v_lshlrev_b32_e32 v240, 16, v236
	v_pk_fma_f32 v[208:209], v[240:241], v[248:249], v[208:209] op_sel_hi:[1,0,1]
	v_and_b32_e32 v241, 0xffff0000, v127
	v_lshlrev_b32_e32 v240, 16, v127
	v_pk_fma_f32 v[238:239], v[240:241], v[142:143], v[238:239] op_sel_hi:[1,0,1]
	v_cmp_gt_u32_e32 vcc, s6, v184
	v_pk_add_f32 v[208:209], v[208:209], v[238:239]
	s_nop 0
	v_pk_add_f32 v[172:173], v[208:209], v[172:173]
	s_and_saveexec_b64 s[16:17], vcc
	s_cbranch_execz .LBB36_8
; %bb.20:                               ;   in Loop: Header=BB36_10 Depth=2
	v_and_b32_e32 v209, 0xffff0000, v4
	v_lshlrev_b32_e32 v208, 16, v4
	v_and_b32_e32 v239, 0xffff0000, v52
	v_lshlrev_b32_e32 v238, 16, v52
	v_pk_mul_f32 v[238:239], v[238:239], v[208:209]
	v_and_b32_e32 v241, 0xffff0000, v53
	v_lshlrev_b32_e32 v240, 16, v53
	v_and_b32_e32 v243, 0xffff0000, v5
	v_lshlrev_b32_e32 v242, 16, v5
	v_pk_fma_f32 v[238:239], v[240:241], v[242:243], v[238:239]
	v_and_b32_e32 v241, 0xffff0000, v54
	v_lshlrev_b32_e32 v240, 16, v54
	v_and_b32_e32 v245, 0xffff0000, v6
	v_lshlrev_b32_e32 v244, 16, v6
	v_pk_fma_f32 v[238:239], v[240:241], v[244:245], v[238:239]
	;; [unrolled: 5-line block ×3, first 2 shown]
	v_lshlrev_b32_e32 v241, 16, v231
	v_add_f32_e32 v43, v238, v239
	v_lshlrev_b32_e32 v239, 16, v16
	v_lshlrev_b32_e32 v238, 16, v36
	v_pk_mul_f32 v[238:239], v[208:209], v[238:239] op_sel_hi:[0,1]
	v_lshlrev_b32_e32 v240, 16, v227
	v_mov_b32_e32 v142, v209
	v_lshlrev_b32_e32 v249, 16, v17
	v_lshlrev_b32_e32 v248, 16, v37
	v_pk_mul_f32 v[240:241], v[142:143], v[240:241] op_sel_hi:[0,1]
	v_pk_fma_f32 v[238:239], v[248:249], v[242:243], v[238:239] op_sel_hi:[1,0,1]
	v_and_b32_e32 v248, 0xffff0000, v37
	v_lshlrev_b32_e32 v249, 16, v230
	v_mov_b32_e32 v170, v243
	v_pk_fma_f32 v[240:241], v[248:249], v[170:171], v[240:241] op_sel_hi:[1,0,1]
	v_and_b32_e32 v249, 0xffff0000, v30
	v_lshlrev_b32_e32 v248, 16, v30
	v_pk_fma_f32 v[238:239], v[248:249], v[244:245], v[238:239] op_sel_hi:[1,0,1]
	v_and_b32_e32 v249, 0xffff0000, v18
	v_lshlrev_b32_e32 v248, 16, v18
	v_mov_b32_e32 v184, v245
	v_pk_fma_f32 v[240:241], v[248:249], v[184:185], v[240:241] op_sel_hi:[1,0,1]
	v_and_b32_e32 v249, 0xffff0000, v70
	v_lshlrev_b32_e32 v248, 16, v70
	v_pk_fma_f32 v[238:239], v[248:249], v[246:247], v[238:239] op_sel_hi:[1,0,1]
	v_and_b32_e32 v249, 0xffff0000, v19
	v_lshlrev_b32_e32 v248, 16, v19
	v_mov_b32_e32 v250, v247
	v_pk_fma_f32 v[240:241], v[248:249], v[250:251], v[240:241] op_sel_hi:[1,0,1]
	v_lshlrev_b32_e32 v249, 16, v29
	v_pk_add_f32 v[238:239], v[238:239], v[240:241]
	v_lshlrev_b32_e32 v241, 16, v225
	v_pk_add_f32 v[180:181], v[238:239], v[180:181]
	v_lshlrev_b32_e32 v239, 16, v28
	v_lshlrev_b32_e32 v238, 16, v68
	v_pk_mul_f32 v[238:239], v[208:209], v[238:239] op_sel_hi:[0,1]
	v_lshlrev_b32_e32 v240, 16, v220
	v_lshlrev_b32_e32 v248, 16, v69
	v_pk_mul_f32 v[240:241], v[142:143], v[240:241] op_sel_hi:[0,1]
	v_pk_fma_f32 v[238:239], v[248:249], v[242:243], v[238:239] op_sel_hi:[1,0,1]
	v_and_b32_e32 v248, 0xffff0000, v69
	v_lshlrev_b32_e32 v249, 16, v223
	v_pk_fma_f32 v[240:241], v[248:249], v[170:171], v[240:241] op_sel_hi:[1,0,1]
	v_and_b32_e32 v249, 0xffff0000, v58
	v_lshlrev_b32_e32 v248, 16, v58
	v_pk_fma_f32 v[238:239], v[248:249], v[244:245], v[238:239] op_sel_hi:[1,0,1]
	v_and_b32_e32 v249, 0xffff0000, v31
	v_lshlrev_b32_e32 v248, 16, v31
	v_pk_fma_f32 v[240:241], v[248:249], v[184:185], v[240:241] op_sel_hi:[1,0,1]
	v_and_b32_e32 v249, 0xffff0000, v90
	v_lshlrev_b32_e32 v248, 16, v90
	v_pk_fma_f32 v[238:239], v[248:249], v[246:247], v[238:239] op_sel_hi:[1,0,1]
	v_and_b32_e32 v249, 0xffff0000, v71
	v_lshlrev_b32_e32 v248, 16, v71
	v_pk_fma_f32 v[240:241], v[248:249], v[250:251], v[240:241] op_sel_hi:[1,0,1]
	v_lshlrev_b32_e32 v249, 16, v57
	v_pk_add_f32 v[238:239], v[238:239], v[240:241]
	v_lshlrev_b32_e32 v241, 16, v218
	v_pk_add_f32 v[178:179], v[238:239], v[178:179]
	v_lshlrev_b32_e32 v239, 16, v56
	v_lshlrev_b32_e32 v238, 16, v88
	v_pk_mul_f32 v[238:239], v[208:209], v[238:239] op_sel_hi:[0,1]
	v_lshlrev_b32_e32 v240, 16, v215
	v_lshlrev_b32_e32 v248, 16, v89
	v_pk_mul_f32 v[240:241], v[142:143], v[240:241] op_sel_hi:[0,1]
	v_pk_fma_f32 v[238:239], v[248:249], v[242:243], v[238:239] op_sel_hi:[1,0,1]
	v_and_b32_e32 v248, 0xffff0000, v89
	v_lshlrev_b32_e32 v249, 16, v217
	v_pk_fma_f32 v[240:241], v[248:249], v[170:171], v[240:241] op_sel_hi:[1,0,1]
	v_and_b32_e32 v249, 0xffff0000, v82
	v_lshlrev_b32_e32 v248, 16, v82
	v_pk_fma_f32 v[238:239], v[248:249], v[244:245], v[238:239] op_sel_hi:[1,0,1]
	v_and_b32_e32 v249, 0xffff0000, v59
	v_lshlrev_b32_e32 v248, 16, v59
	v_pk_fma_f32 v[240:241], v[248:249], v[184:185], v[240:241] op_sel_hi:[1,0,1]
	v_and_b32_e32 v249, 0xffff0000, v114
	v_lshlrev_b32_e32 v248, 16, v114
	v_pk_fma_f32 v[238:239], v[248:249], v[246:247], v[238:239] op_sel_hi:[1,0,1]
	v_and_b32_e32 v249, 0xffff0000, v91
	v_lshlrev_b32_e32 v248, 16, v91
	;; [unrolled: 26-line block ×3, first 2 shown]
	v_pk_fma_f32 v[240:241], v[248:249], v[250:251], v[240:241] op_sel_hi:[1,0,1]
	v_add_f32_e32 v153, v43, v153
	v_pk_add_f32 v[238:239], v[238:239], v[240:241]
	v_lshlrev_b32_e32 v241, 16, v105
	v_pk_add_f32 v[174:175], v[238:239], v[174:175]
	v_lshlrev_b32_e32 v239, 16, v104
	v_lshlrev_b32_e32 v238, 16, v120
	v_pk_mul_f32 v[208:209], v[208:209], v[238:239] op_sel_hi:[0,1]
	v_lshlrev_b32_e32 v239, 16, v99
	v_lshlrev_b32_e32 v238, 16, v14
	;; [unrolled: 1-line block ×3, first 2 shown]
	v_pk_mul_f32 v[238:239], v[142:143], v[238:239] op_sel_hi:[0,1]
	v_pk_fma_f32 v[208:209], v[240:241], v[242:243], v[208:209] op_sel_hi:[1,0,1]
	v_and_b32_e32 v240, 0xffff0000, v121
	v_lshlrev_b32_e32 v241, 16, v97
	v_pk_fma_f32 v[238:239], v[240:241], v[170:171], v[238:239] op_sel_hi:[1,0,1]
	v_and_b32_e32 v241, 0xffff0000, v232
	v_lshlrev_b32_e32 v240, 16, v232
	v_pk_fma_f32 v[208:209], v[240:241], v[244:245], v[208:209] op_sel_hi:[1,0,1]
	v_and_b32_e32 v241, 0xffff0000, v107
	v_lshlrev_b32_e32 v240, 16, v107
	v_pk_fma_f32 v[238:239], v[240:241], v[184:185], v[238:239] op_sel_hi:[1,0,1]
	v_and_b32_e32 v241, 0xffff0000, v233
	v_lshlrev_b32_e32 v240, 16, v233
	v_pk_fma_f32 v[208:209], v[240:241], v[246:247], v[208:209] op_sel_hi:[1,0,1]
	v_and_b32_e32 v241, 0xffff0000, v123
	v_lshlrev_b32_e32 v240, 16, v123
	v_pk_fma_f32 v[238:239], v[240:241], v[250:251], v[238:239] op_sel_hi:[1,0,1]
	v_add_u32_e32 v43, 0x400, v182
	v_pk_add_f32 v[208:209], v[208:209], v[238:239]
	v_cmp_gt_u32_e32 vcc, s6, v43
	v_pk_add_f32 v[172:173], v[208:209], v[172:173]
	s_and_saveexec_b64 s[18:19], vcc
	s_cbranch_execz .LBB36_7
; %bb.21:                               ;   in Loop: Header=BB36_10 Depth=2
	v_and_b32_e32 v209, 0xffff0000, v0
	v_lshlrev_b32_e32 v208, 16, v0
	v_and_b32_e32 v239, 0xffff0000, v44
	v_lshlrev_b32_e32 v238, 16, v44
	v_pk_mul_f32 v[238:239], v[238:239], v[208:209]
	v_and_b32_e32 v241, 0xffff0000, v45
	v_lshlrev_b32_e32 v240, 16, v45
	v_and_b32_e32 v243, 0xffff0000, v1
	v_lshlrev_b32_e32 v242, 16, v1
	v_pk_fma_f32 v[238:239], v[240:241], v[242:243], v[238:239]
	v_and_b32_e32 v241, 0xffff0000, v46
	v_lshlrev_b32_e32 v240, 16, v46
	v_and_b32_e32 v245, 0xffff0000, v2
	v_lshlrev_b32_e32 v244, 16, v2
	v_pk_fma_f32 v[238:239], v[240:241], v[244:245], v[238:239]
	;; [unrolled: 5-line block ×3, first 2 shown]
	v_and_b32_e32 v240, 0xffff0000, v96
	v_add_f32_e32 v43, v238, v239
	v_lshlrev_b32_e32 v239, 16, v12
	v_lshlrev_b32_e32 v238, 16, v96
	v_pk_mul_f32 v[238:239], v[208:209], v[238:239] op_sel_hi:[0,1]
	v_lshlrev_b32_e32 v241, 16, v210
	v_mov_b32_e32 v142, v209
	v_and_b32_e32 v249, 0xffff0000, v26
	v_lshlrev_b32_e32 v248, 16, v26
	v_pk_mul_f32 v[240:241], v[142:143], v[240:241] op_sel_hi:[0,1]
	v_pk_fma_f32 v[238:239], v[248:249], v[242:243], v[238:239] op_sel_hi:[1,0,1]
	v_and_b32_e32 v249, 0xffff0000, v13
	v_lshlrev_b32_e32 v248, 16, v13
	v_mov_b32_e32 v170, v243
	v_pk_fma_f32 v[240:241], v[248:249], v[170:171], v[240:241] op_sel_hi:[1,0,1]
	v_and_b32_e32 v249, 0xffff0000, v129
	v_lshlrev_b32_e32 v248, 16, v129
	v_pk_fma_f32 v[238:239], v[248:249], v[244:245], v[238:239] op_sel_hi:[1,0,1]
	v_and_b32_e32 v249, 0xffff0000, v98
	v_lshlrev_b32_e32 v248, 16, v98
	v_mov_b32_e32 v184, v245
	v_pk_fma_f32 v[240:241], v[248:249], v[184:185], v[240:241] op_sel_hi:[1,0,1]
	v_and_b32_e32 v249, 0xffff0000, v25
	v_lshlrev_b32_e32 v248, 16, v25
	v_pk_fma_f32 v[238:239], v[248:249], v[246:247], v[238:239] op_sel_hi:[1,0,1]
	v_and_b32_e32 v249, 0xffff0000, v15
	v_lshlrev_b32_e32 v248, 16, v15
	v_mov_b32_e32 v250, v247
	v_pk_fma_f32 v[240:241], v[248:249], v[250:251], v[240:241] op_sel_hi:[1,0,1]
	v_and_b32_e32 v249, 0xffff0000, v50
	v_pk_add_f32 v[238:239], v[238:239], v[240:241]
	v_and_b32_e32 v240, 0xffff0000, v128
	v_pk_add_f32 v[180:181], v[238:239], v[180:181]
	v_lshlrev_b32_e32 v239, 16, v24
	v_lshlrev_b32_e32 v238, 16, v128
	v_pk_mul_f32 v[238:239], v[208:209], v[238:239] op_sel_hi:[0,1]
	v_lshlrev_b32_e32 v241, 16, v253
	v_lshlrev_b32_e32 v248, 16, v50
	v_pk_mul_f32 v[240:241], v[142:143], v[240:241] op_sel_hi:[0,1]
	v_pk_fma_f32 v[238:239], v[248:249], v[242:243], v[238:239] op_sel_hi:[1,0,1]
	v_and_b32_e32 v249, 0xffff0000, v102
	v_lshlrev_b32_e32 v248, 16, v102
	v_pk_fma_f32 v[240:241], v[248:249], v[170:171], v[240:241] op_sel_hi:[1,0,1]
	v_and_b32_e32 v249, 0xffff0000, v134
	v_lshlrev_b32_e32 v248, 16, v134
	v_pk_fma_f32 v[238:239], v[248:249], v[244:245], v[238:239] op_sel_hi:[1,0,1]
	v_and_b32_e32 v249, 0xffff0000, v130
	v_lshlrev_b32_e32 v248, 16, v130
	v_pk_fma_f32 v[240:241], v[248:249], v[184:185], v[240:241] op_sel_hi:[1,0,1]
	v_and_b32_e32 v249, 0xffff0000, v49
	v_lshlrev_b32_e32 v248, 16, v49
	v_pk_fma_f32 v[238:239], v[248:249], v[246:247], v[238:239] op_sel_hi:[1,0,1]
	v_and_b32_e32 v249, 0xffff0000, v27
	v_lshlrev_b32_e32 v248, 16, v27
	v_pk_fma_f32 v[240:241], v[248:249], v[250:251], v[240:241] op_sel_hi:[1,0,1]
	v_and_b32_e32 v249, 0xffff0000, v78
	v_pk_add_f32 v[238:239], v[238:239], v[240:241]
	v_and_b32_e32 v240, 0xffff0000, v132
	v_pk_add_f32 v[178:179], v[238:239], v[178:179]
	v_lshlrev_b32_e32 v239, 16, v48
	v_lshlrev_b32_e32 v238, 16, v132
	v_pk_mul_f32 v[238:239], v[208:209], v[238:239] op_sel_hi:[0,1]
	v_lshlrev_b32_e32 v241, 16, v155
	v_lshlrev_b32_e32 v248, 16, v78
	v_pk_mul_f32 v[240:241], v[142:143], v[240:241] op_sel_hi:[0,1]
	v_pk_fma_f32 v[238:239], v[248:249], v[242:243], v[238:239] op_sel_hi:[1,0,1]
	v_and_b32_e32 v249, 0xffff0000, v133
	v_lshlrev_b32_e32 v248, 16, v133
	v_pk_fma_f32 v[240:241], v[248:249], v[170:171], v[240:241] op_sel_hi:[1,0,1]
	v_and_b32_e32 v249, 0xffff0000, v138
	v_lshlrev_b32_e32 v248, 16, v138
	v_pk_fma_f32 v[238:239], v[248:249], v[244:245], v[238:239] op_sel_hi:[1,0,1]
	v_and_b32_e32 v249, 0xffff0000, v135
	v_lshlrev_b32_e32 v248, 16, v135
	v_pk_fma_f32 v[240:241], v[248:249], v[184:185], v[240:241] op_sel_hi:[1,0,1]
	v_and_b32_e32 v249, 0xffff0000, v77
	v_lshlrev_b32_e32 v248, 16, v77
	v_pk_fma_f32 v[238:239], v[248:249], v[246:247], v[238:239] op_sel_hi:[1,0,1]
	v_and_b32_e32 v249, 0xffff0000, v51
	v_lshlrev_b32_e32 v248, 16, v51
	;; [unrolled: 26-line block ×3, first 2 shown]
	v_pk_fma_f32 v[240:241], v[248:249], v[250:251], v[240:241] op_sel_hi:[1,0,1]
	v_add_f32_e32 v153, v43, v153
	v_pk_add_f32 v[238:239], v[238:239], v[240:241]
	v_accvgpr_read_b32 v43, a30
	v_pk_add_f32 v[174:175], v[238:239], v[174:175]
	v_lshlrev_b32_e32 v239, 16, v100
	v_lshlrev_b32_e32 v238, 16, v140
	v_pk_mul_f32 v[208:209], v[208:209], v[238:239] op_sel_hi:[0,1]
	v_and_b32_e32 v238, 0xffff0000, v140
	v_lshlrev_b32_e32 v239, 16, v43
	v_and_b32_e32 v241, 0xffff0000, v255
	v_lshlrev_b32_e32 v240, 16, v255
	v_pk_mul_f32 v[238:239], v[142:143], v[238:239] op_sel_hi:[0,1]
	v_pk_fma_f32 v[208:209], v[240:241], v[242:243], v[208:209] op_sel_hi:[1,0,1]
	v_and_b32_e32 v241, 0xffff0000, v143
	v_lshlrev_b32_e32 v240, 16, v143
	v_pk_fma_f32 v[238:239], v[240:241], v[170:171], v[238:239] op_sel_hi:[1,0,1]
	v_and_b32_e32 v241, 0xffff0000, v207
	v_lshlrev_b32_e32 v240, 16, v207
	;; [unrolled: 3-line block ×5, first 2 shown]
	v_pk_fma_f32 v[238:239], v[240:241], v[250:251], v[238:239] op_sel_hi:[1,0,1]
	v_add_u32_e32 v43, 0x600, v182
	v_pk_add_f32 v[208:209], v[208:209], v[238:239]
	v_cmp_gt_u32_e32 vcc, s6, v43
	v_pk_add_f32 v[172:173], v[208:209], v[172:173]
	s_and_saveexec_b64 s[20:21], vcc
	s_cbranch_execz .LBB36_6
; %bb.22:                               ;   in Loop: Header=BB36_10 Depth=2
	v_and_b32_e32 v209, 0xffff0000, v144
	v_lshlrev_b32_e32 v208, 16, v144
	v_and_b32_e32 v239, 0xffff0000, v148
	v_lshlrev_b32_e32 v238, 16, v148
	v_pk_mul_f32 v[238:239], v[238:239], v[208:209]
	v_and_b32_e32 v241, 0xffff0000, v149
	v_lshlrev_b32_e32 v240, 16, v149
	v_and_b32_e32 v243, 0xffff0000, v145
	v_lshlrev_b32_e32 v242, 16, v145
	v_pk_fma_f32 v[238:239], v[240:241], v[242:243], v[238:239]
	v_and_b32_e32 v241, 0xffff0000, v150
	v_lshlrev_b32_e32 v240, 16, v150
	v_and_b32_e32 v245, 0xffff0000, v146
	v_lshlrev_b32_e32 v244, 16, v146
	v_pk_fma_f32 v[238:239], v[240:241], v[244:245], v[238:239]
	;; [unrolled: 5-line block ×3, first 2 shown]
	v_mov_b32_e32 v142, v209
	v_add_f32_e32 v43, v238, v239
	v_add_f32_e32 v153, v43, v153
	v_accvgpr_read_b32 v43, a10
	v_and_b32_e32 v239, 0xffff0000, v43
	v_lshlrev_b32_e32 v238, 16, v43
	v_accvgpr_read_b32 v43, a15
	v_and_b32_e32 v241, 0xffff0000, v43
	v_lshlrev_b32_e32 v240, 16, v43
	v_accvgpr_read_b32 v43, a16
	v_pk_mul_f32 v[238:239], v[208:209], v[238:239] op_sel_hi:[0,1]
	v_and_b32_e32 v249, 0xffff0000, v43
	v_lshlrev_b32_e32 v248, 16, v43
	v_accvgpr_read_b32 v43, a17
	v_pk_mul_f32 v[240:241], v[142:143], v[240:241] op_sel_hi:[0,1]
	v_pk_fma_f32 v[238:239], v[248:249], v[242:243], v[238:239] op_sel_hi:[1,0,1]
	v_and_b32_e32 v249, 0xffff0000, v43
	v_lshlrev_b32_e32 v248, 16, v43
	v_mov_b32_e32 v170, v243
	v_pk_fma_f32 v[240:241], v[248:249], v[170:171], v[240:241] op_sel_hi:[1,0,1]
	v_and_b32_e32 v249, 0xffff0000, v212
	v_lshlrev_b32_e32 v248, 16, v212
	v_pk_fma_f32 v[238:239], v[248:249], v[244:245], v[238:239] op_sel_hi:[1,0,1]
	v_and_b32_e32 v249, 0xffff0000, v221
	v_lshlrev_b32_e32 v248, 16, v221
	v_mov_b32_e32 v182, v245
	v_pk_fma_f32 v[240:241], v[248:249], v[182:183], v[240:241] op_sel_hi:[1,0,1]
	v_and_b32_e32 v249, 0xffff0000, v165
	v_lshlrev_b32_e32 v248, 16, v165
	v_accvgpr_read_b32 v43, a4
	v_pk_fma_f32 v[238:239], v[248:249], v[246:247], v[238:239] op_sel_hi:[1,0,1]
	v_and_b32_e32 v249, 0xffff0000, v43
	v_lshlrev_b32_e32 v248, 16, v43
	v_mov_b32_e32 v184, v247
	v_pk_fma_f32 v[240:241], v[248:249], v[184:185], v[240:241] op_sel_hi:[1,0,1]
	v_accvgpr_read_b32 v43, a11
	v_pk_add_f32 v[238:239], v[238:239], v[240:241]
	s_nop 0
	v_pk_add_f32 v[180:181], v[238:239], v[180:181]
	v_and_b32_e32 v239, 0xffff0000, v43
	v_lshlrev_b32_e32 v238, 16, v43
	v_accvgpr_read_b32 v43, a12
	v_and_b32_e32 v241, 0xffff0000, v43
	v_lshlrev_b32_e32 v240, 16, v43
	v_accvgpr_read_b32 v43, a20
	v_pk_mul_f32 v[238:239], v[208:209], v[238:239] op_sel_hi:[0,1]
	v_and_b32_e32 v249, 0xffff0000, v43
	v_lshlrev_b32_e32 v248, 16, v43
	v_accvgpr_read_b32 v43, a21
	v_pk_mul_f32 v[240:241], v[142:143], v[240:241] op_sel_hi:[0,1]
	v_pk_fma_f32 v[238:239], v[248:249], v[242:243], v[238:239] op_sel_hi:[1,0,1]
	v_and_b32_e32 v249, 0xffff0000, v43
	v_lshlrev_b32_e32 v248, 16, v43
	v_pk_fma_f32 v[240:241], v[248:249], v[170:171], v[240:241] op_sel_hi:[1,0,1]
	v_and_b32_e32 v249, 0xffff0000, v214
	v_lshlrev_b32_e32 v248, 16, v214
	v_pk_fma_f32 v[238:239], v[248:249], v[244:245], v[238:239] op_sel_hi:[1,0,1]
	v_and_b32_e32 v249, 0xffff0000, v224
	v_lshlrev_b32_e32 v248, 16, v224
	v_pk_fma_f32 v[240:241], v[248:249], v[182:183], v[240:241] op_sel_hi:[1,0,1]
	v_and_b32_e32 v249, 0xffff0000, v167
	v_lshlrev_b32_e32 v248, 16, v167
	v_accvgpr_read_b32 v43, a6
	v_pk_fma_f32 v[238:239], v[248:249], v[246:247], v[238:239] op_sel_hi:[1,0,1]
	v_and_b32_e32 v249, 0xffff0000, v43
	v_lshlrev_b32_e32 v248, 16, v43
	v_pk_fma_f32 v[240:241], v[248:249], v[184:185], v[240:241] op_sel_hi:[1,0,1]
	v_accvgpr_read_b32 v43, a13
	v_pk_add_f32 v[238:239], v[238:239], v[240:241]
	s_nop 0
	v_pk_add_f32 v[178:179], v[238:239], v[178:179]
	v_and_b32_e32 v239, 0xffff0000, v43
	v_lshlrev_b32_e32 v238, 16, v43
	v_accvgpr_read_b32 v43, a14
	v_and_b32_e32 v241, 0xffff0000, v43
	v_lshlrev_b32_e32 v240, 16, v43
	v_accvgpr_read_b32 v43, a23
	v_pk_mul_f32 v[238:239], v[208:209], v[238:239] op_sel_hi:[0,1]
	v_and_b32_e32 v249, 0xffff0000, v43
	v_lshlrev_b32_e32 v248, 16, v43
	v_accvgpr_read_b32 v43, a25
	v_pk_mul_f32 v[240:241], v[142:143], v[240:241] op_sel_hi:[0,1]
	v_pk_fma_f32 v[238:239], v[248:249], v[242:243], v[238:239] op_sel_hi:[1,0,1]
	v_and_b32_e32 v249, 0xffff0000, v43
	v_lshlrev_b32_e32 v248, 16, v43
	v_pk_fma_f32 v[240:241], v[248:249], v[170:171], v[240:241] op_sel_hi:[1,0,1]
	v_and_b32_e32 v249, 0xffff0000, v216
	v_lshlrev_b32_e32 v248, 16, v216
	v_pk_fma_f32 v[238:239], v[248:249], v[244:245], v[238:239] op_sel_hi:[1,0,1]
	v_and_b32_e32 v249, 0xffff0000, v226
	v_lshlrev_b32_e32 v248, 16, v226
	v_pk_fma_f32 v[240:241], v[248:249], v[182:183], v[240:241] op_sel_hi:[1,0,1]
	v_and_b32_e32 v249, 0xffff0000, v169
	v_lshlrev_b32_e32 v248, 16, v169
	v_accvgpr_read_b32 v43, a7
	v_pk_fma_f32 v[238:239], v[248:249], v[246:247], v[238:239] op_sel_hi:[1,0,1]
	v_and_b32_e32 v249, 0xffff0000, v43
	v_lshlrev_b32_e32 v248, 16, v43
	;; [unrolled: 32-line block ×3, first 2 shown]
	v_pk_fma_f32 v[240:241], v[248:249], v[184:185], v[240:241] op_sel_hi:[1,0,1]
	v_accvgpr_read_b32 v43, a22
	v_pk_add_f32 v[238:239], v[238:239], v[240:241]
	s_nop 0
	v_pk_add_f32 v[174:175], v[238:239], v[174:175]
	v_and_b32_e32 v239, 0xffff0000, v43
	v_lshlrev_b32_e32 v238, 16, v43
	v_accvgpr_read_b32 v43, a24
	v_pk_mul_f32 v[208:209], v[208:209], v[238:239] op_sel_hi:[0,1]
	v_and_b32_e32 v239, 0xffff0000, v43
	v_lshlrev_b32_e32 v238, 16, v43
	v_accvgpr_read_b32 v43, a28
	v_and_b32_e32 v241, 0xffff0000, v43
	v_lshlrev_b32_e32 v240, 16, v43
	v_accvgpr_read_b32 v43, a29
	v_pk_mul_f32 v[238:239], v[142:143], v[238:239] op_sel_hi:[0,1]
	v_pk_fma_f32 v[208:209], v[240:241], v[242:243], v[208:209] op_sel_hi:[1,0,1]
	v_and_b32_e32 v241, 0xffff0000, v43
	v_lshlrev_b32_e32 v240, 16, v43
	v_pk_fma_f32 v[238:239], v[240:241], v[170:171], v[238:239] op_sel_hi:[1,0,1]
	v_and_b32_e32 v241, 0xffff0000, v222
	v_lshlrev_b32_e32 v240, 16, v222
	;; [unrolled: 3-line block ×3, first 2 shown]
	v_accvgpr_read_b32 v43, a5
	v_pk_fma_f32 v[238:239], v[240:241], v[182:183], v[238:239] op_sel_hi:[1,0,1]
	v_and_b32_e32 v241, 0xffff0000, v43
	v_lshlrev_b32_e32 v240, 16, v43
	v_accvgpr_read_b32 v43, a9
	v_pk_fma_f32 v[208:209], v[240:241], v[246:247], v[208:209] op_sel_hi:[1,0,1]
	v_and_b32_e32 v241, 0xffff0000, v43
	v_lshlrev_b32_e32 v240, 16, v43
	v_pk_fma_f32 v[238:239], v[240:241], v[184:185], v[238:239] op_sel_hi:[1,0,1]
	s_nop 0
	v_pk_add_f32 v[208:209], v[208:209], v[238:239]
	s_nop 0
	v_pk_add_f32 v[172:173], v[208:209], v[172:173]
	s_branch .LBB36_6
.LBB36_23:                              ;   in Loop: Header=BB36_4 Depth=1
	v_mov_b32_e32 v250, v237
	v_mov_b32_e32 v249, v169
	v_mov_b32_e32 v248, v167
	v_mov_b32_e32 v247, v165
	v_lshrrev_b32_e32 v43, 16, v15
	v_lshrrev_b32_e32 v157, 16, v25
	;; [unrolled: 1-line block ×20, first 2 shown]
	s_branch .LBB36_25
.LBB36_24:                              ;   in Loop: Header=BB36_4 Depth=1
	v_lshrrev_b32_e32 v246, 16, v222
	v_lshrrev_b32_e32 v245, 16, v229
	;; [unrolled: 1-line block ×20, first 2 shown]
	v_mov_b32_e32 v181, v171
	v_mov_b32_e32 v180, v171
	v_mov_b32_e32 v179, v171
	v_mov_b32_e32 v178, v171
	v_mov_b32_e32 v177, v171
	v_mov_b32_e32 v176, v171
	v_mov_b32_e32 v175, v171
	v_mov_b32_e32 v174, v171
	v_mov_b32_e32 v173, v171
	v_mov_b32_e32 v172, v171
	v_mov_b32_e32 v153, v171
.LBB36_25:                              ;   in Loop: Header=BB36_4 Depth=1
	;;#ASMSTART
	s_nop 0
	v_add_f32 v153, v153, v153 row_shr:8 bound_ctrl:0 
	;;#ASMEND
	;;#ASMSTART
	s_nop 0
	v_add_f32 v181, v181, v181 row_shr:8 bound_ctrl:0 
	;;#ASMEND
	;;#ASMSTART
	s_nop 0
	v_add_f32 v180, v180, v180 row_shr:8 bound_ctrl:0 
	;;#ASMEND
	;;#ASMSTART
	s_nop 0
	v_add_f32 v179, v179, v179 row_shr:8 bound_ctrl:0 
	;;#ASMEND
	;;#ASMSTART
	s_nop 0
	v_add_f32 v178, v178, v178 row_shr:8 bound_ctrl:0 
	;;#ASMEND
	;;#ASMSTART
	s_nop 0
	v_add_f32 v177, v177, v177 row_shr:8 bound_ctrl:0 
	;;#ASMEND
	;;#ASMSTART
	s_nop 0
	v_add_f32 v176, v176, v176 row_shr:8 bound_ctrl:0 
	;;#ASMEND
	;;#ASMSTART
	s_nop 0
	v_add_f32 v175, v175, v175 row_shr:8 bound_ctrl:0 
	;;#ASMEND
	;;#ASMSTART
	s_nop 0
	v_add_f32 v174, v174, v174 row_shr:8 bound_ctrl:0 
	;;#ASMEND
	;;#ASMSTART
	s_nop 0
	v_add_f32 v173, v173, v173 row_shr:8 bound_ctrl:0 
	;;#ASMEND
	;;#ASMSTART
	s_nop 0
	v_add_f32 v172, v172, v172 row_shr:8 bound_ctrl:0 
	;;#ASMEND
	s_nop 0
	;;#ASMSTART
	s_nop 0
	v_add_f32 v153, v153, v153 row_shr:4 bound_ctrl:0 
	;;#ASMEND
	;;#ASMSTART
	s_nop 0
	v_add_f32 v181, v181, v181 row_shr:4 bound_ctrl:0 
	;;#ASMEND
	;;#ASMSTART
	s_nop 0
	v_add_f32 v180, v180, v180 row_shr:4 bound_ctrl:0 
	;;#ASMEND
	;;#ASMSTART
	s_nop 0
	v_add_f32 v179, v179, v179 row_shr:4 bound_ctrl:0 
	;;#ASMEND
	;;#ASMSTART
	s_nop 0
	v_add_f32 v178, v178, v178 row_shr:4 bound_ctrl:0 
	;;#ASMEND
	;;#ASMSTART
	s_nop 0
	v_add_f32 v177, v177, v177 row_shr:4 bound_ctrl:0 
	;;#ASMEND
	;;#ASMSTART
	s_nop 0
	v_add_f32 v176, v176, v176 row_shr:4 bound_ctrl:0 
	;;#ASMEND
	;;#ASMSTART
	s_nop 0
	v_add_f32 v175, v175, v175 row_shr:4 bound_ctrl:0 
	;;#ASMEND
	;;#ASMSTART
	s_nop 0
	v_add_f32 v174, v174, v174 row_shr:4 bound_ctrl:0 
	;;#ASMEND
	;;#ASMSTART
	s_nop 0
	v_add_f32 v173, v173, v173 row_shr:4 bound_ctrl:0 
	;;#ASMEND
	;;#ASMSTART
	s_nop 0
	v_add_f32 v172, v172, v172 row_shr:4 bound_ctrl:0 
	;;#ASMEND
	s_nop 0
	;; [unrolled: 45-line block ×3, first 2 shown]
	;;#ASMSTART
	s_nop 0
	v_add_f32 v153, v153, v153 wave_shr:1 bound_ctrl:0
	;;#ASMEND
	;;#ASMSTART
	s_nop 0
	v_add_f32 v181, v181, v181 wave_shr:1 bound_ctrl:0
	;;#ASMEND
	;; [unrolled: 4-line block ×11, first 2 shown]
	s_nop 0
	;;#ASMSTART
	s_nop 0
	v_add_f32 v153, v153, v153 row_bcast:15 bound_ctrl:0
	;;#ASMEND
	;;#ASMSTART
	s_nop 0
	v_add_f32 v181, v181, v181 row_bcast:15 bound_ctrl:0
	;;#ASMEND
	;;#ASMSTART
	s_nop 0
	v_add_f32 v180, v180, v180 row_bcast:15 bound_ctrl:0
	;;#ASMEND
	;;#ASMSTART
	s_nop 0
	v_add_f32 v179, v179, v179 row_bcast:15 bound_ctrl:0
	;;#ASMEND
	;;#ASMSTART
	s_nop 0
	v_add_f32 v178, v178, v178 row_bcast:15 bound_ctrl:0
	;;#ASMEND
	;;#ASMSTART
	s_nop 0
	v_add_f32 v177, v177, v177 row_bcast:15 bound_ctrl:0
	;;#ASMEND
	;;#ASMSTART
	s_nop 0
	v_add_f32 v176, v176, v176 row_bcast:15 bound_ctrl:0
	;;#ASMEND
	;;#ASMSTART
	s_nop 0
	v_add_f32 v175, v175, v175 row_bcast:15 bound_ctrl:0
	;;#ASMEND
	;;#ASMSTART
	s_nop 0
	v_add_f32 v174, v174, v174 row_bcast:15 bound_ctrl:0
	;;#ASMEND
	;;#ASMSTART
	s_nop 0
	v_add_f32 v173, v173, v173 row_bcast:15 bound_ctrl:0
	;;#ASMEND
	;;#ASMSTART
	s_nop 0
	v_add_f32 v172, v172, v172 row_bcast:15 bound_ctrl:0
	;;#ASMEND
	s_nop 0
	;;#ASMSTART
	s_nop 0
	v_add_f32 v153, v153, v153 row_bcast:31 bound_ctrl:0
	;;#ASMEND
	;;#ASMSTART
	s_nop 0
	v_add_f32 v181, v181, v181 row_bcast:31 bound_ctrl:0
	;;#ASMEND
	;; [unrolled: 4-line block ×11, first 2 shown]
	s_and_saveexec_b64 s[4:5], s[0:1]
	s_cbranch_execz .LBB36_3
; %bb.26:                               ;   in Loop: Header=BB36_4 Depth=1
	v_and_b32_e32 v142, 0x7f800000, v153
	v_cmp_ne_u32_e32 vcc, s28, v142
                                        ; implicit-def: $vgpr170
	s_and_saveexec_b64 s[16:17], vcc
	s_xor_b64 s[16:17], exec, s[16:17]
; %bb.27:                               ;   in Loop: Header=BB36_4 Depth=1
	v_bfe_u32 v142, v153, 16, 1
	v_add3_u32 v170, v153, v142, s29
                                        ; implicit-def: $vgpr153
; %bb.28:                               ;   in Loop: Header=BB36_4 Depth=1
	s_andn2_saveexec_b64 s[16:17], s[16:17]
; %bb.29:                               ;   in Loop: Header=BB36_4 Depth=1
	v_or_b32_e32 v142, 0x10000, v153
	v_cmp_eq_u32_sdwa vcc, v153, v171 src0_sel:WORD_0 src1_sel:DWORD
	s_nop 1
	v_cndmask_b32_e32 v170, v142, v153, vcc
; %bb.30:                               ;   in Loop: Header=BB36_4 Depth=1
	s_or_b64 exec, exec, s[16:17]
	v_mov_b32_e32 v153, v171
	v_and_b32_e32 v142, 0x7f800000, v181
	s_waitcnt lgkmcnt(0)
	v_lshl_add_u64 v[208:209], v[152:153], 1, s[12:13]
	v_cmp_ne_u32_e32 vcc, s28, v142
	global_store_short_d16_hi v[208:209], v170, off
                                        ; implicit-def: $vgpr153
	s_and_saveexec_b64 s[16:17], vcc
	s_xor_b64 s[16:17], exec, s[16:17]
; %bb.31:                               ;   in Loop: Header=BB36_4 Depth=1
	v_bfe_u32 v142, v181, 16, 1
	v_add3_u32 v153, v181, v142, s29
; %bb.32:                               ;   in Loop: Header=BB36_4 Depth=1
	s_andn2_saveexec_b64 s[16:17], s[16:17]
; %bb.33:                               ;   in Loop: Header=BB36_4 Depth=1
	v_or_b32_e32 v142, 0x10000, v181
	v_cmp_eq_u32_sdwa vcc, v181, v171 src0_sel:WORD_0 src1_sel:DWORD
	s_nop 1
	v_cndmask_b32_e32 v153, v142, v181, vcc
; %bb.34:                               ;   in Loop: Header=BB36_4 Depth=1
	s_or_b64 exec, exec, s[16:17]
	v_add_u32_e32 v170, s7, v152
	v_and_b32_e32 v142, 0x7f800000, v180
	v_lshl_add_u64 v[208:209], v[170:171], 1, s[12:13]
	v_cmp_ne_u32_e32 vcc, s28, v142
	global_store_short_d16_hi v[208:209], v153, off
                                        ; implicit-def: $vgpr153
	s_and_saveexec_b64 s[16:17], vcc
	s_xor_b64 s[16:17], exec, s[16:17]
; %bb.35:                               ;   in Loop: Header=BB36_4 Depth=1
	v_bfe_u32 v142, v180, 16, 1
	v_add3_u32 v153, v180, v142, s29
                                        ; implicit-def: $vgpr180
; %bb.36:                               ;   in Loop: Header=BB36_4 Depth=1
	s_andn2_saveexec_b64 s[16:17], s[16:17]
; %bb.37:                               ;   in Loop: Header=BB36_4 Depth=1
	v_or_b32_e32 v142, 0x10000, v180
	v_cmp_eq_u32_sdwa vcc, v180, v171 src0_sel:WORD_0 src1_sel:DWORD
	s_nop 1
	v_cndmask_b32_e32 v153, v142, v180, vcc
; %bb.38:                               ;   in Loop: Header=BB36_4 Depth=1
	s_or_b64 exec, exec, s[16:17]
	v_add_u32_e32 v170, s7, v170
	v_and_b32_e32 v142, 0x7f800000, v179
	v_lshl_add_u64 v[180:181], v[170:171], 1, s[12:13]
	v_cmp_ne_u32_e32 vcc, s28, v142
	global_store_short_d16_hi v[180:181], v153, off
                                        ; implicit-def: $vgpr153
	s_and_saveexec_b64 s[16:17], vcc
	s_xor_b64 s[16:17], exec, s[16:17]
; %bb.39:                               ;   in Loop: Header=BB36_4 Depth=1
	v_bfe_u32 v142, v179, 16, 1
	v_add3_u32 v153, v179, v142, s29
; %bb.40:                               ;   in Loop: Header=BB36_4 Depth=1
	s_andn2_saveexec_b64 s[16:17], s[16:17]
; %bb.41:                               ;   in Loop: Header=BB36_4 Depth=1
	v_or_b32_e32 v142, 0x10000, v179
	v_cmp_eq_u32_sdwa vcc, v179, v171 src0_sel:WORD_0 src1_sel:DWORD
	s_nop 1
	v_cndmask_b32_e32 v153, v142, v179, vcc
; %bb.42:                               ;   in Loop: Header=BB36_4 Depth=1
	s_or_b64 exec, exec, s[16:17]
	v_add_u32_e32 v170, s7, v170
	v_and_b32_e32 v142, 0x7f800000, v178
	v_lshl_add_u64 v[180:181], v[170:171], 1, s[12:13]
	v_cmp_ne_u32_e32 vcc, s28, v142
	global_store_short_d16_hi v[180:181], v153, off
                                        ; implicit-def: $vgpr153
	s_and_saveexec_b64 s[16:17], vcc
	s_xor_b64 s[16:17], exec, s[16:17]
; %bb.43:                               ;   in Loop: Header=BB36_4 Depth=1
	v_bfe_u32 v142, v178, 16, 1
	v_add3_u32 v153, v178, v142, s29
                                        ; implicit-def: $vgpr178
; %bb.44:                               ;   in Loop: Header=BB36_4 Depth=1
	s_andn2_saveexec_b64 s[16:17], s[16:17]
; %bb.45:                               ;   in Loop: Header=BB36_4 Depth=1
	v_or_b32_e32 v142, 0x10000, v178
	v_cmp_eq_u32_sdwa vcc, v178, v171 src0_sel:WORD_0 src1_sel:DWORD
	s_nop 1
	v_cndmask_b32_e32 v153, v142, v178, vcc
; %bb.46:                               ;   in Loop: Header=BB36_4 Depth=1
	s_or_b64 exec, exec, s[16:17]
	v_add_u32_e32 v170, s7, v170
	v_and_b32_e32 v142, 0x7f800000, v177
	v_lshl_add_u64 v[178:179], v[170:171], 1, s[12:13]
	v_cmp_ne_u32_e32 vcc, s28, v142
	global_store_short_d16_hi v[178:179], v153, off
                                        ; implicit-def: $vgpr153
	s_and_saveexec_b64 s[16:17], vcc
	s_xor_b64 s[16:17], exec, s[16:17]
; %bb.47:                               ;   in Loop: Header=BB36_4 Depth=1
	v_bfe_u32 v142, v177, 16, 1
	v_add3_u32 v153, v177, v142, s29
; %bb.48:                               ;   in Loop: Header=BB36_4 Depth=1
	s_andn2_saveexec_b64 s[16:17], s[16:17]
; %bb.49:                               ;   in Loop: Header=BB36_4 Depth=1
	v_or_b32_e32 v142, 0x10000, v177
	v_cmp_eq_u32_sdwa vcc, v177, v171 src0_sel:WORD_0 src1_sel:DWORD
	s_nop 1
	v_cndmask_b32_e32 v153, v142, v177, vcc
; %bb.50:                               ;   in Loop: Header=BB36_4 Depth=1
	s_or_b64 exec, exec, s[16:17]
	v_add_u32_e32 v170, s7, v170
	v_and_b32_e32 v142, 0x7f800000, v176
	v_lshl_add_u64 v[178:179], v[170:171], 1, s[12:13]
	v_cmp_ne_u32_e32 vcc, s28, v142
	global_store_short_d16_hi v[178:179], v153, off
                                        ; implicit-def: $vgpr153
	s_and_saveexec_b64 s[16:17], vcc
	s_xor_b64 s[16:17], exec, s[16:17]
; %bb.51:                               ;   in Loop: Header=BB36_4 Depth=1
	v_bfe_u32 v142, v176, 16, 1
	v_add3_u32 v153, v176, v142, s29
                                        ; implicit-def: $vgpr176
; %bb.52:                               ;   in Loop: Header=BB36_4 Depth=1
	s_andn2_saveexec_b64 s[16:17], s[16:17]
; %bb.53:                               ;   in Loop: Header=BB36_4 Depth=1
	v_or_b32_e32 v142, 0x10000, v176
	v_cmp_eq_u32_sdwa vcc, v176, v171 src0_sel:WORD_0 src1_sel:DWORD
	s_nop 1
	v_cndmask_b32_e32 v153, v142, v176, vcc
; %bb.54:                               ;   in Loop: Header=BB36_4 Depth=1
	s_or_b64 exec, exec, s[16:17]
	v_add_u32_e32 v170, s7, v170
	v_and_b32_e32 v142, 0x7f800000, v175
	v_lshl_add_u64 v[176:177], v[170:171], 1, s[12:13]
	v_cmp_ne_u32_e32 vcc, s28, v142
	global_store_short_d16_hi v[176:177], v153, off
                                        ; implicit-def: $vgpr153
	s_and_saveexec_b64 s[16:17], vcc
	s_xor_b64 s[16:17], exec, s[16:17]
; %bb.55:                               ;   in Loop: Header=BB36_4 Depth=1
	v_bfe_u32 v142, v175, 16, 1
	v_add3_u32 v153, v175, v142, s29
; %bb.56:                               ;   in Loop: Header=BB36_4 Depth=1
	s_andn2_saveexec_b64 s[16:17], s[16:17]
; %bb.57:                               ;   in Loop: Header=BB36_4 Depth=1
	v_or_b32_e32 v142, 0x10000, v175
	v_cmp_eq_u32_sdwa vcc, v175, v171 src0_sel:WORD_0 src1_sel:DWORD
	s_nop 1
	v_cndmask_b32_e32 v153, v142, v175, vcc
; %bb.58:                               ;   in Loop: Header=BB36_4 Depth=1
	s_or_b64 exec, exec, s[16:17]
	v_add_u32_e32 v170, s7, v170
	v_and_b32_e32 v142, 0x7f800000, v174
	v_lshl_add_u64 v[176:177], v[170:171], 1, s[12:13]
	v_cmp_ne_u32_e32 vcc, s28, v142
	global_store_short_d16_hi v[176:177], v153, off
                                        ; implicit-def: $vgpr153
	s_and_saveexec_b64 s[16:17], vcc
	s_xor_b64 s[16:17], exec, s[16:17]
; %bb.59:                               ;   in Loop: Header=BB36_4 Depth=1
	v_bfe_u32 v142, v174, 16, 1
	v_add3_u32 v153, v174, v142, s29
                                        ; implicit-def: $vgpr174
; %bb.60:                               ;   in Loop: Header=BB36_4 Depth=1
	s_andn2_saveexec_b64 s[16:17], s[16:17]
; %bb.61:                               ;   in Loop: Header=BB36_4 Depth=1
	v_or_b32_e32 v142, 0x10000, v174
	v_cmp_eq_u32_sdwa vcc, v174, v171 src0_sel:WORD_0 src1_sel:DWORD
	s_nop 1
	v_cndmask_b32_e32 v153, v142, v174, vcc
; %bb.62:                               ;   in Loop: Header=BB36_4 Depth=1
	s_or_b64 exec, exec, s[16:17]
	v_add_u32_e32 v170, s7, v170
	v_and_b32_e32 v142, 0x7f800000, v173
	v_lshl_add_u64 v[174:175], v[170:171], 1, s[12:13]
	v_cmp_ne_u32_e32 vcc, s28, v142
	global_store_short_d16_hi v[174:175], v153, off
                                        ; implicit-def: $vgpr153
	s_and_saveexec_b64 s[16:17], vcc
	s_xor_b64 s[16:17], exec, s[16:17]
; %bb.63:                               ;   in Loop: Header=BB36_4 Depth=1
	v_bfe_u32 v142, v173, 16, 1
	v_add3_u32 v153, v173, v142, s29
; %bb.64:                               ;   in Loop: Header=BB36_4 Depth=1
	s_andn2_saveexec_b64 s[16:17], s[16:17]
; %bb.65:                               ;   in Loop: Header=BB36_4 Depth=1
	v_or_b32_e32 v142, 0x10000, v173
	v_cmp_eq_u32_sdwa vcc, v173, v171 src0_sel:WORD_0 src1_sel:DWORD
	s_nop 1
	v_cndmask_b32_e32 v153, v142, v173, vcc
; %bb.66:                               ;   in Loop: Header=BB36_4 Depth=1
	s_or_b64 exec, exec, s[16:17]
	v_add_u32_e32 v170, s7, v170
	v_and_b32_e32 v142, 0x7f800000, v172
	v_lshl_add_u64 v[174:175], v[170:171], 1, s[12:13]
	v_cmp_ne_u32_e32 vcc, s28, v142
	global_store_short_d16_hi v[174:175], v153, off
                                        ; implicit-def: $vgpr153
	s_and_saveexec_b64 s[16:17], vcc
	s_xor_b64 s[16:17], exec, s[16:17]
; %bb.67:                               ;   in Loop: Header=BB36_4 Depth=1
	v_bfe_u32 v142, v172, 16, 1
	v_add3_u32 v153, v172, v142, s29
                                        ; implicit-def: $vgpr172
; %bb.68:                               ;   in Loop: Header=BB36_4 Depth=1
	s_andn2_saveexec_b64 s[16:17], s[16:17]
	s_cbranch_execz .LBB36_2
; %bb.69:                               ;   in Loop: Header=BB36_4 Depth=1
	v_or_b32_e32 v142, 0x10000, v172
	v_cmp_eq_u32_sdwa vcc, v172, v171 src0_sel:WORD_0 src1_sel:DWORD
	s_nop 1
	v_cndmask_b32_e32 v153, v142, v172, vcc
	s_branch .LBB36_2
.LBB36_70:
	s_endpgm
	.section	.rodata,"a",@progbits
	.p2align	6, 0x0
	.amdhsa_kernel _ZN5aiter32wv_splitk_small_fp16_bf16_kernelI14__hip_bfloat16Li64ELi1ELi1ELi8ELi4ELi11EEEviiPKT_S4_PS2_ii
		.amdhsa_group_segment_fixed_size 0
		.amdhsa_private_segment_fixed_size 0
		.amdhsa_kernarg_size 40
		.amdhsa_user_sgpr_count 2
		.amdhsa_user_sgpr_dispatch_ptr 0
		.amdhsa_user_sgpr_queue_ptr 0
		.amdhsa_user_sgpr_kernarg_segment_ptr 1
		.amdhsa_user_sgpr_dispatch_id 0
		.amdhsa_user_sgpr_kernarg_preload_length 0
		.amdhsa_user_sgpr_kernarg_preload_offset 0
		.amdhsa_user_sgpr_private_segment_size 0
		.amdhsa_uses_dynamic_stack 0
		.amdhsa_enable_private_segment 0
		.amdhsa_system_sgpr_workgroup_id_x 1
		.amdhsa_system_sgpr_workgroup_id_y 0
		.amdhsa_system_sgpr_workgroup_id_z 0
		.amdhsa_system_sgpr_workgroup_info 0
		.amdhsa_system_vgpr_workitem_id 1
		.amdhsa_next_free_vgpr 287
		.amdhsa_next_free_sgpr 31
		.amdhsa_accum_offset 256
		.amdhsa_reserve_vcc 1
		.amdhsa_float_round_mode_32 0
		.amdhsa_float_round_mode_16_64 0
		.amdhsa_float_denorm_mode_32 3
		.amdhsa_float_denorm_mode_16_64 3
		.amdhsa_dx10_clamp 1
		.amdhsa_ieee_mode 1
		.amdhsa_fp16_overflow 0
		.amdhsa_tg_split 0
		.amdhsa_exception_fp_ieee_invalid_op 0
		.amdhsa_exception_fp_denorm_src 0
		.amdhsa_exception_fp_ieee_div_zero 0
		.amdhsa_exception_fp_ieee_overflow 0
		.amdhsa_exception_fp_ieee_underflow 0
		.amdhsa_exception_fp_ieee_inexact 0
		.amdhsa_exception_int_div_zero 0
	.end_amdhsa_kernel
	.section	.text._ZN5aiter32wv_splitk_small_fp16_bf16_kernelI14__hip_bfloat16Li64ELi1ELi1ELi8ELi4ELi11EEEviiPKT_S4_PS2_ii,"axG",@progbits,_ZN5aiter32wv_splitk_small_fp16_bf16_kernelI14__hip_bfloat16Li64ELi1ELi1ELi8ELi4ELi11EEEviiPKT_S4_PS2_ii,comdat
.Lfunc_end36:
	.size	_ZN5aiter32wv_splitk_small_fp16_bf16_kernelI14__hip_bfloat16Li64ELi1ELi1ELi8ELi4ELi11EEEviiPKT_S4_PS2_ii, .Lfunc_end36-_ZN5aiter32wv_splitk_small_fp16_bf16_kernelI14__hip_bfloat16Li64ELi1ELi1ELi8ELi4ELi11EEEviiPKT_S4_PS2_ii
                                        ; -- End function
	.section	.AMDGPU.csdata,"",@progbits
; Kernel info:
; codeLenInByte = 9888
; NumSgprs: 37
; NumVgprs: 256
; NumAgprs: 31
; TotalNumVgprs: 287
; ScratchSize: 0
; MemoryBound: 0
; FloatMode: 240
; IeeeMode: 1
; LDSByteSize: 0 bytes/workgroup (compile time only)
; SGPRBlocks: 4
; VGPRBlocks: 35
; NumSGPRsForWavesPerEU: 37
; NumVGPRsForWavesPerEU: 287
; AccumOffset: 256
; Occupancy: 1
; WaveLimiterHint : 0
; COMPUTE_PGM_RSRC2:SCRATCH_EN: 0
; COMPUTE_PGM_RSRC2:USER_SGPR: 2
; COMPUTE_PGM_RSRC2:TRAP_HANDLER: 0
; COMPUTE_PGM_RSRC2:TGID_X_EN: 1
; COMPUTE_PGM_RSRC2:TGID_Y_EN: 0
; COMPUTE_PGM_RSRC2:TGID_Z_EN: 0
; COMPUTE_PGM_RSRC2:TIDIG_COMP_CNT: 1
; COMPUTE_PGM_RSRC3_GFX90A:ACCUM_OFFSET: 63
; COMPUTE_PGM_RSRC3_GFX90A:TG_SPLIT: 0
	.section	.text._ZN5aiter32wv_splitk_small_fp16_bf16_kernelI14__hip_bfloat16Li64ELi1ELi1ELi8ELi4ELi12EEEviiPKT_S4_PS2_ii,"axG",@progbits,_ZN5aiter32wv_splitk_small_fp16_bf16_kernelI14__hip_bfloat16Li64ELi1ELi1ELi8ELi4ELi12EEEviiPKT_S4_PS2_ii,comdat
	.protected	_ZN5aiter32wv_splitk_small_fp16_bf16_kernelI14__hip_bfloat16Li64ELi1ELi1ELi8ELi4ELi12EEEviiPKT_S4_PS2_ii ; -- Begin function _ZN5aiter32wv_splitk_small_fp16_bf16_kernelI14__hip_bfloat16Li64ELi1ELi1ELi8ELi4ELi12EEEviiPKT_S4_PS2_ii
	.globl	_ZN5aiter32wv_splitk_small_fp16_bf16_kernelI14__hip_bfloat16Li64ELi1ELi1ELi8ELi4ELi12EEEviiPKT_S4_PS2_ii
	.p2align	8
	.type	_ZN5aiter32wv_splitk_small_fp16_bf16_kernelI14__hip_bfloat16Li64ELi1ELi1ELi8ELi4ELi12EEEviiPKT_S4_PS2_ii,@function
_ZN5aiter32wv_splitk_small_fp16_bf16_kernelI14__hip_bfloat16Li64ELi1ELi1ELi8ELi4ELi12EEEviiPKT_S4_PS2_ii: ; @_ZN5aiter32wv_splitk_small_fp16_bf16_kernelI14__hip_bfloat16Li64ELi1ELi1ELi8ELi4ELi12EEEviiPKT_S4_PS2_ii
; %bb.0:
	s_load_dwordx2 s[4:5], s[0:1], 0x20
	s_load_dwordx2 s[6:7], s[0:1], 0x0
	v_bfe_u32 v1, v0, 10, 10
	s_waitcnt lgkmcnt(0)
	s_mul_i32 s2, s2, s4
	v_add_u32_e32 v2, s2, v1
	v_accvgpr_write_b32 a0, v2
	v_cmp_gt_u32_e32 vcc, s7, v2
	s_and_saveexec_b64 s[2:3], vcc
	s_cbranch_execz .LBB37_74
; %bb.1:
	v_and_b32_e32 v0, 0x3ff, v0
	v_lshlrev_b32_e32 v166, 3, v0
	s_load_dwordx4 s[8:11], s[0:1], 0x8
	s_load_dwordx2 s[12:13], s[0:1], 0x18
	v_cmp_eq_u32_e64 s[0:1], 63, v0
	v_lshl_add_u32 v0, s6, 1, v166
	v_accvgpr_write_b32 a1, v0
	v_lshl_add_u32 v0, s6, 2, v166
	s_cmp_lg_u32 s6, 0
	v_accvgpr_write_b32 a3, v0
	v_lshl_add_u32 v0, s6, 3, v166
	v_accvgpr_write_b32 a4, v0
	v_add_u32_e32 v0, s6, v166
	s_cselect_b64 s[2:3], -1, 0
	v_accvgpr_write_b32 a5, v0
	v_cndmask_b32_e64 v0, 0, 1, s[2:3]
	v_cmp_ne_u32_e64 s[2:3], 1, v0
	v_accvgpr_read_b32 v0, a0
	s_mul_i32 s24, s5, s4
	v_mad_u64_u32 v[164:165], s[4:5], s6, v0, v[166:167]
	v_mad_u64_u32 v[0:1], s[4:5], s6, 3, v[166:167]
	s_mul_i32 s25, s24, s6
	s_mov_b64 s[14:15], 0
	s_mov_b32 s26, 0x5040100
	s_mov_b32 s27, 0x7060302
	s_mov_b32 s28, 0x7f800000
	s_movk_i32 s29, 0x7fff
	v_accvgpr_write_b32 a6, v0
	v_mad_u64_u32 v[168:169], s[4:5], s6, 5, v[166:167]
	v_mad_u64_u32 v[170:171], s[4:5], s6, 6, v[166:167]
	;; [unrolled: 1-line block ×6, first 2 shown]
	v_mov_b32_e32 v181, 0
	v_accvgpr_write_b32 a2, v166
                                        ; implicit-def: $vgpr22
                                        ; implicit-def: $vgpr26
                                        ; implicit-def: $vgpr195
                                        ; implicit-def: $agpr41
                                        ; implicit-def: $vgpr69
                                        ; implicit-def: $vgpr71
                                        ; implicit-def: $vgpr198
                                        ; implicit-def: $vgpr199
                                        ; implicit-def: $vgpr200
                                        ; implicit-def: $vgpr143
                                        ; implicit-def: $vgpr201
                                        ; implicit-def: $vgpr202
                                        ; implicit-def: $agpr42
                                        ; implicit-def: $vgpr197
                                        ; implicit-def: $vgpr232
                                        ; implicit-def: $vgpr203
                                        ; implicit-def: $vgpr204
                                        ; implicit-def: $vgpr205
                                        ; implicit-def: $vgpr234
                                        ; implicit-def: $vgpr206
                                        ; implicit-def: $vgpr207
                                        ; implicit-def: $agpr43
                                        ; implicit-def: $vgpr236
                                        ; implicit-def: $vgpr238
                                        ; implicit-def: $vgpr208
                                        ; implicit-def: $vgpr209
                                        ; implicit-def: $vgpr210
                                        ; implicit-def: $vgpr241
                                        ; implicit-def: $vgpr211
                                        ; implicit-def: $vgpr212
                                        ; implicit-def: $agpr44
                                        ; implicit-def: $vgpr243
                                        ; implicit-def: $vgpr245
                                        ; implicit-def: $vgpr213
                                        ; implicit-def: $vgpr214
                                        ; implicit-def: $vgpr215
                                        ; implicit-def: $vgpr248
                                        ; implicit-def: $vgpr216
                                        ; implicit-def: $vgpr217
                                        ; implicit-def: $agpr45
                                        ; implicit-def: $vgpr249
                                        ; implicit-def: $vgpr250
                                        ; implicit-def: $vgpr218
                                        ; implicit-def: $vgpr219
                                        ; implicit-def: $vgpr220
                                        ; implicit-def: $vgpr251
                                        ; implicit-def: $vgpr252
                                        ; implicit-def: $vgpr253
                                        ; implicit-def: $agpr46
                                        ; implicit-def: $vgpr163
                                        ; implicit-def: $vgpr222
                                        ; implicit-def: $vgpr254
                                        ; implicit-def: $vgpr255
                                        ; implicit-def: $vgpr221
                                        ; implicit-def: $agpr12
                                        ; implicit-def: $vgpr240
                                        ; implicit-def: $agpr16
                                        ; implicit-def: $vgpr247
                                        ; implicit-def: $vgpr225
                                        ; implicit-def: $vgpr131
                                        ; implicit-def: $agpr10
                                        ; implicit-def: $vgpr237
                                        ; implicit-def: $agpr15
                                        ; implicit-def: $vgpr246
                                        ; implicit-def: $vgpr129
                                        ; implicit-def: $vgpr111
                                        ; implicit-def: $agpr8
                                        ; implicit-def: $vgpr233
                                        ; implicit-def: $agpr14
                                        ; implicit-def: $vgpr244
                                        ; implicit-def: $vgpr109
                                        ; implicit-def: $vgpr87
                                        ; implicit-def: $agpr7
                                        ; implicit-def: $vgpr230
                                        ; implicit-def: $agpr13
                                        ; implicit-def: $vgpr242
                                        ; implicit-def: $vgpr85
                                        ; implicit-def: $vgpr63
                                        ; implicit-def: $vgpr160
                                        ; implicit-def: $vgpr228
                                        ; implicit-def: $agpr11
                                        ; implicit-def: $vgpr239
                                        ; implicit-def: $vgpr61
                                        ; implicit-def: $vgpr43
                                        ; implicit-def: $vgpr159
                                        ; implicit-def: $vgpr226
                                        ; implicit-def: $agpr9
                                        ; implicit-def: $vgpr235
                                        ; implicit-def: $vgpr41
                                        ; implicit-def: $vgpr23
                                        ; implicit-def: $vgpr19
                                        ; implicit-def: $vgpr39
                                        ; implicit-def: $vgpr15
                                        ; implicit-def: $vgpr34
                                        ; implicit-def: $agpr49
                                        ; implicit-def: $agpr47
                                        ; implicit-def: $agpr22
                                        ; implicit-def: $agpr17
                                        ; implicit-def: $vgpr51
                                        ; implicit-def: $vgpr59
                                        ; implicit-def: $vgpr35
                                        ; implicit-def: $vgpr54
                                        ; implicit-def: $agpr51
                                        ; implicit-def: $agpr48
                                        ; implicit-def: $agpr19
                                        ; implicit-def: $agpr18
                                        ; implicit-def: $vgpr75
                                        ; implicit-def: $vgpr83
                                        ; implicit-def: $vgpr55
                                        ; implicit-def: $vgpr78
                                        ; implicit-def: $agpr53
                                        ; implicit-def: $agpr50
                                        ; implicit-def: $agpr21
                                        ; implicit-def: $agpr20
                                        ; implicit-def: $vgpr95
                                        ; implicit-def: $vgpr107
                                        ; implicit-def: $vgpr79
                                        ; implicit-def: $vgpr98
                                        ; implicit-def: $agpr55
                                        ; implicit-def: $agpr52
                                        ; implicit-def: $agpr26
                                        ; implicit-def: $agpr24
                                        ; implicit-def: $vgpr119
                                        ; implicit-def: $vgpr127
                                        ; implicit-def: $vgpr99
                                        ; implicit-def: $vgpr122
                                        ; implicit-def: $agpr57
                                        ; implicit-def: $agpr54
                                        ; implicit-def: $agpr30
                                        ; implicit-def: $agpr29
                                        ; implicit-def: $vgpr139
                                        ; implicit-def: $vgpr42
                                        ; implicit-def: $vgpr123
                                        ; implicit-def: $vgpr223
                                        ; implicit-def: $agpr58
                                        ; implicit-def: $agpr56
                                        ; implicit-def: $agpr34
                                        ; implicit-def: $agpr33
                                        ; implicit-def: $vgpr27
                                        ; implicit-def: $vgpr46
                                        ; implicit-def: $vgpr70
                                        ; implicit-def: $agpr62
                                        ; implicit-def: $agpr25
                                        ; implicit-def: $agpr23
                                        ; implicit-def: $vgpr47
                                        ; implicit-def: $vgpr66
                                        ; implicit-def: $vgpr103
                                        ; implicit-def: $vgpr141
                                        ; implicit-def: $agpr28
                                        ; implicit-def: $agpr27
                                        ; implicit-def: $vgpr67
                                        ; implicit-def: $vgpr90
                                        ; implicit-def: $vgpr142
                                        ; implicit-def: $agpr61
                                        ; implicit-def: $agpr32
                                        ; implicit-def: $agpr31
                                        ; implicit-def: $vgpr91
                                        ; implicit-def: $vgpr114
                                        ; implicit-def: $vgpr147
                                        ; implicit-def: $agpr60
                                        ; implicit-def: $agpr36
                                        ; implicit-def: $agpr35
                                        ; implicit-def: $vgpr115
                                        ; implicit-def: $vgpr134
                                        ; implicit-def: $vgpr162
                                        ; implicit-def: $agpr59
                                        ; implicit-def: $agpr38
                                        ; implicit-def: $agpr37
                                        ; implicit-def: $vgpr135
                                        ; implicit-def: $vgpr224
                                        ; implicit-def: $vgpr231
                                        ; implicit-def: $vgpr229
                                        ; implicit-def: $agpr40
                                        ; implicit-def: $agpr39
                                        ; implicit-def: $vgpr120
                                        ; implicit-def: $vgpr125
                                        ; implicit-def: $vgpr128
                                        ; implicit-def: $vgpr133
                                        ; implicit-def: $vgpr138
                                        ; implicit-def: $vgpr96
                                        ; implicit-def: $vgpr105
                                        ; implicit-def: $vgpr108
                                        ; implicit-def: $vgpr113
                                        ; implicit-def: $vgpr118
                                        ; implicit-def: $vgpr76
                                        ; implicit-def: $vgpr81
                                        ; implicit-def: $vgpr84
                                        ; implicit-def: $vgpr89
                                        ; implicit-def: $vgpr94
                                        ; implicit-def: $vgpr52
                                        ; implicit-def: $vgpr57
                                        ; implicit-def: $vgpr60
                                        ; implicit-def: $vgpr65
                                        ; implicit-def: $vgpr74
                                        ; implicit-def: $vgpr32
                                        ; implicit-def: $vgpr37
                                        ; implicit-def: $vgpr40
                                        ; implicit-def: $vgpr45
                                        ; implicit-def: $vgpr50
                                        ; implicit-def: $vgpr12
                                        ; implicit-def: $vgpr17
                                        ; implicit-def: $vgpr20
                                        ; implicit-def: $vgpr25
                                        ; implicit-def: $vgpr30
                                        ; implicit-def: $vgpr152_vgpr153_vgpr154_vgpr155
                                        ; implicit-def: $vgpr0_vgpr1_vgpr2_vgpr3
                                        ; implicit-def: $vgpr4_vgpr5_vgpr6_vgpr7
                                        ; implicit-def: $vgpr8_vgpr9_vgpr10_vgpr11
                                        ; implicit-def: $vgpr156
                                        ; implicit-def: $vgpr148
                                        ; implicit-def: $vgpr144
                                        ; implicit-def: $vgpr140
                                        ; implicit-def: $vgpr100
                                        ; implicit-def: $vgpr68
	s_branch .LBB37_4
.LBB37_2:                               ;   in Loop: Header=BB37_4 Depth=1
	s_or_b64 exec, exec, s[16:17]
	v_add_u32_e32 v180, s7, v180
	v_lshl_add_u64 v[150:151], v[180:181], 1, s[12:13]
	global_store_short_d16_hi v[150:151], v161, off
.LBB37_3:                               ;   in Loop: Header=BB37_4 Depth=1
	s_or_b64 exec, exec, s[4:5]
	v_accvgpr_read_b32 v146, a0
	v_add_u32_e32 v146, s24, v146
	v_cmp_le_u32_e32 vcc, s7, v146
	v_perm_b32 v240, v102, v240, s26
	v_perm_b32 v247, v158, v247, s26
	;; [unrolled: 1-line block ×24, first 2 shown]
	v_accvgpr_write_b32 a0, v146
	s_or_b64 s[14:15], vcc, s[14:15]
	v_add_u32_e32 v164, s25, v164
	v_accvgpr_read_b32 v166, a2
	s_andn2_b64 exec, exec, s[14:15]
	s_cbranch_execz .LBB37_74
.LBB37_4:                               ; =>This Loop Header: Depth=1
                                        ;     Child Loop BB37_10 Depth 2
	s_and_b64 vcc, exec, s[2:3]
	s_cbranch_vccnz .LBB37_24
; %bb.5:                                ;   in Loop: Header=BB37_4 Depth=1
	v_mov_b32_e32 v182, 0
	v_accvgpr_read_b32 v227, a8
	v_accvgpr_read_b32 v101, a47
	;; [unrolled: 1-line block ×5, first 2 shown]
	s_mov_b32 s30, 0
	v_mov_b32_e32 v183, v182
	v_mov_b32_e32 v184, v182
	;; [unrolled: 1-line block ×11, first 2 shown]
	v_accvgpr_read_b32 v165, a1
	v_accvgpr_read_b32 v169, a3
	;; [unrolled: 1-line block ×4, first 2 shown]
	v_mov_b32_e32 v175, v159
	v_mov_b32_e32 v177, v160
	v_accvgpr_read_b32 v179, a7
	s_branch .LBB37_10
.LBB37_6:                               ;   in Loop: Header=BB37_10 Depth=2
	s_or_b64 exec, exec, s[20:21]
.LBB37_7:                               ;   in Loop: Header=BB37_10 Depth=2
	s_or_b64 exec, exec, s[18:19]
	v_accvgpr_read_b32 v166, a2
.LBB37_8:                               ;   in Loop: Header=BB37_10 Depth=2
	s_or_b64 exec, exec, s[16:17]
.LBB37_9:                               ;   in Loop: Header=BB37_10 Depth=2
	s_or_b64 exec, exec, s[4:5]
	s_addk_i32 s30, 0x800
	s_cmp_ge_u32 s30, s6
	s_cbranch_scc1 .LBB37_23
.LBB37_10:                              ;   Parent Loop BB37_4 Depth=1
                                        ; =>  This Inner Loop Header: Depth=2
	v_add_u32_e32 v194, s30, v166
	v_cmp_gt_u32_e32 vcc, s6, v194
	v_add_u32_e32 v196, 0x200, v194
	s_and_saveexec_b64 s[16:17], vcc
	s_cbranch_execz .LBB37_18
; %bb.11:                               ;   in Loop: Header=BB37_10 Depth=2
	v_accvgpr_read_b32 v14, a6
	v_add_u32_e32 v180, s30, v164
	v_mov_b32_e32 v195, v181
	v_add_u32_e32 v218, s30, v173
	v_mov_b32_e32 v219, v181
	;; [unrolled: 2-line block ×12, first 2 shown]
	s_waitcnt lgkmcnt(0)
	v_lshl_add_u64 v[8:9], v[180:181], 1, s[8:9]
	v_lshl_add_u64 v[16:17], v[194:195], 1, s[10:11]
	;; [unrolled: 1-line block ×13, first 2 shown]
	global_load_dwordx4 v[8:11], v[8:9], off nt
	s_nop 0
	global_load_dwordx4 v[28:31], v[16:17], off
	s_nop 0
	global_load_dwordx4 v[16:19], v[18:19], off
	;; [unrolled: 2-line block ×12, first 2 shown]
	v_cmp_gt_u32_e64 s[4:5], s6, v196
	s_and_saveexec_b64 s[18:19], s[4:5]
	s_cbranch_execz .LBB37_17
; %bb.12:                               ;   in Loop: Header=BB37_10 Depth=2
	v_add_u32_e32 v4, 0x200, v180
	v_mov_b32_e32 v5, v181
	v_mov_b32_e32 v197, v181
	v_add_u32_e32 v14, 0x200, v218
	v_mov_b32_e32 v15, v181
	v_add_u32_e32 v32, 0x200, v216
	;; [unrolled: 2-line block ×11, first 2 shown]
	v_mov_b32_e32 v123, v181
	v_lshl_add_u64 v[4:5], v[4:5], 1, s[8:9]
	v_lshl_add_u64 v[12:13], v[196:197], 1, s[10:11]
	;; [unrolled: 1-line block ×13, first 2 shown]
	global_load_dwordx4 v[4:7], v[4:5], off nt
	s_nop 0
	global_load_dwordx4 v[24:27], v[12:13], off
	s_nop 0
	global_load_dwordx4 v[12:15], v[14:15], off
	s_nop 0
	global_load_dwordx4 v[44:47], v[32:33], off
	s_nop 0
	global_load_dwordx4 v[32:35], v[34:35], off
	s_nop 0
	global_load_dwordx4 v[64:67], v[52:53], off
	s_nop 0
	global_load_dwordx4 v[52:55], v[54:55], off
	s_nop 0
	global_load_dwordx4 v[88:91], v[76:77], off
	s_nop 0
	global_load_dwordx4 v[76:79], v[78:79], off
	s_nop 0
	global_load_dwordx4 v[112:115], v[96:97], off
	s_nop 0
	global_load_dwordx4 v[96:99], v[98:99], off
	s_nop 0
	global_load_dwordx4 v[132:135], v[120:121], off
	s_nop 0
	global_load_dwordx4 v[120:123], v[122:123], off
	v_add_u32_e32 v22, 0x400, v194
	v_cmp_gt_u32_e64 s[4:5], s6, v22
	s_and_saveexec_b64 s[20:21], s[4:5]
	s_cbranch_execz .LBB37_16
; %bb.13:                               ;   in Loop: Header=BB37_10 Depth=2
	v_mov_b32_e32 v23, v181
	v_add_u32_e32 v0, 0x400, v180
	v_mov_b32_e32 v1, v181
	v_lshl_add_u64 v[20:21], v[22:23], 1, s[10:11]
	v_add_u32_e32 v22, 0x400, v218
	v_lshl_add_u64 v[0:1], v[0:1], 1, s[8:9]
	v_lshl_add_u64 v[40:41], v[22:23], 1, s[10:11]
	global_load_dwordx4 v[0:3], v[0:1], off nt
	s_nop 0
	global_load_dwordx4 v[20:23], v[20:21], off
	s_nop 0
	global_load_dwordx4 v[68:71], v[40:41], off
	v_add_u32_e32 v40, 0x400, v216
	v_mov_b32_e32 v41, v181
	v_add_u32_e32 v42, 0x400, v214
	v_mov_b32_e32 v43, v181
	v_lshl_add_u64 v[40:41], v[40:41], 1, s[10:11]
	v_lshl_add_u64 v[60:61], v[42:43], 1, s[10:11]
	global_load_dwordx4 v[40:43], v[40:41], off
	s_nop 0
	global_load_dwordx4 v[100:103], v[60:61], off
	v_add_u32_e32 v60, 0x400, v212
	v_mov_b32_e32 v61, v181
	v_add_u32_e32 v62, 0x400, v210
	v_mov_b32_e32 v63, v181
	v_lshl_add_u64 v[60:61], v[60:61], 1, s[10:11]
	v_lshl_add_u64 v[84:85], v[62:63], 1, s[10:11]
	;; [unrolled: 9-line block ×5, first 2 shown]
	global_load_dwordx4 v[128:131], v[128:129], off
	s_nop 0
	global_load_dwordx4 v[156:159], v[156:157], off
	v_add_u32_e32 v220, 0x600, v194
	v_cmp_gt_u32_e64 s[4:5], s6, v220
	s_and_saveexec_b64 s[22:23], s[4:5]
	s_cbranch_execz .LBB37_15
; %bb.14:                               ;   in Loop: Header=BB37_10 Depth=2
	v_add_u32_e32 v180, 0x600, v180
	v_mov_b32_e32 v221, v181
	v_lshl_add_u64 v[152:153], v[180:181], 1, s[8:9]
	v_lshl_add_u64 v[154:155], v[220:221], 1, s[10:11]
	v_add_u32_e32 v180, 0x600, v218
	v_lshl_add_u64 v[160:161], v[180:181], 1, s[10:11]
	global_load_dwordx4 v[218:221], v[154:155], off
	global_load_dwordx4 v[222:225], v[160:161], off
	v_add_u32_e32 v180, 0x600, v216
	v_lshl_add_u64 v[154:155], v[180:181], 1, s[10:11]
	v_add_u32_e32 v180, 0x600, v214
	v_lshl_add_u64 v[160:161], v[180:181], 1, s[10:11]
	global_load_dwordx4 v[214:217], v[154:155], off
	global_load_dwordx4 v[230:233], v[160:161], off
	v_add_u32_e32 v180, 0x600, v212
	;; [unrolled: 6-line block ×5, first 2 shown]
	v_lshl_add_u64 v[154:155], v[180:181], 1, s[10:11]
	v_add_u32_e32 v180, 0x600, v198
	v_lshl_add_u64 v[160:161], v[180:181], 1, s[10:11]
	global_load_dwordx4 v[198:201], v[154:155], off
	s_nop 0
	global_load_dwordx4 v[160:163], v[160:161], off
	s_nop 0
	global_load_dwordx4 v[152:155], v[152:153], off nt
	s_waitcnt vmcnt(11)
	v_perm_b32 v167, v219, v223, s26
	v_accvgpr_write_b32 a23, v167
	v_perm_b32 v167, v218, v222, s26
	v_accvgpr_write_b32 a17, v167
	v_perm_b32 v167, v221, v225, s27
	v_accvgpr_write_b32 a9, v167
	v_perm_b32 v167, v219, v223, s27
	v_accvgpr_write_b32 a25, v167
	s_waitcnt vmcnt(9)
	v_perm_b32 v167, v215, v231, s26
	v_accvgpr_write_b32 a27, v167
	v_perm_b32 v167, v214, v230, s26
	v_accvgpr_write_b32 a18, v167
	v_perm_b32 v167, v217, v233, s27
	v_accvgpr_write_b32 a11, v167
	v_perm_b32 v167, v215, v231, s27
	v_accvgpr_write_b32 a28, v167
	v_perm_b32 v167, v214, v230, s27
	v_accvgpr_write_b32 a19, v167
	s_waitcnt vmcnt(7)
	v_perm_b32 v167, v211, v241, s26
	v_accvgpr_write_b32 a31, v167
	v_perm_b32 v167, v210, v240, s26
	v_accvgpr_write_b32 a20, v167
	v_perm_b32 v167, v213, v243, s27
	v_accvgpr_write_b32 a13, v167
	v_perm_b32 v167, v211, v241, s27
	v_accvgpr_write_b32 a32, v167
	v_perm_b32 v167, v210, v240, s27
	v_accvgpr_write_b32 a21, v167
	s_waitcnt vmcnt(5)
	v_perm_b32 v167, v207, v247, s26
	v_accvgpr_write_b32 a35, v167
	v_perm_b32 v167, v206, v246, s26
	v_accvgpr_write_b32 a24, v167
	v_perm_b32 v167, v209, v249, s27
	v_accvgpr_write_b32 a14, v167
	v_perm_b32 v167, v207, v247, s27
	v_accvgpr_write_b32 a36, v167
	v_perm_b32 v167, v206, v246, s27
	v_accvgpr_write_b32 a26, v167
	s_waitcnt vmcnt(3)
	v_perm_b32 v167, v205, v253, s26
	v_accvgpr_write_b32 a10, v167
	v_perm_b32 v167, v203, v251, s26
	v_accvgpr_write_b32 a37, v167
	v_perm_b32 v167, v202, v250, s26
	v_accvgpr_write_b32 a29, v167
	;; [unrolled: 2-line block ×5, first 2 shown]
	s_waitcnt vmcnt(1)
	v_perm_b32 v167, v201, v163, s26
	v_accvgpr_write_b32 a12, v167
	v_perm_b32 v167, v199, v161, s26
	v_accvgpr_write_b32 a39, v167
	v_perm_b32 v167, v198, v160, s26
	v_perm_b32 v160, v198, v160, s27
	;; [unrolled: 1-line block ×4, first 2 shown]
	v_accvgpr_write_b32 a34, v160
	v_perm_b32 v160, v218, v222, s27
	v_perm_b32 v175, v221, v225, s26
	;; [unrolled: 1-line block ×16, first 2 shown]
	v_accvgpr_write_b32 a33, v167
	v_accvgpr_write_b32 a16, v163
	v_perm_b32 v247, v200, v162, s27
	v_accvgpr_write_b32 a40, v161
	v_accvgpr_write_b32 a22, v160
.LBB37_15:                              ;   in Loop: Header=BB37_10 Depth=2
	s_or_b64 exec, exec, s[22:23]
	s_waitcnt vmcnt(11)
	v_lshrrev_b32_e32 v160, 16, v20
	v_accvgpr_write_b32 a46, v160
	s_waitcnt vmcnt(9)
	v_lshrrev_b32_e32 v160, 16, v40
	v_accvgpr_write_b32 a45, v160
	;; [unrolled: 3-line block ×5, first 2 shown]
	s_waitcnt vmcnt(1)
	v_lshrrev_b32_e32 v160, 16, v128
	s_waitcnt vmcnt(0)
	v_perm_b32 v229, v130, v158, s26
	v_perm_b32 v231, v130, v158, s27
	;; [unrolled: 1-line block ×3, first 2 shown]
	v_accvgpr_write_b32 a41, v160
	v_perm_b32 v160, v129, v157, s26
	v_perm_b32 v129, v129, v157, s27
	v_accvgpr_write_b32 a59, v130
	v_perm_b32 v130, v109, v149, s26
	v_perm_b32 v162, v110, v150, s27
	;; [unrolled: 1-line block ×6, first 2 shown]
	v_accvgpr_write_b32 a57, v109
	v_perm_b32 v109, v87, v147, s26
	v_accvgpr_write_b32 a60, v110
	v_perm_b32 v110, v85, v145, s26
	v_perm_b32 v87, v87, v147, s27
	v_perm_b32 v147, v86, v146, s27
	v_perm_b32 v85, v85, v145, s27
	v_perm_b32 v86, v62, v142, s26
	v_accvgpr_write_b32 a53, v61
	v_perm_b32 v61, v43, v103, s26
	v_perm_b32 v141, v42, v102, s26
	;; [unrolled: 1-line block ×8, first 2 shown]
	v_accvgpr_write_b32 a56, v160
	v_perm_b32 v131, v131, v159, s27
	v_accvgpr_write_b32 a58, v129
	v_perm_b32 v129, v111, v151, s26
	;; [unrolled: 2-line block ×3, first 2 shown]
	v_accvgpr_write_b32 a52, v110
	v_accvgpr_write_b32 a55, v85
	v_perm_b32 v85, v63, v143, s26
	v_accvgpr_write_b32 a61, v86
	v_perm_b32 v63, v63, v143, s27
	v_perm_b32 v142, v62, v142, s27
	v_accvgpr_write_b32 a51, v41
	v_perm_b32 v41, v23, v71, s26
	v_accvgpr_write_b32 a62, v42
	v_perm_b32 v101, v21, v69, s26
	v_perm_b32 v23, v23, v71, s27
	;; [unrolled: 1-line block ×4, first 2 shown]
.LBB37_16:                              ;   in Loop: Header=BB37_10 Depth=2
	s_or_b64 exec, exec, s[20:21]
	s_waitcnt vmcnt(11)
	v_lshrrev_b32_e32 v222, 16, v24
	v_lshrrev_b32_e32 v163, 16, v25
	s_waitcnt vmcnt(10)
	v_lshrrev_b32_e32 v251, 16, v12
	s_waitcnt vmcnt(9)
	v_lshrrev_b32_e32 v250, 16, v44
	v_lshrrev_b32_e32 v249, 16, v45
	s_waitcnt vmcnt(8)
	v_lshrrev_b32_e32 v248, 16, v32
	;; [unrolled: 5-line block ×6, first 2 shown]
	v_perm_b32 v224, v135, v123, s26
	v_perm_b32 v223, v134, v122, s26
	v_perm_b32 v135, v135, v123, s27
	v_perm_b32 v123, v134, v122, s27
	v_perm_b32 v134, v115, v99, s26
	v_perm_b32 v122, v114, v98, s26
	v_perm_b32 v115, v115, v99, s27
	v_perm_b32 v99, v114, v98, s27
	v_perm_b32 v114, v91, v79, s26
	v_perm_b32 v98, v90, v78, s26
	v_perm_b32 v91, v91, v79, s27
	v_perm_b32 v79, v90, v78, s27
	v_perm_b32 v90, v67, v55, s26
	v_perm_b32 v78, v66, v54, s26
	v_perm_b32 v67, v67, v55, s27
	v_perm_b32 v55, v66, v54, s27
	v_perm_b32 v66, v47, v35, s26
	v_perm_b32 v54, v46, v34, s26
	v_perm_b32 v47, v47, v35, s27
	v_perm_b32 v35, v46, v34, s27
	v_perm_b32 v46, v27, v15, s26
	v_perm_b32 v34, v26, v14, s26
	v_perm_b32 v27, v27, v15, s27
	v_perm_b32 v15, v26, v14, s27
.LBB37_17:                              ;   in Loop: Header=BB37_10 Depth=2
	s_or_b64 exec, exec, s[18:19]
	s_waitcnt vmcnt(11)
	v_lshrrev_b32_e32 v221, 16, v28
	v_lshrrev_b32_e32 v255, 16, v29
	v_lshrrev_b32_e32 v254, 16, v30
	s_waitcnt vmcnt(10)
	v_lshrrev_b32_e32 v253, 16, v16
	v_lshrrev_b32_e32 v252, 16, v17
	s_waitcnt vmcnt(9)
	v_lshrrev_b32_e32 v220, 16, v48
	v_lshrrev_b32_e32 v219, 16, v49
	v_lshrrev_b32_e32 v218, 16, v50
	s_waitcnt vmcnt(8)
	v_lshrrev_b32_e32 v217, 16, v36
	v_lshrrev_b32_e32 v216, 16, v37
	;; [unrolled: 7-line block ×6, first 2 shown]
	v_perm_b32 v42, v139, v127, s26
	v_perm_b32 v139, v139, v127, s27
	;; [unrolled: 1-line block ×12, first 2 shown]
.LBB37_18:                              ;   in Loop: Header=BB37_10 Depth=2
	s_or_b64 exec, exec, s[16:17]
	s_and_saveexec_b64 s[4:5], vcc
	s_cbranch_execz .LBB37_9
; %bb.19:                               ;   in Loop: Header=BB37_10 Depth=2
	v_lshlrev_b32_e32 v14, 16, v8
	v_lshlrev_b32_e32 v161, 16, v28
	v_lshlrev_b32_e32 v160, 16, v16
	v_and_b32_e32 v62, 0xffff0000, v8
	v_lshlrev_b32_e32 v159, 16, v221
	v_lshlrev_b32_e32 v86, 16, v9
	;; [unrolled: 1-line block ×3, first 2 shown]
	v_pk_mul_f32 v[160:161], v[14:15], v[160:161] op_sel_hi:[0,1]
	v_lshlrev_b32_e32 v151, 16, v29
	v_lshlrev_b32_e32 v150, 16, v17
	v_and_b32_e32 v102, 0xffff0000, v9
	v_pk_mul_f32 v[158:159], v[62:63], v[158:159] op_sel_hi:[0,1]
	v_pk_fma_f32 v[150:151], v[150:151], v[86:87], v[160:161] op_sel_hi:[1,0,1]
	v_lshlrev_b32_e32 v161, 16, v255
	v_lshlrev_b32_e32 v160, 16, v252
	;; [unrolled: 1-line block ×3, first 2 shown]
	v_pk_fma_f32 v[158:159], v[160:161], v[102:103], v[158:159] op_sel_hi:[1,0,1]
	v_lshlrev_b32_e32 v161, 16, v30
	v_lshlrev_b32_e32 v160, 16, v18
	v_and_b32_e32 v130, 0xffff0000, v10
	v_pk_fma_f32 v[150:151], v[160:161], v[110:111], v[150:151] op_sel_hi:[1,0,1]
	v_and_b32_e32 v160, 0xffff0000, v18
	v_lshlrev_b32_e32 v161, 16, v254
	v_lshlrev_b32_e32 v180, 16, v11
	v_pk_fma_f32 v[158:159], v[160:161], v[130:131], v[158:159] op_sel_hi:[1,0,1]
	v_and_b32_e32 v161, 0xffff0000, v39
	v_lshlrev_b32_e32 v160, 16, v39
	v_and_b32_e32 v146, 0xffff0000, v11
	v_pk_fma_f32 v[150:151], v[160:161], v[180:181], v[150:151] op_sel_hi:[1,0,1]
	v_and_b32_e32 v161, 0xffff0000, v19
	v_lshlrev_b32_e32 v160, 16, v19
	v_pk_fma_f32 v[158:159], v[160:161], v[146:147], v[158:159] op_sel_hi:[1,0,1]
	v_lshlrev_b32_e32 v161, 16, v49
	v_pk_add_f32 v[150:151], v[150:151], v[158:159]
	v_lshlrev_b32_e32 v159, 16, v220
	v_pk_add_f32 v[192:193], v[150:151], v[192:193]
	v_lshlrev_b32_e32 v151, 16, v48
	v_lshlrev_b32_e32 v150, 16, v36
	v_lshlrev_b32_e32 v158, 16, v217
	v_pk_mul_f32 v[150:151], v[14:15], v[150:151] op_sel_hi:[0,1]
	v_lshlrev_b32_e32 v160, 16, v37
	v_pk_mul_f32 v[158:159], v[62:63], v[158:159] op_sel_hi:[0,1]
	v_pk_fma_f32 v[150:151], v[160:161], v[86:87], v[150:151] op_sel_hi:[1,0,1]
	v_lshlrev_b32_e32 v161, 16, v219
	v_lshlrev_b32_e32 v160, 16, v216
	v_pk_fma_f32 v[158:159], v[160:161], v[102:103], v[158:159] op_sel_hi:[1,0,1]
	v_lshlrev_b32_e32 v161, 16, v50
	v_lshlrev_b32_e32 v160, 16, v38
	v_pk_fma_f32 v[150:151], v[160:161], v[110:111], v[150:151] op_sel_hi:[1,0,1]
	v_and_b32_e32 v160, 0xffff0000, v38
	v_lshlrev_b32_e32 v161, 16, v218
	v_pk_fma_f32 v[158:159], v[160:161], v[130:131], v[158:159] op_sel_hi:[1,0,1]
	v_and_b32_e32 v161, 0xffff0000, v59
	v_lshlrev_b32_e32 v160, 16, v59
	v_pk_fma_f32 v[150:151], v[160:161], v[180:181], v[150:151] op_sel_hi:[1,0,1]
	v_and_b32_e32 v161, 0xffff0000, v51
	v_lshlrev_b32_e32 v160, 16, v51
	v_pk_fma_f32 v[158:159], v[160:161], v[146:147], v[158:159] op_sel_hi:[1,0,1]
	v_lshlrev_b32_e32 v161, 16, v73
	v_pk_add_f32 v[150:151], v[150:151], v[158:159]
	v_lshlrev_b32_e32 v159, 16, v215
	v_pk_add_f32 v[190:191], v[150:151], v[190:191]
	v_lshlrev_b32_e32 v151, 16, v72
	v_lshlrev_b32_e32 v150, 16, v56
	v_lshlrev_b32_e32 v158, 16, v212
	v_pk_mul_f32 v[150:151], v[14:15], v[150:151] op_sel_hi:[0,1]
	v_lshlrev_b32_e32 v160, 16, v57
	v_pk_mul_f32 v[158:159], v[62:63], v[158:159] op_sel_hi:[0,1]
	v_pk_fma_f32 v[150:151], v[160:161], v[86:87], v[150:151] op_sel_hi:[1,0,1]
	v_lshlrev_b32_e32 v161, 16, v214
	v_lshlrev_b32_e32 v160, 16, v211
	v_pk_fma_f32 v[158:159], v[160:161], v[102:103], v[158:159] op_sel_hi:[1,0,1]
	v_lshlrev_b32_e32 v161, 16, v74
	v_lshlrev_b32_e32 v160, 16, v58
	v_pk_fma_f32 v[150:151], v[160:161], v[110:111], v[150:151] op_sel_hi:[1,0,1]
	v_and_b32_e32 v160, 0xffff0000, v58
	v_lshlrev_b32_e32 v161, 16, v213
	v_pk_fma_f32 v[158:159], v[160:161], v[130:131], v[158:159] op_sel_hi:[1,0,1]
	v_and_b32_e32 v161, 0xffff0000, v83
	v_lshlrev_b32_e32 v160, 16, v83
	;; [unrolled: 26-line block ×5, first 2 shown]
	v_pk_fma_f32 v[150:151], v[160:161], v[180:181], v[150:151] op_sel_hi:[1,0,1]
	v_and_b32_e32 v161, 0xffff0000, v139
	v_lshlrev_b32_e32 v160, 16, v139
	v_pk_fma_f32 v[158:159], v[160:161], v[146:147], v[158:159] op_sel_hi:[1,0,1]
	v_cmp_gt_u32_e32 vcc, s6, v196
	v_pk_add_f32 v[150:151], v[150:151], v[158:159]
	s_nop 0
	v_pk_add_f32 v[182:183], v[150:151], v[182:183]
	s_and_saveexec_b64 s[16:17], vcc
	s_cbranch_execz .LBB37_8
; %bb.20:                               ;   in Loop: Header=BB37_10 Depth=2
	v_lshlrev_b32_e32 v62, 16, v4
	v_lshlrev_b32_e32 v159, 16, v24
	;; [unrolled: 1-line block ×3, first 2 shown]
	v_and_b32_e32 v86, 0xffff0000, v4
	v_lshlrev_b32_e32 v102, 16, v5
	v_pk_mul_f32 v[158:159], v[62:63], v[158:159] op_sel_hi:[0,1]
	v_lshlrev_b32_e32 v161, 16, v222
	v_lshlrev_b32_e32 v160, 16, v251
	;; [unrolled: 1-line block ×4, first 2 shown]
	v_and_b32_e32 v110, 0xffff0000, v5
	v_pk_mul_f32 v[160:161], v[86:87], v[160:161] op_sel_hi:[0,1]
	v_pk_fma_f32 v[158:159], v[166:167], v[102:103], v[158:159] op_sel_hi:[1,0,1]
	v_and_b32_e32 v166, 0xffff0000, v13
	v_lshlrev_b32_e32 v167, 16, v163
	v_lshlrev_b32_e32 v130, 16, v6
	v_pk_fma_f32 v[160:161], v[166:167], v[110:111], v[160:161] op_sel_hi:[1,0,1]
	v_and_b32_e32 v167, 0xffff0000, v34
	v_lshlrev_b32_e32 v166, 16, v34
	v_and_b32_e32 v146, 0xffff0000, v6
	v_pk_fma_f32 v[158:159], v[166:167], v[130:131], v[158:159] op_sel_hi:[1,0,1]
	v_and_b32_e32 v167, 0xffff0000, v15
	v_lshlrev_b32_e32 v166, 16, v15
	v_lshlrev_b32_e32 v150, 16, v7
	v_pk_fma_f32 v[160:161], v[166:167], v[146:147], v[160:161] op_sel_hi:[1,0,1]
	v_and_b32_e32 v167, 0xffff0000, v46
	v_lshlrev_b32_e32 v166, 16, v46
	v_and_b32_e32 v14, 0xffff0000, v7
	v_pk_fma_f32 v[158:159], v[166:167], v[150:151], v[158:159] op_sel_hi:[1,0,1]
	v_and_b32_e32 v167, 0xffff0000, v27
	v_lshlrev_b32_e32 v166, 16, v27
	v_pk_fma_f32 v[160:161], v[166:167], v[14:15], v[160:161] op_sel_hi:[1,0,1]
	v_lshlrev_b32_e32 v167, 16, v45
	v_pk_add_f32 v[158:159], v[158:159], v[160:161]
	v_lshlrev_b32_e32 v161, 16, v250
	v_pk_add_f32 v[192:193], v[158:159], v[192:193]
	v_lshlrev_b32_e32 v159, 16, v44
	v_lshlrev_b32_e32 v158, 16, v32
	v_pk_mul_f32 v[158:159], v[62:63], v[158:159] op_sel_hi:[0,1]
	v_lshlrev_b32_e32 v160, 16, v248
	v_lshlrev_b32_e32 v166, 16, v33
	v_pk_mul_f32 v[160:161], v[86:87], v[160:161] op_sel_hi:[0,1]
	v_pk_fma_f32 v[158:159], v[166:167], v[102:103], v[158:159] op_sel_hi:[1,0,1]
	v_and_b32_e32 v166, 0xffff0000, v33
	v_lshlrev_b32_e32 v167, 16, v249
	v_pk_fma_f32 v[160:161], v[166:167], v[110:111], v[160:161] op_sel_hi:[1,0,1]
	v_and_b32_e32 v167, 0xffff0000, v54
	v_lshlrev_b32_e32 v166, 16, v54
	v_pk_fma_f32 v[158:159], v[166:167], v[130:131], v[158:159] op_sel_hi:[1,0,1]
	v_and_b32_e32 v167, 0xffff0000, v35
	v_lshlrev_b32_e32 v166, 16, v35
	v_pk_fma_f32 v[160:161], v[166:167], v[146:147], v[160:161] op_sel_hi:[1,0,1]
	v_and_b32_e32 v167, 0xffff0000, v66
	v_lshlrev_b32_e32 v166, 16, v66
	v_pk_fma_f32 v[158:159], v[166:167], v[150:151], v[158:159] op_sel_hi:[1,0,1]
	v_and_b32_e32 v167, 0xffff0000, v47
	v_lshlrev_b32_e32 v166, 16, v47
	v_pk_fma_f32 v[160:161], v[166:167], v[14:15], v[160:161] op_sel_hi:[1,0,1]
	v_lshlrev_b32_e32 v167, 16, v65
	v_pk_add_f32 v[158:159], v[158:159], v[160:161]
	v_lshlrev_b32_e32 v161, 16, v245
	v_pk_add_f32 v[190:191], v[158:159], v[190:191]
	v_lshlrev_b32_e32 v159, 16, v64
	v_lshlrev_b32_e32 v158, 16, v52
	v_pk_mul_f32 v[158:159], v[62:63], v[158:159] op_sel_hi:[0,1]
	v_lshlrev_b32_e32 v160, 16, v241
	v_lshlrev_b32_e32 v166, 16, v53
	v_pk_mul_f32 v[160:161], v[86:87], v[160:161] op_sel_hi:[0,1]
	v_pk_fma_f32 v[158:159], v[166:167], v[102:103], v[158:159] op_sel_hi:[1,0,1]
	v_and_b32_e32 v166, 0xffff0000, v53
	v_lshlrev_b32_e32 v167, 16, v243
	v_pk_fma_f32 v[160:161], v[166:167], v[110:111], v[160:161] op_sel_hi:[1,0,1]
	v_and_b32_e32 v167, 0xffff0000, v78
	v_lshlrev_b32_e32 v166, 16, v78
	v_pk_fma_f32 v[158:159], v[166:167], v[130:131], v[158:159] op_sel_hi:[1,0,1]
	v_and_b32_e32 v167, 0xffff0000, v55
	v_lshlrev_b32_e32 v166, 16, v55
	v_pk_fma_f32 v[160:161], v[166:167], v[146:147], v[160:161] op_sel_hi:[1,0,1]
	v_and_b32_e32 v167, 0xffff0000, v90
	v_lshlrev_b32_e32 v166, 16, v90
	v_pk_fma_f32 v[158:159], v[166:167], v[150:151], v[158:159] op_sel_hi:[1,0,1]
	v_and_b32_e32 v167, 0xffff0000, v67
	v_lshlrev_b32_e32 v166, 16, v67
	v_pk_fma_f32 v[160:161], v[166:167], v[14:15], v[160:161] op_sel_hi:[1,0,1]
	v_lshlrev_b32_e32 v167, 16, v89
	v_pk_add_f32 v[158:159], v[158:159], v[160:161]
	v_lshlrev_b32_e32 v161, 16, v238
	v_pk_add_f32 v[188:189], v[158:159], v[188:189]
	v_lshlrev_b32_e32 v159, 16, v88
	v_lshlrev_b32_e32 v158, 16, v76
	v_pk_mul_f32 v[158:159], v[62:63], v[158:159] op_sel_hi:[0,1]
	v_lshlrev_b32_e32 v160, 16, v234
	v_lshlrev_b32_e32 v166, 16, v77
	v_pk_mul_f32 v[160:161], v[86:87], v[160:161] op_sel_hi:[0,1]
	v_pk_fma_f32 v[158:159], v[166:167], v[102:103], v[158:159] op_sel_hi:[1,0,1]
	v_and_b32_e32 v166, 0xffff0000, v77
	v_lshlrev_b32_e32 v167, 16, v236
	v_pk_fma_f32 v[160:161], v[166:167], v[110:111], v[160:161] op_sel_hi:[1,0,1]
	v_and_b32_e32 v167, 0xffff0000, v98
	v_lshlrev_b32_e32 v166, 16, v98
	v_pk_fma_f32 v[158:159], v[166:167], v[130:131], v[158:159] op_sel_hi:[1,0,1]
	v_and_b32_e32 v167, 0xffff0000, v79
	v_lshlrev_b32_e32 v166, 16, v79
	v_pk_fma_f32 v[160:161], v[166:167], v[146:147], v[160:161] op_sel_hi:[1,0,1]
	v_and_b32_e32 v167, 0xffff0000, v114
	v_lshlrev_b32_e32 v166, 16, v114
	v_pk_fma_f32 v[158:159], v[166:167], v[150:151], v[158:159] op_sel_hi:[1,0,1]
	v_and_b32_e32 v167, 0xffff0000, v91
	v_lshlrev_b32_e32 v166, 16, v91
	v_pk_fma_f32 v[160:161], v[166:167], v[14:15], v[160:161] op_sel_hi:[1,0,1]
	v_lshlrev_b32_e32 v167, 16, v113
	v_pk_add_f32 v[158:159], v[158:159], v[160:161]
	v_lshlrev_b32_e32 v161, 16, v232
	v_pk_add_f32 v[186:187], v[158:159], v[186:187]
	v_lshlrev_b32_e32 v159, 16, v112
	v_lshlrev_b32_e32 v158, 16, v96
	v_pk_mul_f32 v[158:159], v[62:63], v[158:159] op_sel_hi:[0,1]
	v_lshlrev_b32_e32 v160, 16, v143
	v_lshlrev_b32_e32 v166, 16, v97
	v_pk_mul_f32 v[160:161], v[86:87], v[160:161] op_sel_hi:[0,1]
	v_pk_fma_f32 v[158:159], v[166:167], v[102:103], v[158:159] op_sel_hi:[1,0,1]
	v_and_b32_e32 v166, 0xffff0000, v97
	v_lshlrev_b32_e32 v167, 16, v197
	v_pk_fma_f32 v[160:161], v[166:167], v[110:111], v[160:161] op_sel_hi:[1,0,1]
	v_and_b32_e32 v167, 0xffff0000, v122
	v_lshlrev_b32_e32 v166, 16, v122
	v_pk_fma_f32 v[158:159], v[166:167], v[130:131], v[158:159] op_sel_hi:[1,0,1]
	v_and_b32_e32 v167, 0xffff0000, v99
	v_lshlrev_b32_e32 v166, 16, v99
	v_pk_fma_f32 v[160:161], v[166:167], v[146:147], v[160:161] op_sel_hi:[1,0,1]
	v_and_b32_e32 v167, 0xffff0000, v134
	v_lshlrev_b32_e32 v166, 16, v134
	v_pk_fma_f32 v[158:159], v[166:167], v[150:151], v[158:159] op_sel_hi:[1,0,1]
	v_and_b32_e32 v167, 0xffff0000, v115
	v_lshlrev_b32_e32 v166, 16, v115
	v_pk_fma_f32 v[160:161], v[166:167], v[14:15], v[160:161] op_sel_hi:[1,0,1]
	v_lshlrev_b32_e32 v167, 16, v133
	v_pk_add_f32 v[158:159], v[158:159], v[160:161]
	v_lshlrev_b32_e32 v161, 16, v71
	v_pk_add_f32 v[184:185], v[158:159], v[184:185]
	v_lshlrev_b32_e32 v159, 16, v132
	v_lshlrev_b32_e32 v158, 16, v120
	v_pk_mul_f32 v[158:159], v[62:63], v[158:159] op_sel_hi:[0,1]
	v_lshlrev_b32_e32 v160, 16, v22
	v_lshlrev_b32_e32 v166, 16, v121
	v_pk_mul_f32 v[160:161], v[86:87], v[160:161] op_sel_hi:[0,1]
	v_pk_fma_f32 v[158:159], v[166:167], v[102:103], v[158:159] op_sel_hi:[1,0,1]
	v_and_b32_e32 v166, 0xffff0000, v121
	v_lshlrev_b32_e32 v167, 16, v69
	v_pk_fma_f32 v[160:161], v[166:167], v[110:111], v[160:161] op_sel_hi:[1,0,1]
	v_and_b32_e32 v167, 0xffff0000, v223
	v_lshlrev_b32_e32 v166, 16, v223
	v_pk_fma_f32 v[158:159], v[166:167], v[130:131], v[158:159] op_sel_hi:[1,0,1]
	v_and_b32_e32 v167, 0xffff0000, v123
	v_lshlrev_b32_e32 v166, 16, v123
	v_pk_fma_f32 v[160:161], v[166:167], v[146:147], v[160:161] op_sel_hi:[1,0,1]
	v_and_b32_e32 v167, 0xffff0000, v224
	v_lshlrev_b32_e32 v166, 16, v224
	v_pk_fma_f32 v[150:151], v[166:167], v[150:151], v[158:159] op_sel_hi:[1,0,1]
	v_and_b32_e32 v159, 0xffff0000, v135
	v_lshlrev_b32_e32 v158, 16, v135
	v_pk_fma_f32 v[158:159], v[158:159], v[14:15], v[160:161] op_sel_hi:[1,0,1]
	v_add_u32_e32 v14, 0x400, v194
	v_pk_add_f32 v[150:151], v[150:151], v[158:159]
	v_cmp_gt_u32_e32 vcc, s6, v14
	v_pk_add_f32 v[182:183], v[150:151], v[182:183]
	s_and_saveexec_b64 s[18:19], vcc
	s_cbranch_execz .LBB37_7
; %bb.21:                               ;   in Loop: Header=BB37_10 Depth=2
	v_lshlrev_b32_e32 v62, 16, v0
	v_lshlrev_b32_e32 v159, 16, v20
	;; [unrolled: 1-line block ×3, first 2 shown]
	v_accvgpr_read_b32 v21, a46
	v_and_b32_e32 v86, 0xffff0000, v0
	v_lshlrev_b32_e32 v102, 16, v1
	v_pk_mul_f32 v[158:159], v[62:63], v[158:159] op_sel_hi:[0,1]
	v_and_b32_e32 v160, 0xffff0000, v68
	v_lshlrev_b32_e32 v161, 16, v21
	v_and_b32_e32 v167, 0xffff0000, v101
	v_lshlrev_b32_e32 v166, 16, v101
	v_and_b32_e32 v110, 0xffff0000, v1
	v_pk_mul_f32 v[160:161], v[86:87], v[160:161] op_sel_hi:[0,1]
	v_pk_fma_f32 v[158:159], v[166:167], v[102:103], v[158:159] op_sel_hi:[1,0,1]
	v_and_b32_e32 v167, 0xffff0000, v149
	v_lshlrev_b32_e32 v166, 16, v149
	v_accvgpr_read_b32 v21, a62
	v_lshlrev_b32_e32 v130, 16, v2
	v_pk_fma_f32 v[160:161], v[166:167], v[110:111], v[160:161] op_sel_hi:[1,0,1]
	v_and_b32_e32 v167, 0xffff0000, v21
	v_lshlrev_b32_e32 v166, 16, v21
	v_and_b32_e32 v146, 0xffff0000, v2
	v_pk_fma_f32 v[158:159], v[166:167], v[130:131], v[158:159] op_sel_hi:[1,0,1]
	v_and_b32_e32 v167, 0xffff0000, v70
	v_lshlrev_b32_e32 v166, 16, v70
	v_lshlrev_b32_e32 v150, 16, v3
	v_pk_fma_f32 v[160:161], v[166:167], v[146:147], v[160:161] op_sel_hi:[1,0,1]
	v_and_b32_e32 v167, 0xffff0000, v41
	v_lshlrev_b32_e32 v166, 16, v41
	v_and_b32_e32 v14, 0xffff0000, v3
	v_pk_fma_f32 v[158:159], v[166:167], v[150:151], v[158:159] op_sel_hi:[1,0,1]
	v_and_b32_e32 v167, 0xffff0000, v23
	v_lshlrev_b32_e32 v166, 16, v23
	v_pk_fma_f32 v[160:161], v[166:167], v[14:15], v[160:161] op_sel_hi:[1,0,1]
	v_accvgpr_read_b32 v21, a45
	v_pk_add_f32 v[158:159], v[158:159], v[160:161]
	v_and_b32_e32 v160, 0xffff0000, v100
	v_pk_add_f32 v[192:193], v[158:159], v[192:193]
	v_lshlrev_b32_e32 v159, 16, v40
	v_lshlrev_b32_e32 v158, 16, v100
	v_pk_mul_f32 v[158:159], v[62:63], v[158:159] op_sel_hi:[0,1]
	v_lshlrev_b32_e32 v161, 16, v21
	v_and_b32_e32 v167, 0xffff0000, v145
	v_lshlrev_b32_e32 v166, 16, v145
	v_accvgpr_read_b32 v21, a51
	v_pk_mul_f32 v[160:161], v[86:87], v[160:161] op_sel_hi:[0,1]
	v_pk_fma_f32 v[158:159], v[166:167], v[102:103], v[158:159] op_sel_hi:[1,0,1]
	v_and_b32_e32 v167, 0xffff0000, v21
	v_lshlrev_b32_e32 v166, 16, v21
	v_pk_fma_f32 v[160:161], v[166:167], v[110:111], v[160:161] op_sel_hi:[1,0,1]
	v_and_b32_e32 v167, 0xffff0000, v141
	v_lshlrev_b32_e32 v166, 16, v141
	;; [unrolled: 3-line block ×5, first 2 shown]
	v_pk_fma_f32 v[160:161], v[166:167], v[14:15], v[160:161] op_sel_hi:[1,0,1]
	v_accvgpr_read_b32 v21, a44
	v_pk_add_f32 v[158:159], v[158:159], v[160:161]
	v_and_b32_e32 v160, 0xffff0000, v140
	v_pk_add_f32 v[190:191], v[158:159], v[190:191]
	v_lshlrev_b32_e32 v159, 16, v60
	v_lshlrev_b32_e32 v158, 16, v140
	v_pk_mul_f32 v[158:159], v[62:63], v[158:159] op_sel_hi:[0,1]
	v_lshlrev_b32_e32 v161, 16, v21
	v_and_b32_e32 v167, 0xffff0000, v157
	v_lshlrev_b32_e32 v166, 16, v157
	v_accvgpr_read_b32 v21, a53
	v_pk_mul_f32 v[160:161], v[86:87], v[160:161] op_sel_hi:[0,1]
	v_pk_fma_f32 v[158:159], v[166:167], v[102:103], v[158:159] op_sel_hi:[1,0,1]
	v_and_b32_e32 v167, 0xffff0000, v21
	v_lshlrev_b32_e32 v166, 16, v21
	v_accvgpr_read_b32 v21, a61
	v_pk_fma_f32 v[160:161], v[166:167], v[110:111], v[160:161] op_sel_hi:[1,0,1]
	v_and_b32_e32 v167, 0xffff0000, v21
	v_lshlrev_b32_e32 v166, 16, v21
	v_pk_fma_f32 v[158:159], v[166:167], v[130:131], v[158:159] op_sel_hi:[1,0,1]
	v_and_b32_e32 v167, 0xffff0000, v142
	v_lshlrev_b32_e32 v166, 16, v142
	v_pk_fma_f32 v[160:161], v[166:167], v[146:147], v[160:161] op_sel_hi:[1,0,1]
	v_and_b32_e32 v167, 0xffff0000, v85
	v_lshlrev_b32_e32 v166, 16, v85
	v_pk_fma_f32 v[158:159], v[166:167], v[150:151], v[158:159] op_sel_hi:[1,0,1]
	v_and_b32_e32 v167, 0xffff0000, v63
	v_lshlrev_b32_e32 v166, 16, v63
	v_pk_fma_f32 v[160:161], v[166:167], v[14:15], v[160:161] op_sel_hi:[1,0,1]
	v_accvgpr_read_b32 v21, a43
	v_pk_add_f32 v[158:159], v[158:159], v[160:161]
	v_lshlrev_b32_e32 v161, 16, v21
	v_pk_add_f32 v[188:189], v[158:159], v[188:189]
	v_lshlrev_b32_e32 v159, 16, v84
	v_lshlrev_b32_e32 v158, 16, v144
	v_accvgpr_read_b32 v21, a52
	v_pk_mul_f32 v[158:159], v[62:63], v[158:159] op_sel_hi:[0,1]
	v_and_b32_e32 v160, 0xffff0000, v144
	v_and_b32_e32 v167, 0xffff0000, v21
	v_lshlrev_b32_e32 v166, 16, v21
	v_accvgpr_read_b32 v21, a55
	v_pk_mul_f32 v[160:161], v[86:87], v[160:161] op_sel_hi:[0,1]
	v_pk_fma_f32 v[158:159], v[166:167], v[102:103], v[158:159] op_sel_hi:[1,0,1]
	v_and_b32_e32 v167, 0xffff0000, v21
	v_lshlrev_b32_e32 v166, 16, v21
	v_accvgpr_read_b32 v21, a60
	v_pk_fma_f32 v[160:161], v[166:167], v[110:111], v[160:161] op_sel_hi:[1,0,1]
	v_and_b32_e32 v167, 0xffff0000, v21
	v_lshlrev_b32_e32 v166, 16, v21
	v_pk_fma_f32 v[158:159], v[166:167], v[130:131], v[158:159] op_sel_hi:[1,0,1]
	v_and_b32_e32 v167, 0xffff0000, v147
	v_lshlrev_b32_e32 v166, 16, v147
	v_pk_fma_f32 v[160:161], v[166:167], v[146:147], v[160:161] op_sel_hi:[1,0,1]
	v_and_b32_e32 v167, 0xffff0000, v109
	v_lshlrev_b32_e32 v166, 16, v109
	v_pk_fma_f32 v[158:159], v[166:167], v[150:151], v[158:159] op_sel_hi:[1,0,1]
	v_and_b32_e32 v167, 0xffff0000, v87
	v_lshlrev_b32_e32 v166, 16, v87
	v_pk_fma_f32 v[160:161], v[166:167], v[14:15], v[160:161] op_sel_hi:[1,0,1]
	v_accvgpr_read_b32 v21, a42
	v_pk_add_f32 v[158:159], v[158:159], v[160:161]
	v_lshlrev_b32_e32 v161, 16, v21
	v_pk_add_f32 v[186:187], v[158:159], v[186:187]
	v_lshlrev_b32_e32 v159, 16, v108
	v_lshlrev_b32_e32 v158, 16, v148
	v_accvgpr_read_b32 v21, a54
	v_pk_mul_f32 v[158:159], v[62:63], v[158:159] op_sel_hi:[0,1]
	v_and_b32_e32 v160, 0xffff0000, v148
	;; [unrolled: 30-line block ×3, first 2 shown]
	v_and_b32_e32 v167, 0xffff0000, v21
	v_lshlrev_b32_e32 v166, 16, v21
	v_accvgpr_read_b32 v21, a58
	v_pk_mul_f32 v[160:161], v[86:87], v[160:161] op_sel_hi:[0,1]
	v_pk_fma_f32 v[158:159], v[166:167], v[102:103], v[158:159] op_sel_hi:[1,0,1]
	v_and_b32_e32 v167, 0xffff0000, v21
	v_lshlrev_b32_e32 v166, 16, v21
	v_pk_fma_f32 v[160:161], v[166:167], v[110:111], v[160:161] op_sel_hi:[1,0,1]
	v_and_b32_e32 v167, 0xffff0000, v229
	v_lshlrev_b32_e32 v166, 16, v229
	;; [unrolled: 3-line block ×5, first 2 shown]
	v_pk_fma_f32 v[158:159], v[158:159], v[14:15], v[160:161] op_sel_hi:[1,0,1]
	v_add_u32_e32 v14, 0x600, v194
	v_pk_add_f32 v[150:151], v[150:151], v[158:159]
	v_cmp_gt_u32_e32 vcc, s6, v14
	v_pk_add_f32 v[182:183], v[150:151], v[182:183]
	s_and_saveexec_b64 s[20:21], vcc
	s_cbranch_execz .LBB37_6
; %bb.22:                               ;   in Loop: Header=BB37_10 Depth=2
	v_accvgpr_read_b32 v21, a17
	v_and_b32_e32 v159, 0xffff0000, v21
	v_lshlrev_b32_e32 v158, 16, v21
	v_accvgpr_read_b32 v21, a22
	v_lshlrev_b32_e32 v62, 16, v152
	v_and_b32_e32 v161, 0xffff0000, v21
	v_lshlrev_b32_e32 v160, 16, v21
	v_accvgpr_read_b32 v21, a23
	v_and_b32_e32 v86, 0xffff0000, v152
	v_lshlrev_b32_e32 v102, 16, v153
	v_pk_mul_f32 v[158:159], v[62:63], v[158:159] op_sel_hi:[0,1]
	v_and_b32_e32 v167, 0xffff0000, v21
	v_lshlrev_b32_e32 v166, 16, v21
	v_accvgpr_read_b32 v21, a25
	v_and_b32_e32 v110, 0xffff0000, v153
	v_pk_mul_f32 v[160:161], v[86:87], v[160:161] op_sel_hi:[0,1]
	v_pk_fma_f32 v[158:159], v[166:167], v[102:103], v[158:159] op_sel_hi:[1,0,1]
	v_and_b32_e32 v167, 0xffff0000, v21
	v_lshlrev_b32_e32 v166, 16, v21
	v_lshlrev_b32_e32 v130, 16, v154
	v_pk_fma_f32 v[160:161], v[166:167], v[110:111], v[160:161] op_sel_hi:[1,0,1]
	v_and_b32_e32 v167, 0xffff0000, v226
	v_lshlrev_b32_e32 v166, 16, v226
	v_and_b32_e32 v146, 0xffff0000, v154
	v_pk_fma_f32 v[158:159], v[166:167], v[130:131], v[158:159] op_sel_hi:[1,0,1]
	v_and_b32_e32 v167, 0xffff0000, v235
	v_lshlrev_b32_e32 v166, 16, v235
	v_lshlrev_b32_e32 v150, 16, v155
	v_pk_fma_f32 v[160:161], v[166:167], v[146:147], v[160:161] op_sel_hi:[1,0,1]
	v_and_b32_e32 v167, 0xffff0000, v175
	v_lshlrev_b32_e32 v166, 16, v175
	v_accvgpr_read_b32 v21, a9
	v_and_b32_e32 v14, 0xffff0000, v155
	v_pk_fma_f32 v[158:159], v[166:167], v[150:151], v[158:159] op_sel_hi:[1,0,1]
	v_and_b32_e32 v167, 0xffff0000, v21
	v_lshlrev_b32_e32 v166, 16, v21
	v_pk_fma_f32 v[160:161], v[166:167], v[14:15], v[160:161] op_sel_hi:[1,0,1]
	v_accvgpr_read_b32 v21, a18
	v_pk_add_f32 v[158:159], v[158:159], v[160:161]
	s_nop 0
	v_pk_add_f32 v[192:193], v[158:159], v[192:193]
	v_and_b32_e32 v159, 0xffff0000, v21
	v_lshlrev_b32_e32 v158, 16, v21
	v_accvgpr_read_b32 v21, a19
	v_and_b32_e32 v161, 0xffff0000, v21
	v_lshlrev_b32_e32 v160, 16, v21
	v_accvgpr_read_b32 v21, a27
	v_pk_mul_f32 v[158:159], v[62:63], v[158:159] op_sel_hi:[0,1]
	v_and_b32_e32 v167, 0xffff0000, v21
	v_lshlrev_b32_e32 v166, 16, v21
	v_accvgpr_read_b32 v21, a28
	v_pk_mul_f32 v[160:161], v[86:87], v[160:161] op_sel_hi:[0,1]
	v_pk_fma_f32 v[158:159], v[166:167], v[102:103], v[158:159] op_sel_hi:[1,0,1]
	v_and_b32_e32 v167, 0xffff0000, v21
	v_lshlrev_b32_e32 v166, 16, v21
	v_pk_fma_f32 v[160:161], v[166:167], v[110:111], v[160:161] op_sel_hi:[1,0,1]
	v_and_b32_e32 v167, 0xffff0000, v228
	v_lshlrev_b32_e32 v166, 16, v228
	v_pk_fma_f32 v[158:159], v[166:167], v[130:131], v[158:159] op_sel_hi:[1,0,1]
	v_and_b32_e32 v167, 0xffff0000, v239
	v_lshlrev_b32_e32 v166, 16, v239
	v_pk_fma_f32 v[160:161], v[166:167], v[146:147], v[160:161] op_sel_hi:[1,0,1]
	v_and_b32_e32 v167, 0xffff0000, v177
	v_lshlrev_b32_e32 v166, 16, v177
	v_accvgpr_read_b32 v21, a11
	v_pk_fma_f32 v[158:159], v[166:167], v[150:151], v[158:159] op_sel_hi:[1,0,1]
	v_and_b32_e32 v167, 0xffff0000, v21
	v_lshlrev_b32_e32 v166, 16, v21
	v_pk_fma_f32 v[160:161], v[166:167], v[14:15], v[160:161] op_sel_hi:[1,0,1]
	v_accvgpr_read_b32 v21, a20
	v_pk_add_f32 v[158:159], v[158:159], v[160:161]
	s_nop 0
	v_pk_add_f32 v[190:191], v[158:159], v[190:191]
	v_and_b32_e32 v159, 0xffff0000, v21
	v_lshlrev_b32_e32 v158, 16, v21
	v_accvgpr_read_b32 v21, a21
	v_and_b32_e32 v161, 0xffff0000, v21
	v_lshlrev_b32_e32 v160, 16, v21
	v_accvgpr_read_b32 v21, a31
	v_pk_mul_f32 v[158:159], v[62:63], v[158:159] op_sel_hi:[0,1]
	v_and_b32_e32 v167, 0xffff0000, v21
	v_lshlrev_b32_e32 v166, 16, v21
	v_accvgpr_read_b32 v21, a32
	v_pk_mul_f32 v[160:161], v[86:87], v[160:161] op_sel_hi:[0,1]
	v_pk_fma_f32 v[158:159], v[166:167], v[102:103], v[158:159] op_sel_hi:[1,0,1]
	v_and_b32_e32 v167, 0xffff0000, v21
	v_lshlrev_b32_e32 v166, 16, v21
	v_pk_fma_f32 v[160:161], v[166:167], v[110:111], v[160:161] op_sel_hi:[1,0,1]
	v_and_b32_e32 v167, 0xffff0000, v230
	v_lshlrev_b32_e32 v166, 16, v230
	v_pk_fma_f32 v[158:159], v[166:167], v[130:131], v[158:159] op_sel_hi:[1,0,1]
	v_and_b32_e32 v167, 0xffff0000, v242
	v_lshlrev_b32_e32 v166, 16, v242
	v_pk_fma_f32 v[160:161], v[166:167], v[146:147], v[160:161] op_sel_hi:[1,0,1]
	v_and_b32_e32 v167, 0xffff0000, v179
	v_lshlrev_b32_e32 v166, 16, v179
	v_accvgpr_read_b32 v21, a13
	;; [unrolled: 32-line block ×3, first 2 shown]
	v_pk_fma_f32 v[158:159], v[166:167], v[150:151], v[158:159] op_sel_hi:[1,0,1]
	v_and_b32_e32 v167, 0xffff0000, v21
	v_lshlrev_b32_e32 v166, 16, v21
	v_pk_fma_f32 v[160:161], v[166:167], v[14:15], v[160:161] op_sel_hi:[1,0,1]
	v_accvgpr_read_b32 v21, a29
	v_pk_add_f32 v[158:159], v[158:159], v[160:161]
	s_nop 0
	v_pk_add_f32 v[186:187], v[158:159], v[186:187]
	v_and_b32_e32 v159, 0xffff0000, v21
	v_lshlrev_b32_e32 v158, 16, v21
	v_accvgpr_read_b32 v21, a30
	v_and_b32_e32 v161, 0xffff0000, v21
	v_lshlrev_b32_e32 v160, 16, v21
	v_accvgpr_read_b32 v21, a37
	v_pk_mul_f32 v[158:159], v[62:63], v[158:159] op_sel_hi:[0,1]
	v_and_b32_e32 v167, 0xffff0000, v21
	v_lshlrev_b32_e32 v166, 16, v21
	v_accvgpr_read_b32 v21, a38
	v_pk_mul_f32 v[160:161], v[86:87], v[160:161] op_sel_hi:[0,1]
	v_pk_fma_f32 v[158:159], v[166:167], v[102:103], v[158:159] op_sel_hi:[1,0,1]
	v_and_b32_e32 v167, 0xffff0000, v21
	v_lshlrev_b32_e32 v166, 16, v21
	v_pk_fma_f32 v[160:161], v[166:167], v[110:111], v[160:161] op_sel_hi:[1,0,1]
	v_and_b32_e32 v167, 0xffff0000, v237
	v_lshlrev_b32_e32 v166, 16, v237
	v_pk_fma_f32 v[158:159], v[166:167], v[130:131], v[158:159] op_sel_hi:[1,0,1]
	v_and_b32_e32 v167, 0xffff0000, v246
	v_lshlrev_b32_e32 v166, 16, v246
	v_accvgpr_read_b32 v21, a10
	v_pk_fma_f32 v[160:161], v[166:167], v[146:147], v[160:161] op_sel_hi:[1,0,1]
	v_and_b32_e32 v167, 0xffff0000, v21
	v_lshlrev_b32_e32 v166, 16, v21
	v_accvgpr_read_b32 v21, a15
	v_pk_fma_f32 v[158:159], v[166:167], v[150:151], v[158:159] op_sel_hi:[1,0,1]
	v_and_b32_e32 v167, 0xffff0000, v21
	v_lshlrev_b32_e32 v166, 16, v21
	v_pk_fma_f32 v[160:161], v[166:167], v[14:15], v[160:161] op_sel_hi:[1,0,1]
	v_accvgpr_read_b32 v21, a33
	v_pk_add_f32 v[158:159], v[158:159], v[160:161]
	s_nop 0
	v_pk_add_f32 v[184:185], v[158:159], v[184:185]
	v_and_b32_e32 v159, 0xffff0000, v21
	v_lshlrev_b32_e32 v158, 16, v21
	v_accvgpr_read_b32 v21, a34
	v_and_b32_e32 v161, 0xffff0000, v21
	v_lshlrev_b32_e32 v160, 16, v21
	v_accvgpr_read_b32 v21, a39
	v_pk_mul_f32 v[158:159], v[62:63], v[158:159] op_sel_hi:[0,1]
	v_and_b32_e32 v167, 0xffff0000, v21
	v_lshlrev_b32_e32 v166, 16, v21
	v_accvgpr_read_b32 v21, a40
	v_pk_mul_f32 v[160:161], v[86:87], v[160:161] op_sel_hi:[0,1]
	v_pk_fma_f32 v[158:159], v[166:167], v[102:103], v[158:159] op_sel_hi:[1,0,1]
	v_and_b32_e32 v167, 0xffff0000, v21
	v_lshlrev_b32_e32 v166, 16, v21
	v_pk_fma_f32 v[160:161], v[166:167], v[110:111], v[160:161] op_sel_hi:[1,0,1]
	v_and_b32_e32 v167, 0xffff0000, v240
	v_lshlrev_b32_e32 v166, 16, v240
	;; [unrolled: 3-line block ×3, first 2 shown]
	v_accvgpr_read_b32 v21, a12
	v_pk_fma_f32 v[160:161], v[166:167], v[146:147], v[160:161] op_sel_hi:[1,0,1]
	v_and_b32_e32 v167, 0xffff0000, v21
	v_lshlrev_b32_e32 v166, 16, v21
	v_accvgpr_read_b32 v21, a16
	v_pk_fma_f32 v[150:151], v[166:167], v[150:151], v[158:159] op_sel_hi:[1,0,1]
	v_and_b32_e32 v159, 0xffff0000, v21
	v_lshlrev_b32_e32 v158, 16, v21
	v_pk_fma_f32 v[158:159], v[158:159], v[14:15], v[160:161] op_sel_hi:[1,0,1]
	s_nop 0
	v_pk_add_f32 v[150:151], v[150:151], v[158:159]
	s_nop 0
	v_pk_add_f32 v[182:183], v[150:151], v[182:183]
	s_branch .LBB37_6
.LBB37_23:                              ;   in Loop: Header=BB37_4 Depth=1
	v_accvgpr_write_b32 a50, v157
	v_accvgpr_write_b32 a49, v149
	;; [unrolled: 1-line block ×6, first 2 shown]
	v_mov_b32_e32 v160, v177
	v_mov_b32_e32 v159, v175
	v_lshrrev_b32_e32 v14, 16, v23
	v_lshrrev_b32_e32 v31, 16, v41
	;; [unrolled: 1-line block ×24, first 2 shown]
	s_branch .LBB37_25
.LBB37_24:                              ;   in Loop: Header=BB37_4 Depth=1
	v_lshrrev_b32_e32 v102, 16, v240
	v_lshrrev_b32_e32 v158, 16, v247
	;; [unrolled: 1-line block ×24, first 2 shown]
	v_mov_b32_e32 v193, v181
	v_mov_b32_e32 v192, v181
	;; [unrolled: 1-line block ×12, first 2 shown]
.LBB37_25:                              ;   in Loop: Header=BB37_4 Depth=1
	;;#ASMSTART
	s_nop 0
	v_add_f32 v193, v193, v193 row_shr:8 bound_ctrl:0 
	;;#ASMEND
	;;#ASMSTART
	s_nop 0
	v_add_f32 v192, v192, v192 row_shr:8 bound_ctrl:0 
	;;#ASMEND
	;;#ASMSTART
	s_nop 0
	v_add_f32 v191, v191, v191 row_shr:8 bound_ctrl:0 
	;;#ASMEND
	;;#ASMSTART
	s_nop 0
	v_add_f32 v190, v190, v190 row_shr:8 bound_ctrl:0 
	;;#ASMEND
	;;#ASMSTART
	s_nop 0
	v_add_f32 v189, v189, v189 row_shr:8 bound_ctrl:0 
	;;#ASMEND
	;;#ASMSTART
	s_nop 0
	v_add_f32 v188, v188, v188 row_shr:8 bound_ctrl:0 
	;;#ASMEND
	;;#ASMSTART
	s_nop 0
	v_add_f32 v187, v187, v187 row_shr:8 bound_ctrl:0 
	;;#ASMEND
	;;#ASMSTART
	s_nop 0
	v_add_f32 v186, v186, v186 row_shr:8 bound_ctrl:0 
	;;#ASMEND
	;;#ASMSTART
	s_nop 0
	v_add_f32 v185, v185, v185 row_shr:8 bound_ctrl:0 
	;;#ASMEND
	;;#ASMSTART
	s_nop 0
	v_add_f32 v184, v184, v184 row_shr:8 bound_ctrl:0 
	;;#ASMEND
	;;#ASMSTART
	s_nop 0
	v_add_f32 v183, v183, v183 row_shr:8 bound_ctrl:0 
	;;#ASMEND
	;;#ASMSTART
	s_nop 0
	v_add_f32 v182, v182, v182 row_shr:8 bound_ctrl:0 
	;;#ASMEND
	s_nop 0
	;;#ASMSTART
	s_nop 0
	v_add_f32 v193, v193, v193 row_shr:4 bound_ctrl:0 
	;;#ASMEND
	;;#ASMSTART
	s_nop 0
	v_add_f32 v192, v192, v192 row_shr:4 bound_ctrl:0 
	;;#ASMEND
	;;#ASMSTART
	s_nop 0
	v_add_f32 v191, v191, v191 row_shr:4 bound_ctrl:0 
	;;#ASMEND
	;;#ASMSTART
	s_nop 0
	v_add_f32 v190, v190, v190 row_shr:4 bound_ctrl:0 
	;;#ASMEND
	;;#ASMSTART
	s_nop 0
	v_add_f32 v189, v189, v189 row_shr:4 bound_ctrl:0 
	;;#ASMEND
	;;#ASMSTART
	s_nop 0
	v_add_f32 v188, v188, v188 row_shr:4 bound_ctrl:0 
	;;#ASMEND
	;;#ASMSTART
	s_nop 0
	v_add_f32 v187, v187, v187 row_shr:4 bound_ctrl:0 
	;;#ASMEND
	;;#ASMSTART
	s_nop 0
	v_add_f32 v186, v186, v186 row_shr:4 bound_ctrl:0 
	;;#ASMEND
	;;#ASMSTART
	s_nop 0
	v_add_f32 v185, v185, v185 row_shr:4 bound_ctrl:0 
	;;#ASMEND
	;;#ASMSTART
	s_nop 0
	v_add_f32 v184, v184, v184 row_shr:4 bound_ctrl:0 
	;;#ASMEND
	;;#ASMSTART
	s_nop 0
	v_add_f32 v183, v183, v183 row_shr:4 bound_ctrl:0 
	;;#ASMEND
	;;#ASMSTART
	s_nop 0
	v_add_f32 v182, v182, v182 row_shr:4 bound_ctrl:0 
	;;#ASMEND
	s_nop 0
	;; [unrolled: 49-line block ×3, first 2 shown]
	;;#ASMSTART
	s_nop 0
	v_add_f32 v193, v193, v193 wave_shr:1 bound_ctrl:0
	;;#ASMEND
	;;#ASMSTART
	s_nop 0
	v_add_f32 v192, v192, v192 wave_shr:1 bound_ctrl:0
	;;#ASMEND
	;;#ASMSTART
	s_nop 0
	v_add_f32 v191, v191, v191 wave_shr:1 bound_ctrl:0
	;;#ASMEND
	;;#ASMSTART
	s_nop 0
	v_add_f32 v190, v190, v190 wave_shr:1 bound_ctrl:0
	;;#ASMEND
	;;#ASMSTART
	s_nop 0
	v_add_f32 v189, v189, v189 wave_shr:1 bound_ctrl:0
	;;#ASMEND
	;;#ASMSTART
	s_nop 0
	v_add_f32 v188, v188, v188 wave_shr:1 bound_ctrl:0
	;;#ASMEND
	;;#ASMSTART
	s_nop 0
	v_add_f32 v187, v187, v187 wave_shr:1 bound_ctrl:0
	;;#ASMEND
	;;#ASMSTART
	s_nop 0
	v_add_f32 v186, v186, v186 wave_shr:1 bound_ctrl:0
	;;#ASMEND
	;;#ASMSTART
	s_nop 0
	v_add_f32 v185, v185, v185 wave_shr:1 bound_ctrl:0
	;;#ASMEND
	;;#ASMSTART
	s_nop 0
	v_add_f32 v184, v184, v184 wave_shr:1 bound_ctrl:0
	;;#ASMEND
	;;#ASMSTART
	s_nop 0
	v_add_f32 v183, v183, v183 wave_shr:1 bound_ctrl:0
	;;#ASMEND
	;;#ASMSTART
	s_nop 0
	v_add_f32 v182, v182, v182 wave_shr:1 bound_ctrl:0
	;;#ASMEND
	s_nop 0
	;;#ASMSTART
	s_nop 0
	v_add_f32 v193, v193, v193 row_bcast:15 bound_ctrl:0
	;;#ASMEND
	;;#ASMSTART
	s_nop 0
	v_add_f32 v192, v192, v192 row_bcast:15 bound_ctrl:0
	;;#ASMEND
	;; [unrolled: 4-line block ×12, first 2 shown]
	s_nop 0
	;;#ASMSTART
	s_nop 0
	v_add_f32 v193, v193, v193 row_bcast:31 bound_ctrl:0
	;;#ASMEND
	;;#ASMSTART
	s_nop 0
	v_add_f32 v192, v192, v192 row_bcast:31 bound_ctrl:0
	;;#ASMEND
	;; [unrolled: 4-line block ×12, first 2 shown]
	s_and_saveexec_b64 s[4:5], s[0:1]
	s_cbranch_execz .LBB37_3
; %bb.26:                               ;   in Loop: Header=BB37_4 Depth=1
	v_and_b32_e32 v146, 0x7f800000, v193
	v_cmp_ne_u32_e32 vcc, s28, v146
                                        ; implicit-def: $vgpr180
	s_and_saveexec_b64 s[16:17], vcc
	s_xor_b64 s[16:17], exec, s[16:17]
; %bb.27:                               ;   in Loop: Header=BB37_4 Depth=1
	v_bfe_u32 v146, v193, 16, 1
	v_add3_u32 v180, v193, v146, s29
; %bb.28:                               ;   in Loop: Header=BB37_4 Depth=1
	s_andn2_saveexec_b64 s[16:17], s[16:17]
; %bb.29:                               ;   in Loop: Header=BB37_4 Depth=1
	v_or_b32_e32 v146, 0x10000, v193
	v_cmp_eq_u32_sdwa vcc, v193, v181 src0_sel:WORD_0 src1_sel:DWORD
	s_nop 1
	v_cndmask_b32_e32 v180, v146, v193, vcc
; %bb.30:                               ;   in Loop: Header=BB37_4 Depth=1
	s_or_b64 exec, exec, s[16:17]
	v_accvgpr_read_b32 v150, a0
	v_mov_b32_e32 v151, v181
	v_and_b32_e32 v146, 0x7f800000, v192
	s_waitcnt lgkmcnt(0)
	v_lshl_add_u64 v[150:151], v[150:151], 1, s[12:13]
	v_cmp_ne_u32_e32 vcc, s28, v146
	global_store_short_d16_hi v[150:151], v180, off
                                        ; implicit-def: $vgpr161
	s_and_saveexec_b64 s[16:17], vcc
	s_xor_b64 s[16:17], exec, s[16:17]
; %bb.31:                               ;   in Loop: Header=BB37_4 Depth=1
	v_bfe_u32 v146, v192, 16, 1
	v_add3_u32 v161, v192, v146, s29
                                        ; implicit-def: $vgpr192
; %bb.32:                               ;   in Loop: Header=BB37_4 Depth=1
	s_andn2_saveexec_b64 s[16:17], s[16:17]
; %bb.33:                               ;   in Loop: Header=BB37_4 Depth=1
	v_or_b32_e32 v146, 0x10000, v192
	v_cmp_eq_u32_sdwa vcc, v192, v181 src0_sel:WORD_0 src1_sel:DWORD
	s_nop 1
	v_cndmask_b32_e32 v161, v146, v192, vcc
; %bb.34:                               ;   in Loop: Header=BB37_4 Depth=1
	s_or_b64 exec, exec, s[16:17]
	v_accvgpr_read_b32 v146, a0
	v_add_u32_e32 v180, s7, v146
	v_and_b32_e32 v146, 0x7f800000, v191
	v_lshl_add_u64 v[150:151], v[180:181], 1, s[12:13]
	v_cmp_ne_u32_e32 vcc, s28, v146
	global_store_short_d16_hi v[150:151], v161, off
                                        ; implicit-def: $vgpr161
	s_and_saveexec_b64 s[16:17], vcc
	s_xor_b64 s[16:17], exec, s[16:17]
; %bb.35:                               ;   in Loop: Header=BB37_4 Depth=1
	v_bfe_u32 v146, v191, 16, 1
	v_add3_u32 v161, v191, v146, s29
; %bb.36:                               ;   in Loop: Header=BB37_4 Depth=1
	s_andn2_saveexec_b64 s[16:17], s[16:17]
; %bb.37:                               ;   in Loop: Header=BB37_4 Depth=1
	v_or_b32_e32 v146, 0x10000, v191
	v_cmp_eq_u32_sdwa vcc, v191, v181 src0_sel:WORD_0 src1_sel:DWORD
	s_nop 1
	v_cndmask_b32_e32 v161, v146, v191, vcc
; %bb.38:                               ;   in Loop: Header=BB37_4 Depth=1
	s_or_b64 exec, exec, s[16:17]
	v_add_u32_e32 v180, s7, v180
	v_and_b32_e32 v146, 0x7f800000, v190
	v_lshl_add_u64 v[150:151], v[180:181], 1, s[12:13]
	v_cmp_ne_u32_e32 vcc, s28, v146
	global_store_short_d16_hi v[150:151], v161, off
                                        ; implicit-def: $vgpr161
	s_and_saveexec_b64 s[16:17], vcc
	s_xor_b64 s[16:17], exec, s[16:17]
; %bb.39:                               ;   in Loop: Header=BB37_4 Depth=1
	v_bfe_u32 v146, v190, 16, 1
	v_add3_u32 v161, v190, v146, s29
                                        ; implicit-def: $vgpr190
; %bb.40:                               ;   in Loop: Header=BB37_4 Depth=1
	s_andn2_saveexec_b64 s[16:17], s[16:17]
; %bb.41:                               ;   in Loop: Header=BB37_4 Depth=1
	v_or_b32_e32 v146, 0x10000, v190
	v_cmp_eq_u32_sdwa vcc, v190, v181 src0_sel:WORD_0 src1_sel:DWORD
	s_nop 1
	v_cndmask_b32_e32 v161, v146, v190, vcc
; %bb.42:                               ;   in Loop: Header=BB37_4 Depth=1
	s_or_b64 exec, exec, s[16:17]
	v_add_u32_e32 v180, s7, v180
	v_and_b32_e32 v146, 0x7f800000, v189
	v_lshl_add_u64 v[150:151], v[180:181], 1, s[12:13]
	v_cmp_ne_u32_e32 vcc, s28, v146
	global_store_short_d16_hi v[150:151], v161, off
                                        ; implicit-def: $vgpr161
	s_and_saveexec_b64 s[16:17], vcc
	s_xor_b64 s[16:17], exec, s[16:17]
; %bb.43:                               ;   in Loop: Header=BB37_4 Depth=1
	v_bfe_u32 v146, v189, 16, 1
	v_add3_u32 v161, v189, v146, s29
; %bb.44:                               ;   in Loop: Header=BB37_4 Depth=1
	s_andn2_saveexec_b64 s[16:17], s[16:17]
; %bb.45:                               ;   in Loop: Header=BB37_4 Depth=1
	v_or_b32_e32 v146, 0x10000, v189
	v_cmp_eq_u32_sdwa vcc, v189, v181 src0_sel:WORD_0 src1_sel:DWORD
	s_nop 1
	v_cndmask_b32_e32 v161, v146, v189, vcc
; %bb.46:                               ;   in Loop: Header=BB37_4 Depth=1
	s_or_b64 exec, exec, s[16:17]
	v_add_u32_e32 v180, s7, v180
	v_and_b32_e32 v146, 0x7f800000, v188
	v_lshl_add_u64 v[150:151], v[180:181], 1, s[12:13]
	v_cmp_ne_u32_e32 vcc, s28, v146
	global_store_short_d16_hi v[150:151], v161, off
                                        ; implicit-def: $vgpr161
	s_and_saveexec_b64 s[16:17], vcc
	s_xor_b64 s[16:17], exec, s[16:17]
; %bb.47:                               ;   in Loop: Header=BB37_4 Depth=1
	v_bfe_u32 v146, v188, 16, 1
	v_add3_u32 v161, v188, v146, s29
                                        ; implicit-def: $vgpr188
; %bb.48:                               ;   in Loop: Header=BB37_4 Depth=1
	s_andn2_saveexec_b64 s[16:17], s[16:17]
; %bb.49:                               ;   in Loop: Header=BB37_4 Depth=1
	v_or_b32_e32 v146, 0x10000, v188
	v_cmp_eq_u32_sdwa vcc, v188, v181 src0_sel:WORD_0 src1_sel:DWORD
	s_nop 1
	v_cndmask_b32_e32 v161, v146, v188, vcc
; %bb.50:                               ;   in Loop: Header=BB37_4 Depth=1
	s_or_b64 exec, exec, s[16:17]
	v_add_u32_e32 v180, s7, v180
	v_and_b32_e32 v146, 0x7f800000, v187
	v_lshl_add_u64 v[150:151], v[180:181], 1, s[12:13]
	v_cmp_ne_u32_e32 vcc, s28, v146
	global_store_short_d16_hi v[150:151], v161, off
                                        ; implicit-def: $vgpr161
	s_and_saveexec_b64 s[16:17], vcc
	s_xor_b64 s[16:17], exec, s[16:17]
; %bb.51:                               ;   in Loop: Header=BB37_4 Depth=1
	v_bfe_u32 v146, v187, 16, 1
	v_add3_u32 v161, v187, v146, s29
; %bb.52:                               ;   in Loop: Header=BB37_4 Depth=1
	s_andn2_saveexec_b64 s[16:17], s[16:17]
; %bb.53:                               ;   in Loop: Header=BB37_4 Depth=1
	v_or_b32_e32 v146, 0x10000, v187
	v_cmp_eq_u32_sdwa vcc, v187, v181 src0_sel:WORD_0 src1_sel:DWORD
	s_nop 1
	v_cndmask_b32_e32 v161, v146, v187, vcc
; %bb.54:                               ;   in Loop: Header=BB37_4 Depth=1
	s_or_b64 exec, exec, s[16:17]
	v_add_u32_e32 v180, s7, v180
	v_and_b32_e32 v146, 0x7f800000, v186
	v_lshl_add_u64 v[150:151], v[180:181], 1, s[12:13]
	v_cmp_ne_u32_e32 vcc, s28, v146
	global_store_short_d16_hi v[150:151], v161, off
                                        ; implicit-def: $vgpr161
	s_and_saveexec_b64 s[16:17], vcc
	s_xor_b64 s[16:17], exec, s[16:17]
; %bb.55:                               ;   in Loop: Header=BB37_4 Depth=1
	v_bfe_u32 v146, v186, 16, 1
	v_add3_u32 v161, v186, v146, s29
                                        ; implicit-def: $vgpr186
; %bb.56:                               ;   in Loop: Header=BB37_4 Depth=1
	s_andn2_saveexec_b64 s[16:17], s[16:17]
; %bb.57:                               ;   in Loop: Header=BB37_4 Depth=1
	v_or_b32_e32 v146, 0x10000, v186
	v_cmp_eq_u32_sdwa vcc, v186, v181 src0_sel:WORD_0 src1_sel:DWORD
	s_nop 1
	v_cndmask_b32_e32 v161, v146, v186, vcc
; %bb.58:                               ;   in Loop: Header=BB37_4 Depth=1
	s_or_b64 exec, exec, s[16:17]
	v_add_u32_e32 v180, s7, v180
	v_and_b32_e32 v146, 0x7f800000, v185
	v_lshl_add_u64 v[150:151], v[180:181], 1, s[12:13]
	v_cmp_ne_u32_e32 vcc, s28, v146
	global_store_short_d16_hi v[150:151], v161, off
                                        ; implicit-def: $vgpr161
	s_and_saveexec_b64 s[16:17], vcc
	s_xor_b64 s[16:17], exec, s[16:17]
; %bb.59:                               ;   in Loop: Header=BB37_4 Depth=1
	v_bfe_u32 v146, v185, 16, 1
	v_add3_u32 v161, v185, v146, s29
; %bb.60:                               ;   in Loop: Header=BB37_4 Depth=1
	s_andn2_saveexec_b64 s[16:17], s[16:17]
; %bb.61:                               ;   in Loop: Header=BB37_4 Depth=1
	v_or_b32_e32 v146, 0x10000, v185
	v_cmp_eq_u32_sdwa vcc, v185, v181 src0_sel:WORD_0 src1_sel:DWORD
	s_nop 1
	v_cndmask_b32_e32 v161, v146, v185, vcc
; %bb.62:                               ;   in Loop: Header=BB37_4 Depth=1
	s_or_b64 exec, exec, s[16:17]
	v_add_u32_e32 v180, s7, v180
	v_and_b32_e32 v146, 0x7f800000, v184
	v_lshl_add_u64 v[150:151], v[180:181], 1, s[12:13]
	v_cmp_ne_u32_e32 vcc, s28, v146
	global_store_short_d16_hi v[150:151], v161, off
                                        ; implicit-def: $vgpr161
	s_and_saveexec_b64 s[16:17], vcc
	s_xor_b64 s[16:17], exec, s[16:17]
; %bb.63:                               ;   in Loop: Header=BB37_4 Depth=1
	v_bfe_u32 v146, v184, 16, 1
	v_add3_u32 v161, v184, v146, s29
                                        ; implicit-def: $vgpr184
; %bb.64:                               ;   in Loop: Header=BB37_4 Depth=1
	s_andn2_saveexec_b64 s[16:17], s[16:17]
; %bb.65:                               ;   in Loop: Header=BB37_4 Depth=1
	v_or_b32_e32 v146, 0x10000, v184
	v_cmp_eq_u32_sdwa vcc, v184, v181 src0_sel:WORD_0 src1_sel:DWORD
	s_nop 1
	v_cndmask_b32_e32 v161, v146, v184, vcc
; %bb.66:                               ;   in Loop: Header=BB37_4 Depth=1
	s_or_b64 exec, exec, s[16:17]
	v_add_u32_e32 v180, s7, v180
	v_and_b32_e32 v146, 0x7f800000, v183
	v_lshl_add_u64 v[150:151], v[180:181], 1, s[12:13]
	v_cmp_ne_u32_e32 vcc, s28, v146
	global_store_short_d16_hi v[150:151], v161, off
                                        ; implicit-def: $vgpr161
	s_and_saveexec_b64 s[16:17], vcc
	s_xor_b64 s[16:17], exec, s[16:17]
; %bb.67:                               ;   in Loop: Header=BB37_4 Depth=1
	v_bfe_u32 v146, v183, 16, 1
	v_add3_u32 v161, v183, v146, s29
; %bb.68:                               ;   in Loop: Header=BB37_4 Depth=1
	s_andn2_saveexec_b64 s[16:17], s[16:17]
; %bb.69:                               ;   in Loop: Header=BB37_4 Depth=1
	v_or_b32_e32 v146, 0x10000, v183
	v_cmp_eq_u32_sdwa vcc, v183, v181 src0_sel:WORD_0 src1_sel:DWORD
	s_nop 1
	v_cndmask_b32_e32 v161, v146, v183, vcc
; %bb.70:                               ;   in Loop: Header=BB37_4 Depth=1
	s_or_b64 exec, exec, s[16:17]
	v_add_u32_e32 v180, s7, v180
	v_and_b32_e32 v146, 0x7f800000, v182
	v_lshl_add_u64 v[150:151], v[180:181], 1, s[12:13]
	v_cmp_ne_u32_e32 vcc, s28, v146
	global_store_short_d16_hi v[150:151], v161, off
                                        ; implicit-def: $vgpr161
	s_and_saveexec_b64 s[16:17], vcc
	s_xor_b64 s[16:17], exec, s[16:17]
; %bb.71:                               ;   in Loop: Header=BB37_4 Depth=1
	v_bfe_u32 v146, v182, 16, 1
	v_add3_u32 v161, v182, v146, s29
                                        ; implicit-def: $vgpr182
; %bb.72:                               ;   in Loop: Header=BB37_4 Depth=1
	s_andn2_saveexec_b64 s[16:17], s[16:17]
	s_cbranch_execz .LBB37_2
; %bb.73:                               ;   in Loop: Header=BB37_4 Depth=1
	v_or_b32_e32 v146, 0x10000, v182
	v_cmp_eq_u32_sdwa vcc, v182, v181 src0_sel:WORD_0 src1_sel:DWORD
	s_nop 1
	v_cndmask_b32_e32 v161, v146, v182, vcc
	s_branch .LBB37_2
.LBB37_74:
	s_endpgm
	.section	.rodata,"a",@progbits
	.p2align	6, 0x0
	.amdhsa_kernel _ZN5aiter32wv_splitk_small_fp16_bf16_kernelI14__hip_bfloat16Li64ELi1ELi1ELi8ELi4ELi12EEEviiPKT_S4_PS2_ii
		.amdhsa_group_segment_fixed_size 0
		.amdhsa_private_segment_fixed_size 0
		.amdhsa_kernarg_size 40
		.amdhsa_user_sgpr_count 2
		.amdhsa_user_sgpr_dispatch_ptr 0
		.amdhsa_user_sgpr_queue_ptr 0
		.amdhsa_user_sgpr_kernarg_segment_ptr 1
		.amdhsa_user_sgpr_dispatch_id 0
		.amdhsa_user_sgpr_kernarg_preload_length 0
		.amdhsa_user_sgpr_kernarg_preload_offset 0
		.amdhsa_user_sgpr_private_segment_size 0
		.amdhsa_uses_dynamic_stack 0
		.amdhsa_enable_private_segment 0
		.amdhsa_system_sgpr_workgroup_id_x 1
		.amdhsa_system_sgpr_workgroup_id_y 0
		.amdhsa_system_sgpr_workgroup_id_z 0
		.amdhsa_system_sgpr_workgroup_info 0
		.amdhsa_system_vgpr_workitem_id 1
		.amdhsa_next_free_vgpr 319
		.amdhsa_next_free_sgpr 31
		.amdhsa_accum_offset 256
		.amdhsa_reserve_vcc 1
		.amdhsa_float_round_mode_32 0
		.amdhsa_float_round_mode_16_64 0
		.amdhsa_float_denorm_mode_32 3
		.amdhsa_float_denorm_mode_16_64 3
		.amdhsa_dx10_clamp 1
		.amdhsa_ieee_mode 1
		.amdhsa_fp16_overflow 0
		.amdhsa_tg_split 0
		.amdhsa_exception_fp_ieee_invalid_op 0
		.amdhsa_exception_fp_denorm_src 0
		.amdhsa_exception_fp_ieee_div_zero 0
		.amdhsa_exception_fp_ieee_overflow 0
		.amdhsa_exception_fp_ieee_underflow 0
		.amdhsa_exception_fp_ieee_inexact 0
		.amdhsa_exception_int_div_zero 0
	.end_amdhsa_kernel
	.section	.text._ZN5aiter32wv_splitk_small_fp16_bf16_kernelI14__hip_bfloat16Li64ELi1ELi1ELi8ELi4ELi12EEEviiPKT_S4_PS2_ii,"axG",@progbits,_ZN5aiter32wv_splitk_small_fp16_bf16_kernelI14__hip_bfloat16Li64ELi1ELi1ELi8ELi4ELi12EEEviiPKT_S4_PS2_ii,comdat
.Lfunc_end37:
	.size	_ZN5aiter32wv_splitk_small_fp16_bf16_kernelI14__hip_bfloat16Li64ELi1ELi1ELi8ELi4ELi12EEEviiPKT_S4_PS2_ii, .Lfunc_end37-_ZN5aiter32wv_splitk_small_fp16_bf16_kernelI14__hip_bfloat16Li64ELi1ELi1ELi8ELi4ELi12EEEviiPKT_S4_PS2_ii
                                        ; -- End function
	.section	.AMDGPU.csdata,"",@progbits
; Kernel info:
; codeLenInByte = 11300
; NumSgprs: 37
; NumVgprs: 256
; NumAgprs: 63
; TotalNumVgprs: 319
; ScratchSize: 0
; MemoryBound: 0
; FloatMode: 240
; IeeeMode: 1
; LDSByteSize: 0 bytes/workgroup (compile time only)
; SGPRBlocks: 4
; VGPRBlocks: 39
; NumSGPRsForWavesPerEU: 37
; NumVGPRsForWavesPerEU: 319
; AccumOffset: 256
; Occupancy: 1
; WaveLimiterHint : 0
; COMPUTE_PGM_RSRC2:SCRATCH_EN: 0
; COMPUTE_PGM_RSRC2:USER_SGPR: 2
; COMPUTE_PGM_RSRC2:TRAP_HANDLER: 0
; COMPUTE_PGM_RSRC2:TGID_X_EN: 1
; COMPUTE_PGM_RSRC2:TGID_Y_EN: 0
; COMPUTE_PGM_RSRC2:TGID_Z_EN: 0
; COMPUTE_PGM_RSRC2:TIDIG_COMP_CNT: 1
; COMPUTE_PGM_RSRC3_GFX90A:ACCUM_OFFSET: 63
; COMPUTE_PGM_RSRC3_GFX90A:TG_SPLIT: 0
	.section	.text._ZN5aiter32wv_splitk_small_fp16_bf16_kernelI14__hip_bfloat16Li64ELi1ELi1ELi8ELi4ELi13EEEviiPKT_S4_PS2_ii,"axG",@progbits,_ZN5aiter32wv_splitk_small_fp16_bf16_kernelI14__hip_bfloat16Li64ELi1ELi1ELi8ELi4ELi13EEEviiPKT_S4_PS2_ii,comdat
	.protected	_ZN5aiter32wv_splitk_small_fp16_bf16_kernelI14__hip_bfloat16Li64ELi1ELi1ELi8ELi4ELi13EEEviiPKT_S4_PS2_ii ; -- Begin function _ZN5aiter32wv_splitk_small_fp16_bf16_kernelI14__hip_bfloat16Li64ELi1ELi1ELi8ELi4ELi13EEEviiPKT_S4_PS2_ii
	.globl	_ZN5aiter32wv_splitk_small_fp16_bf16_kernelI14__hip_bfloat16Li64ELi1ELi1ELi8ELi4ELi13EEEviiPKT_S4_PS2_ii
	.p2align	8
	.type	_ZN5aiter32wv_splitk_small_fp16_bf16_kernelI14__hip_bfloat16Li64ELi1ELi1ELi8ELi4ELi13EEEviiPKT_S4_PS2_ii,@function
_ZN5aiter32wv_splitk_small_fp16_bf16_kernelI14__hip_bfloat16Li64ELi1ELi1ELi8ELi4ELi13EEEviiPKT_S4_PS2_ii: ; @_ZN5aiter32wv_splitk_small_fp16_bf16_kernelI14__hip_bfloat16Li64ELi1ELi1ELi8ELi4ELi13EEEviiPKT_S4_PS2_ii
; %bb.0:
	s_load_dwordx2 s[4:5], s[0:1], 0x20
	s_load_dwordx2 s[6:7], s[0:1], 0x0
	v_bfe_u32 v1, v0, 10, 10
	s_waitcnt lgkmcnt(0)
	s_mul_i32 s2, s2, s4
	v_add_u32_e32 v2, s2, v1
	v_accvgpr_write_b32 a0, v2
	v_cmp_gt_u32_e32 vcc, s7, v2
	s_and_saveexec_b64 s[2:3], vcc
	s_cbranch_execz .LBB38_78
; %bb.1:
	v_and_b32_e32 v0, 0x3ff, v0
	s_cmp_lg_u32 s6, 0
	v_lshlrev_b32_e32 v204, 3, v0
	s_load_dwordx4 s[8:11], s[0:1], 0x8
	s_load_dwordx2 s[12:13], s[0:1], 0x18
	v_cmp_eq_u32_e64 s[0:1], 63, v0
	v_lshl_add_u32 v0, s6, 1, v204
	s_cselect_b64 s[2:3], -1, 0
	v_accvgpr_write_b32 a1, v0
	v_cndmask_b32_e64 v0, 0, 1, s[2:3]
	v_cmp_ne_u32_e64 s[2:3], 1, v0
	v_accvgpr_read_b32 v0, a0
	s_mul_i32 s24, s5, s4
	v_mad_u64_u32 v[188:189], s[4:5], s6, v0, v[204:205]
	v_mad_u64_u32 v[0:1], s[4:5], s6, 3, v[204:205]
	v_accvgpr_write_b32 a12, v0
	v_mad_u64_u32 v[0:1], s[4:5], s6, 5, v[204:205]
	v_accvgpr_write_b32 a14, v0
	;; [unrolled: 2-line block ×6, first 2 shown]
	v_mad_u64_u32 v[0:1], s[4:5], s6, 11, v[204:205]
	v_lshl_add_u32 v195, s6, 2, v204
	v_lshl_add_u32 v199, s6, 3, v204
	v_add_u32_e32 v201, s6, v204
	v_accvgpr_write_b32 a24, v0
	v_mad_u64_u32 v[0:1], s[4:5], s6, 12, v[204:205]
	s_mul_i32 s25, s24, s6
	s_mov_b64 s[14:15], 0
	s_mov_b32 s26, 0x5040100
	s_mov_b32 s27, 0x7060302
	;; [unrolled: 1-line block ×3, first 2 shown]
	s_movk_i32 s29, 0x7fff
	v_accvgpr_write_b32 a26, v0
	v_mov_b32_e32 v207, 0
	v_accvgpr_write_b32 a2, v204
	v_accvgpr_write_b32 a3, v195
	v_accvgpr_write_b32 a4, v199
	v_accvgpr_write_b32 a5, v201
                                        ; implicit-def: $vgpr105
                                        ; implicit-def: $vgpr176
                                        ; implicit-def: $vgpr177
                                        ; implicit-def: $agpr48
                                        ; implicit-def: $vgpr107
                                        ; implicit-def: $vgpr223
                                        ; implicit-def: $vgpr180
                                        ; implicit-def: $vgpr181
                                        ; implicit-def: $vgpr221
                                        ; implicit-def: $vgpr17
                                        ; implicit-def: $vgpr224
                                        ; implicit-def: $vgpr225
                                        ; implicit-def: $agpr49
                                        ; implicit-def: $vgpr130
                                        ; implicit-def: $vgpr145
                                        ; implicit-def: $vgpr226
                                        ; implicit-def: $vgpr227
                                        ; implicit-def: $vgpr228
                                        ; implicit-def: $vgpr165
                                        ; implicit-def: $vgpr229
                                        ; implicit-def: $vgpr230
                                        ; implicit-def: $agpr50
                                        ; implicit-def: $vgpr161
                                        ; implicit-def: $vgpr169
                                        ; implicit-def: $vgpr231
                                        ; implicit-def: $vgpr232
                                        ; implicit-def: $vgpr233
                                        ; implicit-def: $vgpr166
                                        ; implicit-def: $vgpr234
                                        ; implicit-def: $vgpr235
                                        ; implicit-def: $agpr51
                                        ; implicit-def: $vgpr173
                                        ; implicit-def: $vgpr170
                                        ; implicit-def: $vgpr236
                                        ; implicit-def: $vgpr237
                                        ; implicit-def: $vgpr238
                                        ; implicit-def: $vgpr179
                                        ; implicit-def: $vgpr239
                                        ; implicit-def: $vgpr240
                                        ; implicit-def: $agpr52
                                        ; implicit-def: $vgpr174
                                        ; implicit-def: $vgpr146
                                        ; implicit-def: $vgpr241
                                        ; implicit-def: $vgpr242
                                        ; implicit-def: $vgpr243
                                        ; implicit-def: $vgpr162
                                        ; implicit-def: $vgpr147
                                        ; implicit-def: $vgpr163
                                        ; implicit-def: $agpr53
                                        ; implicit-def: $vgpr167
                                        ; implicit-def: $vgpr171
                                        ; implicit-def: $vgpr178
                                        ; implicit-def: $vgpr246
                                        ; implicit-def: $vgpr184
                                        ; implicit-def: $agpr6
                                        ; implicit-def: $vgpr248
                                        ; implicit-def: $agpr7
                                        ; implicit-def: $vgpr250
                                        ; implicit-def: $vgpr183
                                        ; implicit-def: $vgpr131
                                        ; implicit-def: $agpr8
                                        ; implicit-def: $vgpr252
                                        ; implicit-def: $vgpr194
                                        ; implicit-def: $vgpr254
                                        ; implicit-def: $vgpr129
                                        ; implicit-def: $vgpr111
                                        ; implicit-def: $vgpr196
                                        ; implicit-def: $vgpr247
                                        ; implicit-def: $agpr9
                                        ; implicit-def: $vgpr251
                                        ; implicit-def: $vgpr109
                                        ; implicit-def: $vgpr87
                                        ; implicit-def: $agpr10
                                        ; implicit-def: $vgpr255
                                        ; implicit-def: $agpr11
                                        ; implicit-def: $vgpr253
                                        ; implicit-def: $vgpr85
                                        ; implicit-def: $vgpr55
                                        ; implicit-def: $agpr13
                                        ; implicit-def: $vgpr249
                                        ; implicit-def: $agpr15
                                        ; implicit-def: $vgpr187
                                        ; implicit-def: $vgpr53
                                        ; implicit-def: $vgpr54
                                        ; implicit-def: $agpr42
                                        ; implicit-def: $vgpr244
                                        ; implicit-def: $agpr43
                                        ; implicit-def: $vgpr182
                                        ; implicit-def: $vgpr29
                                        ; implicit-def: $vgpr86
                                        ; implicit-def: $vgpr27
                                        ; implicit-def: $vgpr43
                                        ; implicit-def: $vgpr46
                                        ; implicit-def: $vgpr58
                                        ; implicit-def: $agpr56
                                        ; implicit-def: $agpr54
                                        ; implicit-def: $agpr47
                                        ; implicit-def: $agpr44
                                        ; implicit-def: $vgpr83
                                        ; implicit-def: $vgpr67
                                        ; implicit-def: $vgpr74
                                        ; implicit-def: $vgpr59
                                        ; implicit-def: $agpr58
                                        ; implicit-def: $agpr55
                                        ; implicit-def: $agpr31
                                        ; implicit-def: $agpr25
                                        ; implicit-def: $vgpr103
                                        ; implicit-def: $vgpr95
                                        ; implicit-def: $vgpr91
                                        ; implicit-def: $vgpr90
                                        ; implicit-def: $agpr60
                                        ; implicit-def: $agpr57
                                        ; implicit-def: $agpr30
                                        ; implicit-def: $agpr23
                                        ; implicit-def: $vgpr127
                                        ; implicit-def: $vgpr119
                                        ; implicit-def: $vgpr115
                                        ; implicit-def: $vgpr114
                                        ; implicit-def: $agpr62
                                        ; implicit-def: $agpr59
                                        ; implicit-def: $agpr29
                                        ; implicit-def: $agpr21
                                        ; implicit-def: $vgpr151
                                        ; implicit-def: $vgpr139
                                        ; implicit-def: $vgpr135
                                        ; implicit-def: $vgpr134
                                        ; implicit-def: $agpr64
                                        ; implicit-def: $agpr61
                                        ; implicit-def: $agpr28
                                        ; implicit-def: $agpr19
                                        ; implicit-def: $vgpr159
                                        ; implicit-def: $vgpr186
                                        ; implicit-def: $vgpr154
                                        ; implicit-def: $vgpr175
                                        ; implicit-def: $agpr65
                                        ; implicit-def: $agpr63
                                        ; implicit-def: $agpr27
                                        ; implicit-def: $agpr17
                                        ; implicit-def: $vgpr47
                                        ; implicit-def: $vgpr75
                                        ; implicit-def: $agpr77
                                        ; implicit-def: $agpr71
                                        ; implicit-def: $agpr46
                                        ; implicit-def: $agpr45
                                        ; implicit-def: $vgpr99
                                        ; implicit-def: $vgpr98
                                        ; implicit-def: $agpr76
                                        ; implicit-def: $agpr70
                                        ; implicit-def: $agpr41
                                        ; implicit-def: $agpr39
                                        ; implicit-def: $vgpr123
                                        ; implicit-def: $vgpr122
                                        ; implicit-def: $agpr75
                                        ; implicit-def: $agpr69
                                        ; implicit-def: $agpr40
                                        ; implicit-def: $agpr37
                                        ; implicit-def: $vgpr143
                                        ; implicit-def: $vgpr142
                                        ; implicit-def: $agpr74
                                        ; implicit-def: $agpr68
                                        ; implicit-def: $agpr38
                                        ; implicit-def: $agpr35
                                        ; implicit-def: $vgpr245
                                        ; implicit-def: $vgpr155
                                        ; implicit-def: $agpr73
                                        ; implicit-def: $agpr67
                                        ; implicit-def: $agpr36
                                        ; implicit-def: $agpr33
                                        ; implicit-def: $vgpr110
                                        ; implicit-def: $vgpr106
                                        ; implicit-def: $agpr72
                                        ; implicit-def: $agpr66
                                        ; implicit-def: $agpr34
                                        ; implicit-def: $agpr32
                                        ; implicit-def: $vgpr152
                                        ; implicit-def: $vgpr157
                                        ; implicit-def: $vgpr128
                                        ; implicit-def: $vgpr133
                                        ; implicit-def: $vgpr138
                                        ; implicit-def: $vgpr140
                                        ; implicit-def: $vgpr149
                                        ; implicit-def: $vgpr108
                                        ; implicit-def: $vgpr113
                                        ; implicit-def: $vgpr118
                                        ; implicit-def: $vgpr120
                                        ; implicit-def: $vgpr125
                                        ; implicit-def: $vgpr84
                                        ; implicit-def: $vgpr89
                                        ; implicit-def: $vgpr94
                                        ; implicit-def: $vgpr96
                                        ; implicit-def: $vgpr101
                                        ; implicit-def: $vgpr52
                                        ; implicit-def: $vgpr57
                                        ; implicit-def: $vgpr66
                                        ; implicit-def: $vgpr72
                                        ; implicit-def: $vgpr81
                                        ; implicit-def: $vgpr28
                                        ; implicit-def: $vgpr37
                                        ; implicit-def: $vgpr42
                                        ; implicit-def: $vgpr44
                                        ; implicit-def: $vgpr49
                                        ; implicit-def: $vgpr16
                                        ; implicit-def: $vgpr21
                                        ; implicit-def: $vgpr26
                                        ; implicit-def: $vgpr0_vgpr1_vgpr2_vgpr3
                                        ; implicit-def: $vgpr4_vgpr5_vgpr6_vgpr7
                                        ; implicit-def: $vgpr8_vgpr9_vgpr10_vgpr11
                                        ; implicit-def: $vgpr12_vgpr13_vgpr14_vgpr15
                                        ; implicit-def: $vgpr172
                                        ; implicit-def: $vgpr168
                                        ; implicit-def: $vgpr164
                                        ; implicit-def: $vgpr160
                                        ; implicit-def: $vgpr144
                                        ; implicit-def: $vgpr104
                                        ; implicit-def: $vgpr35
                                        ; implicit-def: $vgpr63
                                        ; implicit-def: $vgpr71
                                        ; implicit-def: $vgpr79
	s_branch .LBB38_4
.LBB38_2:                               ;   in Loop: Header=BB38_4 Depth=1
	s_or_b64 exec, exec, s[16:17]
	v_add_u32_e32 v206, s7, v206
	v_lshl_add_u64 v[30:31], v[206:207], 1, s[12:13]
	global_store_short_d16_hi v[30:31], v185, off
.LBB38_3:                               ;   in Loop: Header=BB38_4 Depth=1
	s_or_b64 exec, exec, s[4:5]
	v_accvgpr_read_b32 v30, a0
	v_add_u32_e32 v30, s24, v30
	v_cmp_le_u32_e32 vcc, s7, v30
	v_perm_b32 v248, v23, v248, s26
	v_perm_b32 v250, v22, v250, s26
	;; [unrolled: 1-line block ×24, first 2 shown]
	v_accvgpr_write_b32 a0, v30
	s_or_b64 s[14:15], vcc, s[14:15]
	v_add_u32_e32 v188, s25, v188
	v_accvgpr_read_b32 v204, a2
	v_accvgpr_read_b32 v195, a3
	;; [unrolled: 1-line block ×4, first 2 shown]
	s_andn2_b64 exec, exec, s[14:15]
	s_cbranch_execz .LBB38_78
.LBB38_4:                               ; =>This Loop Header: Depth=1
                                        ;     Child Loop BB38_10 Depth 2
	s_and_b64 vcc, exec, s[2:3]
	s_mov_b32 s30, 0
	s_cbranch_vccnz .LBB38_24
; %bb.5:                                ;   in Loop: Header=BB38_4 Depth=1
	v_mov_b32_e32 v185, 0
	v_mov_b32_e32 v205, v194
	;; [unrolled: 1-line block ×15, first 2 shown]
	v_accvgpr_read_b32 v189, a1
	s_branch .LBB38_10
.LBB38_6:                               ;   in Loop: Header=BB38_10 Depth=2
	s_or_b64 exec, exec, s[20:21]
.LBB38_7:                               ;   in Loop: Header=BB38_10 Depth=2
	s_or_b64 exec, exec, s[18:19]
.LBB38_8:                               ;   in Loop: Header=BB38_10 Depth=2
	s_or_b64 exec, exec, s[16:17]
.LBB38_9:                               ;   in Loop: Header=BB38_10 Depth=2
	s_or_b64 exec, exec, s[4:5]
	s_addk_i32 s30, 0x800
	s_cmp_ge_u32 s30, s6
	s_cbranch_scc1 .LBB38_23
.LBB38_10:                              ;   Parent Loop BB38_4 Depth=1
                                        ; =>  This Inner Loop Header: Depth=2
	v_add_u32_e32 v220, s30, v204
	v_cmp_gt_u32_e32 vcc, s6, v220
	v_add_u32_e32 v222, 0x200, v220
	s_and_saveexec_b64 s[16:17], vcc
	s_cbranch_execz .LBB38_18
; %bb.11:                               ;   in Loop: Header=BB38_10 Depth=2
	v_add_u32_e32 v206, s30, v188
	v_mov_b32_e32 v221, v207
	v_add_u32_e32 v176, s30, v201
	v_mov_b32_e32 v177, v207
	s_waitcnt lgkmcnt(0)
	v_lshl_add_u64 v[12:13], v[206:207], 1, s[8:9]
	v_lshl_add_u64 v[18:19], v[220:221], 1, s[10:11]
	;; [unrolled: 1-line block ×3, first 2 shown]
	global_load_dwordx4 v[12:15], v[12:13], off nt
	s_nop 0
	global_load_dwordx4 v[76:79], v[18:19], off
	global_load_dwordx4 v[24:27], v[22:23], off
	v_accvgpr_read_b32 v22, a12
	v_add_u32_e32 v180, s30, v189
	v_mov_b32_e32 v181, v207
	v_add_u32_e32 v238, s30, v22
	v_mov_b32_e32 v239, v207
	v_lshl_add_u64 v[18:19], v[180:181], 1, s[10:11]
	v_lshl_add_u64 v[22:23], v[238:239], 1, s[10:11]
	global_load_dwordx4 v[48:51], v[18:19], off
	global_load_dwordx4 v[40:43], v[22:23], off
	v_accvgpr_read_b32 v22, a14
	v_add_u32_e32 v242, s30, v195
	v_mov_b32_e32 v243, v207
	v_add_u32_e32 v240, s30, v22
	v_mov_b32_e32 v241, v207
	v_lshl_add_u64 v[18:19], v[242:243], 1, s[10:11]
	v_lshl_add_u64 v[22:23], v[240:241], 1, s[10:11]
	global_load_dwordx4 v[80:83], v[18:19], off
	global_load_dwordx4 v[64:67], v[22:23], off
	v_accvgpr_read_b32 v18, a16
	v_accvgpr_read_b32 v22, a18
	v_add_u32_e32 v236, s30, v18
	v_mov_b32_e32 v237, v207
	v_add_u32_e32 v234, s30, v22
	v_mov_b32_e32 v235, v207
	v_lshl_add_u64 v[18:19], v[236:237], 1, s[10:11]
	v_lshl_add_u64 v[22:23], v[234:235], 1, s[10:11]
	global_load_dwordx4 v[100:103], v[18:19], off
	global_load_dwordx4 v[92:95], v[22:23], off
	v_add_u32_e32 v232, s30, v199
	v_mov_b32_e32 v233, v207
	v_accvgpr_read_b32 v22, a20
	v_lshl_add_u64 v[18:19], v[232:233], 1, s[10:11]
	v_add_u32_e32 v230, s30, v22
	v_mov_b32_e32 v231, v207
	v_lshl_add_u64 v[22:23], v[230:231], 1, s[10:11]
	global_load_dwordx4 v[124:127], v[18:19], off
	global_load_dwordx4 v[116:119], v[22:23], off
	v_accvgpr_read_b32 v18, a22
	v_add_u32_e32 v228, s30, v18
	v_mov_b32_e32 v229, v207
	v_accvgpr_read_b32 v22, a24
	v_lshl_add_u64 v[18:19], v[228:229], 1, s[10:11]
	v_add_u32_e32 v226, s30, v22
	v_mov_b32_e32 v227, v207
	v_lshl_add_u64 v[22:23], v[226:227], 1, s[10:11]
	global_load_dwordx4 v[148:151], v[18:19], off
	global_load_dwordx4 v[136:139], v[22:23], off
	v_accvgpr_read_b32 v18, a26
	v_add_u32_e32 v224, s30, v18
	v_mov_b32_e32 v225, v207
	v_lshl_add_u64 v[18:19], v[224:225], 1, s[10:11]
	global_load_dwordx4 v[156:159], v[18:19], off
	v_cmp_gt_u32_e64 s[4:5], s6, v222
	s_and_saveexec_b64 s[18:19], s[4:5]
	s_cbranch_execz .LBB38_17
; %bb.12:                               ;   in Loop: Header=BB38_10 Depth=2
	v_add_u32_e32 v8, 0x200, v206
	v_mov_b32_e32 v9, v207
	v_mov_b32_e32 v223, v207
	v_add_u32_e32 v20, 0x200, v176
	v_mov_b32_e32 v21, v207
	v_lshl_add_u64 v[8:9], v[8:9], 1, s[8:9]
	v_lshl_add_u64 v[18:19], v[222:223], 1, s[10:11]
	;; [unrolled: 1-line block ×3, first 2 shown]
	global_load_dwordx4 v[8:11], v[8:9], off nt
	s_nop 0
	global_load_dwordx4 v[68:71], v[18:19], off
	s_nop 0
	global_load_dwordx4 v[20:23], v[20:21], off
	v_add_u32_e32 v18, 0x200, v180
	v_mov_b32_e32 v19, v207
	v_lshl_add_u64 v[18:19], v[18:19], 1, s[10:11]
	v_add_u32_e32 v30, 0x200, v238
	v_mov_b32_e32 v31, v207
	v_lshl_add_u64 v[30:31], v[30:31], 1, s[10:11]
	global_load_dwordx4 v[44:47], v[18:19], off
	global_load_dwordx4 v[36:39], v[30:31], off
	v_add_u32_e32 v18, 0x200, v242
	v_mov_b32_e32 v19, v207
	v_lshl_add_u64 v[18:19], v[18:19], 1, s[10:11]
	v_add_u32_e32 v30, 0x200, v240
	v_mov_b32_e32 v31, v207
	v_lshl_add_u64 v[30:31], v[30:31], 1, s[10:11]
	global_load_dwordx4 v[72:75], v[18:19], off
	;; [unrolled: 8-line block ×5, first 2 shown]
	global_load_dwordx4 v[132:135], v[30:31], off
	v_add_u32_e32 v18, 0x200, v224
	v_mov_b32_e32 v19, v207
	v_lshl_add_u64 v[18:19], v[18:19], 1, s[10:11]
	global_load_dwordx4 v[152:155], v[18:19], off
	v_add_u32_e32 v18, 0x400, v220
	v_cmp_gt_u32_e64 s[4:5], s6, v18
	s_and_saveexec_b64 s[20:21], s[4:5]
	s_cbranch_execz .LBB38_16
; %bb.13:                               ;   in Loop: Header=BB38_10 Depth=2
	v_mov_b32_e32 v19, v207
	v_add_u32_e32 v4, 0x400, v206
	v_mov_b32_e32 v5, v207
	v_lshl_add_u64 v[16:17], v[18:19], 1, s[10:11]
	v_add_u32_e32 v18, 0x400, v176
	v_add_u32_e32 v28, 0x400, v180
	v_mov_b32_e32 v29, v207
	v_add_u32_e32 v30, 0x400, v238
	v_mov_b32_e32 v31, v207
	;; [unrolled: 2-line block ×11, first 2 shown]
	v_lshl_add_u64 v[4:5], v[4:5], 1, s[8:9]
	v_lshl_add_u64 v[18:19], v[18:19], 1, s[10:11]
	v_lshl_add_u64 v[28:29], v[28:29], 1, s[10:11]
	v_lshl_add_u64 v[30:31], v[30:31], 1, s[10:11]
	v_lshl_add_u64 v[52:53], v[52:53], 1, s[10:11]
	v_lshl_add_u64 v[54:55], v[54:55], 1, s[10:11]
	v_lshl_add_u64 v[84:85], v[84:85], 1, s[10:11]
	v_lshl_add_u64 v[86:87], v[86:87], 1, s[10:11]
	v_lshl_add_u64 v[108:109], v[108:109], 1, s[10:11]
	v_lshl_add_u64 v[110:111], v[110:111], 1, s[10:11]
	v_lshl_add_u64 v[128:129], v[128:129], 1, s[10:11]
	v_lshl_add_u64 v[130:131], v[130:131], 1, s[10:11]
	v_lshl_add_u64 v[172:173], v[172:173], 1, s[10:11]
	global_load_dwordx4 v[4:7], v[4:5], off nt
	s_nop 0
	global_load_dwordx4 v[60:63], v[16:17], off
	s_nop 0
	global_load_dwordx4 v[16:19], v[18:19], off
	;; [unrolled: 2-line block ×12, first 2 shown]
	v_add_u32_e32 v178, 0x600, v220
	global_load_dwordx4 v[172:175], v[172:173], off
	v_cmp_gt_u32_e64 s[4:5], s6, v178
	s_and_saveexec_b64 s[22:23], s[4:5]
	s_cbranch_execz .LBB38_15
; %bb.14:                               ;   in Loop: Header=BB38_10 Depth=2
	v_add_u32_e32 v206, 0x600, v206
	v_lshl_add_u64 v[0:1], v[206:207], 1, s[8:9]
	v_add_u32_e32 v206, 0x600, v176
	v_lshl_add_u64 v[176:177], v[206:207], 1, s[10:11]
	;; [unrolled: 2-line block ×4, first 2 shown]
	v_add_u32_e32 v206, 0x600, v242
	global_load_dwordx4 v[180:183], v[180:181], off
	v_mov_b32_e32 v179, v207
	global_load_dwordx4 v[190:193], v[186:187], off
	v_lshl_add_u64 v[186:187], v[206:207], 1, s[10:11]
	v_add_u32_e32 v206, 0x600, v240
	global_load_dwordx4 v[242:245], v[186:187], off
	v_lshl_add_u64 v[186:187], v[206:207], 1, s[10:11]
	v_add_u32_e32 v206, 0x600, v236
	;; [unrolled: 3-line block ×8, first 2 shown]
	global_load_dwordx4 v[226:229], v[186:187], off
	v_lshl_add_u64 v[186:187], v[206:207], 1, s[10:11]
	global_load_dwordx4 v[252:255], v[186:187], off
	v_lshl_add_u64 v[32:33], v[178:179], 1, s[10:11]
	global_load_dwordx4 v[32:35], v[32:33], off
	s_waitcnt vmcnt(9)
	v_perm_b32 v249, v192, v244, s26
	global_load_dwordx4 v[176:179], v[176:177], off
	v_perm_b32 v187, v192, v244, s27
	global_load_dwordx4 v[0:3], v[0:1], off nt
	s_waitcnt vmcnt(7)
	v_perm_b32 v247, v236, v200, s26
	v_perm_b32 v251, v236, v200, s27
	s_waitcnt vmcnt(3)
	v_perm_b32 v184, v229, v255, s26
	v_accvgpr_write_b32 a6, v184
	v_perm_b32 v184, v227, v253, s26
	v_accvgpr_write_b32 a32, v184
	;; [unrolled: 2-line block ×28, first 2 shown]
	v_perm_b32 v248, v228, v254, s26
	v_perm_b32 v250, v228, v254, s27
	s_waitcnt vmcnt(1)
	v_perm_b32 v184, v179, v183, s26
	v_accvgpr_write_b32 a42, v184
	v_perm_b32 v184, v177, v181, s26
	v_accvgpr_write_b32 a45, v184
	v_perm_b32 v184, v176, v180, s26
	v_perm_b32 v179, v179, v183, s27
	v_perm_b32 v177, v177, v181, s27
	v_perm_b32 v176, v176, v180, s27
	v_perm_b32 v252, v232, v204, s26
	v_perm_b32 v205, v233, v205, s27
	v_perm_b32 v254, v232, v204, s27
	v_accvgpr_read_b32 v204, a2
	v_perm_b32 v203, v237, v201, s26
	v_accvgpr_read_b32 v201, a5
	v_accvgpr_read_b32 v199, a4
	v_perm_b32 v255, v240, v196, s26
	v_perm_b32 v253, v240, v196, s27
	v_accvgpr_read_b32 v195, a3
	v_perm_b32 v244, v178, v182, s26
	v_accvgpr_write_b32 a44, v184
	v_accvgpr_write_b32 a43, v179
	v_perm_b32 v182, v178, v182, s27
	v_accvgpr_write_b32 a46, v177
	v_accvgpr_write_b32 a47, v176
.LBB38_15:                              ;   in Loop: Header=BB38_10 Depth=2
	s_or_b64 exec, exec, s[22:23]
	s_waitcnt vmcnt(11)
	v_lshrrev_b32_e32 v176, 16, v16
	v_accvgpr_write_b32 a53, v176
	s_waitcnt vmcnt(9)
	v_lshrrev_b32_e32 v176, 16, v28
	v_accvgpr_write_b32 a52, v176
	;; [unrolled: 3-line block ×6, first 2 shown]
	s_waitcnt vmcnt(0)
	v_perm_b32 v176, v130, v174, s26
	v_perm_b32 v130, v130, v174, s27
	v_accvgpr_write_b32 a72, v130
	v_perm_b32 v130, v110, v170, s26
	v_perm_b32 v110, v110, v170, s27
	v_accvgpr_write_b32 a73, v110
	;; [unrolled: 3-line block ×5, first 2 shown]
	v_perm_b32 v30, v18, v106, s26
	v_accvgpr_write_b32 a66, v176
	v_perm_b32 v176, v129, v173, s26
	v_perm_b32 v129, v129, v173, s27
	v_accvgpr_write_b32 a67, v130
	v_perm_b32 v130, v109, v169, s26
	;; [unrolled: 3-line block ×6, first 2 shown]
	v_perm_b32 v18, v18, v106, s27
	v_perm_b32 v17, v17, v105, s27
	;; [unrolled: 1-line block ×3, first 2 shown]
	v_accvgpr_write_b32 a63, v176
	v_perm_b32 v131, v131, v175, s27
	v_accvgpr_write_b32 a65, v129
	v_perm_b32 v129, v111, v171, s26
	;; [unrolled: 2-line block ×11, first 2 shown]
	v_accvgpr_write_b32 a77, v18
	v_accvgpr_write_b32 a56, v17
.LBB38_16:                              ;   in Loop: Header=BB38_10 Depth=2
	s_or_b64 exec, exec, s[20:21]
	s_waitcnt vmcnt(11)
	v_lshrrev_b32_e32 v171, 16, v20
	v_lshrrev_b32_e32 v167, 16, v21
	s_waitcnt vmcnt(10)
	v_lshrrev_b32_e32 v162, 16, v44
	s_waitcnt vmcnt(9)
	v_lshrrev_b32_e32 v146, 16, v36
	v_lshrrev_b32_e32 v174, 16, v37
	s_waitcnt vmcnt(8)
	v_lshrrev_b32_e32 v179, 16, v72
	s_waitcnt vmcnt(7)
	v_lshrrev_b32_e32 v170, 16, v56
	v_lshrrev_b32_e32 v173, 16, v57
	s_waitcnt vmcnt(6)
	v_lshrrev_b32_e32 v166, 16, v96
	s_waitcnt vmcnt(5)
	v_lshrrev_b32_e32 v169, 16, v88
	v_lshrrev_b32_e32 v161, 16, v89
	s_waitcnt vmcnt(4)
	v_lshrrev_b32_e32 v165, 16, v120
	s_waitcnt vmcnt(3)
	v_lshrrev_b32_e32 v145, 16, v112
	v_lshrrev_b32_e32 v130, 16, v113
	s_waitcnt vmcnt(2)
	v_lshrrev_b32_e32 v17, 16, v140
	s_waitcnt vmcnt(1)
	v_lshrrev_b32_e32 v223, 16, v132
	v_lshrrev_b32_e32 v107, 16, v133
	s_waitcnt vmcnt(0)
	v_lshrrev_b32_e32 v105, 16, v152
	v_perm_b32 v106, v135, v155, s26
	v_perm_b32 v175, v134, v154, s26
	v_perm_b32 v110, v135, v155, s27
	v_perm_b32 v154, v134, v154, s27
	v_perm_b32 v155, v115, v143, s26
	v_perm_b32 v134, v114, v142, s26
	v_perm_b32 v245, v115, v143, s27
	v_perm_b32 v135, v114, v142, s27
	v_perm_b32 v142, v91, v123, s26
	v_perm_b32 v114, v90, v122, s26
	v_perm_b32 v143, v91, v123, s27
	v_perm_b32 v115, v90, v122, s27
	v_perm_b32 v122, v59, v99, s26
	v_perm_b32 v90, v58, v98, s26
	v_perm_b32 v123, v59, v99, s27
	v_perm_b32 v91, v58, v98, s27
	v_perm_b32 v98, v39, v75, s26
	v_perm_b32 v59, v38, v74, s26
	v_perm_b32 v99, v39, v75, s27
	v_perm_b32 v74, v38, v74, s27
	v_perm_b32 v75, v23, v47, s26
	v_perm_b32 v58, v22, v46, s26
	v_perm_b32 v47, v23, v47, s27
	v_perm_b32 v46, v22, v46, s27
.LBB38_17:                              ;   in Loop: Header=BB38_10 Depth=2
	s_or_b64 exec, exec, s[18:19]
	s_waitcnt vmcnt(11)
	v_lshrrev_b32_e32 v184, 16, v24
	v_lshrrev_b32_e32 v246, 16, v25
	v_lshrrev_b32_e32 v178, 16, v26
	s_waitcnt vmcnt(10)
	v_lshrrev_b32_e32 v163, 16, v48
	v_lshrrev_b32_e32 v147, 16, v49
	s_waitcnt vmcnt(9)
	v_lshrrev_b32_e32 v243, 16, v40
	v_lshrrev_b32_e32 v242, 16, v41
	v_lshrrev_b32_e32 v241, 16, v42
	s_waitcnt vmcnt(8)
	v_lshrrev_b32_e32 v240, 16, v80
	v_lshrrev_b32_e32 v239, 16, v81
	;; [unrolled: 7-line block ×6, first 2 shown]
	v_perm_b32 v186, v139, v159, s26
	v_perm_b32 v159, v139, v159, s27
	;; [unrolled: 1-line block ×12, first 2 shown]
.LBB38_18:                              ;   in Loop: Header=BB38_10 Depth=2
	s_or_b64 exec, exec, s[16:17]
	s_and_saveexec_b64 s[4:5], vcc
	s_cbranch_execz .LBB38_9
; %bb.19:                               ;   in Loop: Header=BB38_10 Depth=2
	v_and_b32_e32 v19, 0xffff0000, v12
	v_lshlrev_b32_e32 v18, 16, v12
	v_and_b32_e32 v23, 0xffff0000, v76
	v_lshlrev_b32_e32 v22, 16, v76
	v_pk_mul_f32 v[22:23], v[22:23], v[18:19]
	v_and_b32_e32 v31, 0xffff0000, v77
	v_lshlrev_b32_e32 v30, 16, v77
	v_and_b32_e32 v39, 0xffff0000, v13
	v_lshlrev_b32_e32 v38, 16, v13
	v_pk_fma_f32 v[22:23], v[30:31], v[38:39], v[22:23]
	v_and_b32_e32 v191, 0xffff0000, v78
	v_lshlrev_b32_e32 v190, 16, v78
	v_and_b32_e32 v31, 0xffff0000, v14
	v_lshlrev_b32_e32 v30, 16, v14
	v_pk_fma_f32 v[190:191], v[190:191], v[30:31], v[22:23]
	;; [unrolled: 5-line block ×3, first 2 shown]
	v_lshlrev_b32_e32 v193, 16, v184
	v_add_f32_e32 v51, v190, v191
	v_lshlrev_b32_e32 v191, 16, v24
	v_lshlrev_b32_e32 v190, 16, v48
	;; [unrolled: 1-line block ×3, first 2 shown]
	v_pk_mul_f32 v[190:191], v[18:19], v[190:191] op_sel_hi:[0,1]
	v_mov_b32_e32 v194, v19
	v_lshlrev_b32_e32 v197, 16, v25
	v_lshlrev_b32_e32 v196, 16, v49
	v_pk_mul_f32 v[192:193], v[194:195], v[192:193] op_sel_hi:[0,1]
	v_pk_fma_f32 v[190:191], v[196:197], v[38:39], v[190:191] op_sel_hi:[1,0,1]
	v_lshlrev_b32_e32 v197, 16, v246
	v_lshlrev_b32_e32 v196, 16, v147
	v_mov_b32_e32 v198, v39
	v_pk_fma_f32 v[192:193], v[196:197], v[198:199], v[192:193] op_sel_hi:[1,0,1]
	v_lshlrev_b32_e32 v197, 16, v26
	v_lshlrev_b32_e32 v196, 16, v50
	v_pk_fma_f32 v[190:191], v[196:197], v[30:31], v[190:191] op_sel_hi:[1,0,1]
	v_and_b32_e32 v196, 0xffff0000, v50
	v_lshlrev_b32_e32 v197, 16, v178
	v_mov_b32_e32 v200, v31
	v_pk_fma_f32 v[192:193], v[196:197], v[200:201], v[192:193] op_sel_hi:[1,0,1]
	v_and_b32_e32 v197, 0xffff0000, v43
	v_lshlrev_b32_e32 v196, 16, v43
	v_pk_fma_f32 v[190:191], v[196:197], v[22:23], v[190:191] op_sel_hi:[1,0,1]
	v_and_b32_e32 v197, 0xffff0000, v27
	v_lshlrev_b32_e32 v196, 16, v27
	v_mov_b32_e32 v202, v23
	v_pk_fma_f32 v[192:193], v[196:197], v[202:203], v[192:193] op_sel_hi:[1,0,1]
	v_lshlrev_b32_e32 v197, 16, v41
	v_pk_add_f32 v[190:191], v[190:191], v[192:193]
	v_lshlrev_b32_e32 v193, 16, v243
	v_pk_add_f32 v[218:219], v[190:191], v[218:219]
	v_lshlrev_b32_e32 v191, 16, v40
	v_lshlrev_b32_e32 v190, 16, v80
	v_lshlrev_b32_e32 v192, 16, v240
	v_pk_mul_f32 v[190:191], v[18:19], v[190:191] op_sel_hi:[0,1]
	v_lshlrev_b32_e32 v196, 16, v81
	v_pk_mul_f32 v[192:193], v[194:195], v[192:193] op_sel_hi:[0,1]
	v_pk_fma_f32 v[190:191], v[196:197], v[38:39], v[190:191] op_sel_hi:[1,0,1]
	v_lshlrev_b32_e32 v197, 16, v242
	v_lshlrev_b32_e32 v196, 16, v239
	v_pk_fma_f32 v[192:193], v[196:197], v[198:199], v[192:193] op_sel_hi:[1,0,1]
	v_lshlrev_b32_e32 v197, 16, v42
	v_lshlrev_b32_e32 v196, 16, v82
	v_pk_fma_f32 v[190:191], v[196:197], v[30:31], v[190:191] op_sel_hi:[1,0,1]
	v_and_b32_e32 v196, 0xffff0000, v82
	v_lshlrev_b32_e32 v197, 16, v241
	v_pk_fma_f32 v[192:193], v[196:197], v[200:201], v[192:193] op_sel_hi:[1,0,1]
	v_and_b32_e32 v197, 0xffff0000, v67
	v_lshlrev_b32_e32 v196, 16, v67
	v_pk_fma_f32 v[190:191], v[196:197], v[22:23], v[190:191] op_sel_hi:[1,0,1]
	v_and_b32_e32 v197, 0xffff0000, v83
	v_lshlrev_b32_e32 v196, 16, v83
	v_pk_fma_f32 v[192:193], v[196:197], v[202:203], v[192:193] op_sel_hi:[1,0,1]
	v_lshlrev_b32_e32 v197, 16, v65
	v_pk_add_f32 v[190:191], v[190:191], v[192:193]
	v_lshlrev_b32_e32 v193, 16, v238
	v_pk_add_f32 v[216:217], v[190:191], v[216:217]
	v_lshlrev_b32_e32 v191, 16, v64
	v_lshlrev_b32_e32 v190, 16, v100
	v_lshlrev_b32_e32 v192, 16, v235
	v_pk_mul_f32 v[190:191], v[18:19], v[190:191] op_sel_hi:[0,1]
	v_lshlrev_b32_e32 v196, 16, v101
	v_pk_mul_f32 v[192:193], v[194:195], v[192:193] op_sel_hi:[0,1]
	v_pk_fma_f32 v[190:191], v[196:197], v[38:39], v[190:191] op_sel_hi:[1,0,1]
	v_lshlrev_b32_e32 v197, 16, v237
	v_lshlrev_b32_e32 v196, 16, v234
	v_pk_fma_f32 v[192:193], v[196:197], v[198:199], v[192:193] op_sel_hi:[1,0,1]
	v_lshlrev_b32_e32 v197, 16, v66
	v_lshlrev_b32_e32 v196, 16, v102
	v_pk_fma_f32 v[190:191], v[196:197], v[30:31], v[190:191] op_sel_hi:[1,0,1]
	v_and_b32_e32 v196, 0xffff0000, v102
	v_lshlrev_b32_e32 v197, 16, v236
	v_pk_fma_f32 v[192:193], v[196:197], v[200:201], v[192:193] op_sel_hi:[1,0,1]
	v_and_b32_e32 v197, 0xffff0000, v95
	v_lshlrev_b32_e32 v196, 16, v95
	v_pk_fma_f32 v[190:191], v[196:197], v[22:23], v[190:191] op_sel_hi:[1,0,1]
	v_and_b32_e32 v197, 0xffff0000, v103
	v_lshlrev_b32_e32 v196, 16, v103
	;; [unrolled: 26-line block ×4, first 2 shown]
	v_pk_fma_f32 v[192:193], v[196:197], v[202:203], v[192:193] op_sel_hi:[1,0,1]
	v_add_f32_e32 v185, v51, v185
	v_pk_add_f32 v[190:191], v[190:191], v[192:193]
	v_lshlrev_b32_e32 v193, 16, v221
	v_pk_add_f32 v[210:211], v[190:191], v[210:211]
	v_lshlrev_b32_e32 v191, 16, v136
	v_lshlrev_b32_e32 v190, 16, v156
	v_lshlrev_b32_e32 v192, 16, v177
	v_pk_mul_f32 v[18:19], v[18:19], v[190:191] op_sel_hi:[0,1]
	v_pk_mul_f32 v[190:191], v[194:195], v[192:193] op_sel_hi:[0,1]
	v_lshlrev_b32_e32 v193, 16, v137
	v_lshlrev_b32_e32 v192, 16, v157
	v_pk_fma_f32 v[18:19], v[192:193], v[38:39], v[18:19] op_sel_hi:[1,0,1]
	v_lshlrev_b32_e32 v39, 16, v181
	v_lshlrev_b32_e32 v38, 16, v176
	v_pk_fma_f32 v[38:39], v[38:39], v[198:199], v[190:191] op_sel_hi:[1,0,1]
	v_lshlrev_b32_e32 v191, 16, v138
	v_lshlrev_b32_e32 v190, 16, v158
	v_pk_fma_f32 v[18:19], v[190:191], v[30:31], v[18:19] op_sel_hi:[1,0,1]
	v_and_b32_e32 v30, 0xffff0000, v158
	v_lshlrev_b32_e32 v31, 16, v180
	v_pk_fma_f32 v[30:31], v[30:31], v[200:201], v[38:39] op_sel_hi:[1,0,1]
	v_and_b32_e32 v39, 0xffff0000, v186
	v_lshlrev_b32_e32 v38, 16, v186
	v_pk_fma_f32 v[18:19], v[38:39], v[22:23], v[18:19] op_sel_hi:[1,0,1]
	;; [unrolled: 3-line block ×3, first 2 shown]
	v_cmp_gt_u32_e32 vcc, s6, v222
	v_pk_add_f32 v[18:19], v[18:19], v[22:23]
	s_nop 0
	v_pk_add_f32 v[208:209], v[18:19], v[208:209]
	s_and_saveexec_b64 s[16:17], vcc
	s_cbranch_execz .LBB38_8
; %bb.20:                               ;   in Loop: Header=BB38_10 Depth=2
	v_and_b32_e32 v19, 0xffff0000, v8
	v_lshlrev_b32_e32 v18, 16, v8
	v_and_b32_e32 v23, 0xffff0000, v68
	v_lshlrev_b32_e32 v22, 16, v68
	v_pk_mul_f32 v[22:23], v[22:23], v[18:19]
	v_and_b32_e32 v31, 0xffff0000, v69
	v_lshlrev_b32_e32 v30, 16, v69
	v_and_b32_e32 v39, 0xffff0000, v9
	v_lshlrev_b32_e32 v38, 16, v9
	v_pk_fma_f32 v[22:23], v[30:31], v[38:39], v[22:23]
	v_and_b32_e32 v191, 0xffff0000, v70
	v_lshlrev_b32_e32 v190, 16, v70
	v_and_b32_e32 v31, 0xffff0000, v10
	v_lshlrev_b32_e32 v30, 16, v10
	v_pk_fma_f32 v[190:191], v[190:191], v[30:31], v[22:23]
	;; [unrolled: 5-line block ×3, first 2 shown]
	v_lshlrev_b32_e32 v193, 16, v171
	v_add_f32_e32 v51, v190, v191
	v_lshlrev_b32_e32 v191, 16, v20
	v_lshlrev_b32_e32 v190, 16, v44
	v_pk_mul_f32 v[190:191], v[18:19], v[190:191] op_sel_hi:[0,1]
	v_lshlrev_b32_e32 v192, 16, v162
	v_mov_b32_e32 v194, v19
	v_lshlrev_b32_e32 v197, 16, v21
	v_lshlrev_b32_e32 v196, 16, v45
	v_pk_mul_f32 v[192:193], v[194:195], v[192:193] op_sel_hi:[0,1]
	v_pk_fma_f32 v[190:191], v[196:197], v[38:39], v[190:191] op_sel_hi:[1,0,1]
	v_and_b32_e32 v196, 0xffff0000, v45
	v_lshlrev_b32_e32 v197, 16, v167
	v_mov_b32_e32 v198, v39
	v_pk_fma_f32 v[192:193], v[196:197], v[198:199], v[192:193] op_sel_hi:[1,0,1]
	v_and_b32_e32 v197, 0xffff0000, v58
	v_lshlrev_b32_e32 v196, 16, v58
	v_pk_fma_f32 v[190:191], v[196:197], v[30:31], v[190:191] op_sel_hi:[1,0,1]
	v_and_b32_e32 v197, 0xffff0000, v46
	v_lshlrev_b32_e32 v196, 16, v46
	v_mov_b32_e32 v200, v31
	v_pk_fma_f32 v[192:193], v[196:197], v[200:201], v[192:193] op_sel_hi:[1,0,1]
	v_and_b32_e32 v197, 0xffff0000, v75
	v_lshlrev_b32_e32 v196, 16, v75
	v_pk_fma_f32 v[190:191], v[196:197], v[22:23], v[190:191] op_sel_hi:[1,0,1]
	v_and_b32_e32 v197, 0xffff0000, v47
	v_lshlrev_b32_e32 v196, 16, v47
	v_mov_b32_e32 v202, v23
	v_pk_fma_f32 v[192:193], v[196:197], v[202:203], v[192:193] op_sel_hi:[1,0,1]
	v_lshlrev_b32_e32 v197, 16, v37
	v_pk_add_f32 v[190:191], v[190:191], v[192:193]
	v_lshlrev_b32_e32 v193, 16, v146
	v_pk_add_f32 v[218:219], v[190:191], v[218:219]
	v_lshlrev_b32_e32 v191, 16, v36
	v_lshlrev_b32_e32 v190, 16, v72
	v_pk_mul_f32 v[190:191], v[18:19], v[190:191] op_sel_hi:[0,1]
	v_lshlrev_b32_e32 v192, 16, v179
	v_lshlrev_b32_e32 v196, 16, v73
	v_pk_mul_f32 v[192:193], v[194:195], v[192:193] op_sel_hi:[0,1]
	v_pk_fma_f32 v[190:191], v[196:197], v[38:39], v[190:191] op_sel_hi:[1,0,1]
	v_and_b32_e32 v196, 0xffff0000, v73
	v_lshlrev_b32_e32 v197, 16, v174
	v_pk_fma_f32 v[192:193], v[196:197], v[198:199], v[192:193] op_sel_hi:[1,0,1]
	v_and_b32_e32 v197, 0xffff0000, v59
	v_lshlrev_b32_e32 v196, 16, v59
	v_pk_fma_f32 v[190:191], v[196:197], v[30:31], v[190:191] op_sel_hi:[1,0,1]
	v_and_b32_e32 v197, 0xffff0000, v74
	v_lshlrev_b32_e32 v196, 16, v74
	v_pk_fma_f32 v[192:193], v[196:197], v[200:201], v[192:193] op_sel_hi:[1,0,1]
	v_and_b32_e32 v197, 0xffff0000, v98
	v_lshlrev_b32_e32 v196, 16, v98
	v_pk_fma_f32 v[190:191], v[196:197], v[22:23], v[190:191] op_sel_hi:[1,0,1]
	v_and_b32_e32 v197, 0xffff0000, v99
	v_lshlrev_b32_e32 v196, 16, v99
	v_pk_fma_f32 v[192:193], v[196:197], v[202:203], v[192:193] op_sel_hi:[1,0,1]
	v_lshlrev_b32_e32 v197, 16, v57
	v_pk_add_f32 v[190:191], v[190:191], v[192:193]
	v_lshlrev_b32_e32 v193, 16, v170
	v_pk_add_f32 v[216:217], v[190:191], v[216:217]
	v_lshlrev_b32_e32 v191, 16, v56
	v_lshlrev_b32_e32 v190, 16, v96
	v_pk_mul_f32 v[190:191], v[18:19], v[190:191] op_sel_hi:[0,1]
	v_lshlrev_b32_e32 v192, 16, v166
	v_lshlrev_b32_e32 v196, 16, v97
	v_pk_mul_f32 v[192:193], v[194:195], v[192:193] op_sel_hi:[0,1]
	v_pk_fma_f32 v[190:191], v[196:197], v[38:39], v[190:191] op_sel_hi:[1,0,1]
	v_and_b32_e32 v196, 0xffff0000, v97
	v_lshlrev_b32_e32 v197, 16, v173
	v_pk_fma_f32 v[192:193], v[196:197], v[198:199], v[192:193] op_sel_hi:[1,0,1]
	v_and_b32_e32 v197, 0xffff0000, v90
	v_lshlrev_b32_e32 v196, 16, v90
	v_pk_fma_f32 v[190:191], v[196:197], v[30:31], v[190:191] op_sel_hi:[1,0,1]
	v_and_b32_e32 v197, 0xffff0000, v91
	v_lshlrev_b32_e32 v196, 16, v91
	v_pk_fma_f32 v[192:193], v[196:197], v[200:201], v[192:193] op_sel_hi:[1,0,1]
	v_and_b32_e32 v197, 0xffff0000, v122
	v_lshlrev_b32_e32 v196, 16, v122
	v_pk_fma_f32 v[190:191], v[196:197], v[22:23], v[190:191] op_sel_hi:[1,0,1]
	v_and_b32_e32 v197, 0xffff0000, v123
	v_lshlrev_b32_e32 v196, 16, v123
	;; [unrolled: 26-line block ×4, first 2 shown]
	v_pk_fma_f32 v[192:193], v[196:197], v[202:203], v[192:193] op_sel_hi:[1,0,1]
	v_add_f32_e32 v185, v51, v185
	v_pk_add_f32 v[190:191], v[190:191], v[192:193]
	v_lshlrev_b32_e32 v193, 16, v133
	v_pk_add_f32 v[210:211], v[190:191], v[210:211]
	v_lshlrev_b32_e32 v191, 16, v132
	v_lshlrev_b32_e32 v190, 16, v152
	v_pk_mul_f32 v[18:19], v[18:19], v[190:191] op_sel_hi:[0,1]
	v_lshlrev_b32_e32 v191, 16, v223
	v_lshlrev_b32_e32 v190, 16, v105
	;; [unrolled: 1-line block ×3, first 2 shown]
	v_pk_mul_f32 v[190:191], v[194:195], v[190:191] op_sel_hi:[0,1]
	v_pk_fma_f32 v[18:19], v[192:193], v[38:39], v[18:19] op_sel_hi:[1,0,1]
	v_and_b32_e32 v38, 0xffff0000, v153
	v_lshlrev_b32_e32 v39, 16, v107
	v_pk_fma_f32 v[38:39], v[38:39], v[198:199], v[190:191] op_sel_hi:[1,0,1]
	v_and_b32_e32 v191, 0xffff0000, v175
	v_lshlrev_b32_e32 v190, 16, v175
	;; [unrolled: 3-line block ×5, first 2 shown]
	v_pk_fma_f32 v[22:23], v[22:23], v[202:203], v[30:31] op_sel_hi:[1,0,1]
	s_nop 0
	v_pk_add_f32 v[18:19], v[18:19], v[22:23]
	s_nop 0
	v_pk_add_f32 v[208:209], v[18:19], v[208:209]
	v_add_u32_e32 v18, 0x400, v220
	v_cmp_gt_u32_e32 vcc, s6, v18
	s_and_saveexec_b64 s[18:19], vcc
	s_cbranch_execz .LBB38_7
; %bb.21:                               ;   in Loop: Header=BB38_10 Depth=2
	v_and_b32_e32 v19, 0xffff0000, v4
	v_lshlrev_b32_e32 v18, 16, v4
	v_and_b32_e32 v23, 0xffff0000, v60
	v_lshlrev_b32_e32 v22, 16, v60
	v_pk_mul_f32 v[22:23], v[22:23], v[18:19]
	v_and_b32_e32 v31, 0xffff0000, v61
	v_lshlrev_b32_e32 v30, 16, v61
	v_and_b32_e32 v39, 0xffff0000, v5
	v_lshlrev_b32_e32 v38, 16, v5
	v_pk_fma_f32 v[22:23], v[30:31], v[38:39], v[22:23]
	v_and_b32_e32 v191, 0xffff0000, v62
	v_lshlrev_b32_e32 v190, 16, v62
	v_and_b32_e32 v31, 0xffff0000, v6
	v_lshlrev_b32_e32 v30, 16, v6
	v_pk_fma_f32 v[190:191], v[190:191], v[30:31], v[22:23]
	;; [unrolled: 5-line block ×3, first 2 shown]
	v_mov_b32_e32 v194, v19
	v_add_f32_e32 v51, v190, v191
	v_lshlrev_b32_e32 v191, 16, v16
	v_lshlrev_b32_e32 v190, 16, v104
	v_add_f32_e32 v185, v51, v185
	v_pk_mul_f32 v[190:191], v[18:19], v[190:191] op_sel_hi:[0,1]
	v_accvgpr_read_b32 v51, a53
	v_accvgpr_read_b32 v19, a54
	v_and_b32_e32 v192, 0xffff0000, v104
	v_lshlrev_b32_e32 v193, 16, v51
	v_and_b32_e32 v197, 0xffff0000, v19
	v_lshlrev_b32_e32 v196, 16, v19
	v_accvgpr_read_b32 v19, a56
	v_pk_mul_f32 v[192:193], v[194:195], v[192:193] op_sel_hi:[0,1]
	v_pk_fma_f32 v[190:191], v[196:197], v[38:39], v[190:191] op_sel_hi:[1,0,1]
	v_and_b32_e32 v197, 0xffff0000, v19
	v_lshlrev_b32_e32 v196, 16, v19
	v_mov_b32_e32 v198, v39
	v_accvgpr_read_b32 v19, a71
	v_pk_fma_f32 v[192:193], v[196:197], v[198:199], v[192:193] op_sel_hi:[1,0,1]
	v_and_b32_e32 v197, 0xffff0000, v19
	v_lshlrev_b32_e32 v196, 16, v19
	v_accvgpr_read_b32 v19, a77
	v_pk_fma_f32 v[190:191], v[196:197], v[30:31], v[190:191] op_sel_hi:[1,0,1]
	v_and_b32_e32 v197, 0xffff0000, v19
	v_lshlrev_b32_e32 v196, 16, v19
	v_mov_b32_e32 v200, v31
	v_pk_fma_f32 v[192:193], v[196:197], v[200:201], v[192:193] op_sel_hi:[1,0,1]
	v_and_b32_e32 v197, 0xffff0000, v29
	v_lshlrev_b32_e32 v196, 16, v29
	v_pk_fma_f32 v[190:191], v[196:197], v[22:23], v[190:191] op_sel_hi:[1,0,1]
	v_and_b32_e32 v197, 0xffff0000, v86
	v_lshlrev_b32_e32 v196, 16, v86
	v_mov_b32_e32 v202, v23
	v_pk_fma_f32 v[192:193], v[196:197], v[202:203], v[192:193] op_sel_hi:[1,0,1]
	s_nop 0
	v_pk_add_f32 v[190:191], v[190:191], v[192:193]
	v_and_b32_e32 v192, 0xffff0000, v144
	v_pk_add_f32 v[218:219], v[190:191], v[218:219]
	v_lshlrev_b32_e32 v191, 16, v28
	v_lshlrev_b32_e32 v190, 16, v144
	v_pk_mul_f32 v[190:191], v[18:19], v[190:191] op_sel_hi:[0,1]
	v_accvgpr_read_b32 v19, a52
	v_lshlrev_b32_e32 v193, 16, v19
	v_accvgpr_read_b32 v19, a55
	v_and_b32_e32 v197, 0xffff0000, v19
	v_lshlrev_b32_e32 v196, 16, v19
	v_accvgpr_read_b32 v19, a58
	v_pk_mul_f32 v[192:193], v[194:195], v[192:193] op_sel_hi:[0,1]
	v_pk_fma_f32 v[190:191], v[196:197], v[38:39], v[190:191] op_sel_hi:[1,0,1]
	v_and_b32_e32 v197, 0xffff0000, v19
	v_lshlrev_b32_e32 v196, 16, v19
	v_accvgpr_read_b32 v19, a70
	v_pk_fma_f32 v[192:193], v[196:197], v[198:199], v[192:193] op_sel_hi:[1,0,1]
	v_and_b32_e32 v197, 0xffff0000, v19
	v_lshlrev_b32_e32 v196, 16, v19
	v_accvgpr_read_b32 v19, a76
	v_pk_fma_f32 v[190:191], v[196:197], v[30:31], v[190:191] op_sel_hi:[1,0,1]
	v_and_b32_e32 v197, 0xffff0000, v19
	v_lshlrev_b32_e32 v196, 16, v19
	v_pk_fma_f32 v[192:193], v[196:197], v[200:201], v[192:193] op_sel_hi:[1,0,1]
	v_and_b32_e32 v197, 0xffff0000, v53
	v_lshlrev_b32_e32 v196, 16, v53
	v_pk_fma_f32 v[190:191], v[196:197], v[22:23], v[190:191] op_sel_hi:[1,0,1]
	v_and_b32_e32 v197, 0xffff0000, v54
	v_lshlrev_b32_e32 v196, 16, v54
	v_pk_fma_f32 v[192:193], v[196:197], v[202:203], v[192:193] op_sel_hi:[1,0,1]
	s_nop 0
	v_pk_add_f32 v[190:191], v[190:191], v[192:193]
	v_and_b32_e32 v192, 0xffff0000, v160
	v_pk_add_f32 v[216:217], v[190:191], v[216:217]
	v_lshlrev_b32_e32 v191, 16, v52
	v_lshlrev_b32_e32 v190, 16, v160
	v_pk_mul_f32 v[190:191], v[18:19], v[190:191] op_sel_hi:[0,1]
	v_accvgpr_read_b32 v19, a51
	v_lshlrev_b32_e32 v193, 16, v19
	v_accvgpr_read_b32 v19, a57
	v_and_b32_e32 v197, 0xffff0000, v19
	v_lshlrev_b32_e32 v196, 16, v19
	v_accvgpr_read_b32 v19, a60
	v_pk_mul_f32 v[192:193], v[194:195], v[192:193] op_sel_hi:[0,1]
	v_pk_fma_f32 v[190:191], v[196:197], v[38:39], v[190:191] op_sel_hi:[1,0,1]
	v_and_b32_e32 v197, 0xffff0000, v19
	v_lshlrev_b32_e32 v196, 16, v19
	v_accvgpr_read_b32 v19, a69
	v_pk_fma_f32 v[192:193], v[196:197], v[198:199], v[192:193] op_sel_hi:[1,0,1]
	v_and_b32_e32 v197, 0xffff0000, v19
	v_lshlrev_b32_e32 v196, 16, v19
	v_accvgpr_read_b32 v19, a75
	v_pk_fma_f32 v[190:191], v[196:197], v[30:31], v[190:191] op_sel_hi:[1,0,1]
	v_and_b32_e32 v197, 0xffff0000, v19
	v_lshlrev_b32_e32 v196, 16, v19
	v_pk_fma_f32 v[192:193], v[196:197], v[200:201], v[192:193] op_sel_hi:[1,0,1]
	v_and_b32_e32 v197, 0xffff0000, v85
	v_lshlrev_b32_e32 v196, 16, v85
	v_pk_fma_f32 v[190:191], v[196:197], v[22:23], v[190:191] op_sel_hi:[1,0,1]
	v_and_b32_e32 v197, 0xffff0000, v55
	v_lshlrev_b32_e32 v196, 16, v55
	;; [unrolled: 32-line block ×4, first 2 shown]
	v_pk_fma_f32 v[192:193], v[196:197], v[202:203], v[192:193] op_sel_hi:[1,0,1]
	v_accvgpr_read_b32 v23, a48
	v_pk_add_f32 v[190:191], v[190:191], v[192:193]
	s_nop 0
	v_pk_add_f32 v[210:211], v[190:191], v[210:211]
	v_lshlrev_b32_e32 v191, 16, v128
	v_lshlrev_b32_e32 v190, 16, v172
	v_pk_mul_f32 v[18:19], v[18:19], v[190:191] op_sel_hi:[0,1]
	v_lshlrev_b32_e32 v191, 16, v23
	v_accvgpr_read_b32 v23, a63
	v_and_b32_e32 v190, 0xffff0000, v172
	v_and_b32_e32 v193, 0xffff0000, v23
	v_lshlrev_b32_e32 v192, 16, v23
	v_accvgpr_read_b32 v23, a65
	v_pk_mul_f32 v[190:191], v[194:195], v[190:191] op_sel_hi:[0,1]
	v_pk_fma_f32 v[18:19], v[192:193], v[38:39], v[18:19] op_sel_hi:[1,0,1]
	v_and_b32_e32 v39, 0xffff0000, v23
	v_lshlrev_b32_e32 v38, 16, v23
	v_accvgpr_read_b32 v23, a66
	v_pk_fma_f32 v[38:39], v[38:39], v[198:199], v[190:191] op_sel_hi:[1,0,1]
	v_and_b32_e32 v191, 0xffff0000, v23
	v_lshlrev_b32_e32 v190, 16, v23
	v_accvgpr_read_b32 v23, a72
	v_pk_fma_f32 v[18:19], v[190:191], v[30:31], v[18:19] op_sel_hi:[1,0,1]
	v_and_b32_e32 v31, 0xffff0000, v23
	v_lshlrev_b32_e32 v30, 16, v23
	v_pk_fma_f32 v[30:31], v[30:31], v[200:201], v[38:39] op_sel_hi:[1,0,1]
	v_and_b32_e32 v39, 0xffff0000, v183
	v_lshlrev_b32_e32 v38, 16, v183
	;; [unrolled: 3-line block ×3, first 2 shown]
	v_pk_fma_f32 v[22:23], v[22:23], v[202:203], v[30:31] op_sel_hi:[1,0,1]
	s_nop 0
	v_pk_add_f32 v[18:19], v[18:19], v[22:23]
	s_nop 0
	v_pk_add_f32 v[208:209], v[18:19], v[208:209]
	v_add_u32_e32 v18, 0x600, v220
	v_cmp_gt_u32_e32 vcc, s6, v18
	s_and_saveexec_b64 s[20:21], vcc
	s_cbranch_execz .LBB38_6
; %bb.22:                               ;   in Loop: Header=BB38_10 Depth=2
	v_and_b32_e32 v19, 0xffff0000, v0
	v_lshlrev_b32_e32 v18, 16, v0
	v_and_b32_e32 v23, 0xffff0000, v32
	v_lshlrev_b32_e32 v22, 16, v32
	v_pk_mul_f32 v[22:23], v[22:23], v[18:19]
	v_and_b32_e32 v31, 0xffff0000, v33
	v_lshlrev_b32_e32 v30, 16, v33
	v_and_b32_e32 v39, 0xffff0000, v1
	v_lshlrev_b32_e32 v38, 16, v1
	v_pk_fma_f32 v[22:23], v[30:31], v[38:39], v[22:23]
	v_and_b32_e32 v191, 0xffff0000, v34
	v_lshlrev_b32_e32 v190, 16, v34
	v_and_b32_e32 v31, 0xffff0000, v2
	v_lshlrev_b32_e32 v30, 16, v2
	v_pk_fma_f32 v[190:191], v[190:191], v[30:31], v[22:23]
	;; [unrolled: 5-line block ×3, first 2 shown]
	v_mov_b32_e32 v194, v19
	v_add_f32_e32 v51, v190, v191
	v_add_f32_e32 v185, v51, v185
	v_accvgpr_read_b32 v51, a44
	v_and_b32_e32 v191, 0xffff0000, v51
	v_lshlrev_b32_e32 v190, 16, v51
	v_pk_mul_f32 v[190:191], v[18:19], v[190:191] op_sel_hi:[0,1]
	v_accvgpr_read_b32 v51, a47
	v_accvgpr_read_b32 v19, a45
	v_and_b32_e32 v193, 0xffff0000, v51
	v_lshlrev_b32_e32 v192, 16, v51
	v_and_b32_e32 v197, 0xffff0000, v19
	v_lshlrev_b32_e32 v196, 16, v19
	v_accvgpr_read_b32 v19, a46
	v_pk_mul_f32 v[192:193], v[194:195], v[192:193] op_sel_hi:[0,1]
	v_pk_fma_f32 v[190:191], v[196:197], v[38:39], v[190:191] op_sel_hi:[1,0,1]
	v_and_b32_e32 v197, 0xffff0000, v19
	v_lshlrev_b32_e32 v196, 16, v19
	v_mov_b32_e32 v198, v39
	v_pk_fma_f32 v[192:193], v[196:197], v[198:199], v[192:193] op_sel_hi:[1,0,1]
	v_and_b32_e32 v197, 0xffff0000, v244
	v_lshlrev_b32_e32 v196, 16, v244
	v_pk_fma_f32 v[190:191], v[196:197], v[30:31], v[190:191] op_sel_hi:[1,0,1]
	v_and_b32_e32 v197, 0xffff0000, v182
	v_lshlrev_b32_e32 v196, 16, v182
	v_mov_b32_e32 v200, v31
	v_accvgpr_read_b32 v19, a42
	v_pk_fma_f32 v[192:193], v[196:197], v[200:201], v[192:193] op_sel_hi:[1,0,1]
	v_and_b32_e32 v197, 0xffff0000, v19
	v_lshlrev_b32_e32 v196, 16, v19
	v_accvgpr_read_b32 v19, a43
	v_pk_fma_f32 v[190:191], v[196:197], v[22:23], v[190:191] op_sel_hi:[1,0,1]
	v_and_b32_e32 v197, 0xffff0000, v19
	v_lshlrev_b32_e32 v196, 16, v19
	v_mov_b32_e32 v202, v23
	v_pk_fma_f32 v[192:193], v[196:197], v[202:203], v[192:193] op_sel_hi:[1,0,1]
	v_accvgpr_read_b32 v19, a25
	v_pk_add_f32 v[190:191], v[190:191], v[192:193]
	s_nop 0
	v_pk_add_f32 v[218:219], v[190:191], v[218:219]
	v_and_b32_e32 v191, 0xffff0000, v19
	v_lshlrev_b32_e32 v190, 16, v19
	v_pk_mul_f32 v[190:191], v[18:19], v[190:191] op_sel_hi:[0,1]
	v_accvgpr_read_b32 v19, a31
	v_and_b32_e32 v193, 0xffff0000, v19
	v_lshlrev_b32_e32 v192, 16, v19
	v_accvgpr_read_b32 v19, a39
	v_and_b32_e32 v197, 0xffff0000, v19
	v_lshlrev_b32_e32 v196, 16, v19
	v_accvgpr_read_b32 v19, a41
	v_pk_mul_f32 v[192:193], v[194:195], v[192:193] op_sel_hi:[0,1]
	v_pk_fma_f32 v[190:191], v[196:197], v[38:39], v[190:191] op_sel_hi:[1,0,1]
	v_and_b32_e32 v197, 0xffff0000, v19
	v_lshlrev_b32_e32 v196, 16, v19
	v_pk_fma_f32 v[192:193], v[196:197], v[198:199], v[192:193] op_sel_hi:[1,0,1]
	v_and_b32_e32 v197, 0xffff0000, v249
	v_lshlrev_b32_e32 v196, 16, v249
	;; [unrolled: 3-line block ×3, first 2 shown]
	v_accvgpr_read_b32 v19, a13
	v_pk_fma_f32 v[192:193], v[196:197], v[200:201], v[192:193] op_sel_hi:[1,0,1]
	v_and_b32_e32 v197, 0xffff0000, v19
	v_lshlrev_b32_e32 v196, 16, v19
	v_accvgpr_read_b32 v19, a15
	v_pk_fma_f32 v[190:191], v[196:197], v[22:23], v[190:191] op_sel_hi:[1,0,1]
	v_and_b32_e32 v197, 0xffff0000, v19
	v_lshlrev_b32_e32 v196, 16, v19
	v_pk_fma_f32 v[192:193], v[196:197], v[202:203], v[192:193] op_sel_hi:[1,0,1]
	v_accvgpr_read_b32 v19, a23
	v_pk_add_f32 v[190:191], v[190:191], v[192:193]
	s_nop 0
	v_pk_add_f32 v[216:217], v[190:191], v[216:217]
	v_and_b32_e32 v191, 0xffff0000, v19
	v_lshlrev_b32_e32 v190, 16, v19
	v_pk_mul_f32 v[190:191], v[18:19], v[190:191] op_sel_hi:[0,1]
	v_accvgpr_read_b32 v19, a30
	v_and_b32_e32 v193, 0xffff0000, v19
	v_lshlrev_b32_e32 v192, 16, v19
	v_accvgpr_read_b32 v19, a37
	v_and_b32_e32 v197, 0xffff0000, v19
	v_lshlrev_b32_e32 v196, 16, v19
	v_accvgpr_read_b32 v19, a40
	v_pk_mul_f32 v[192:193], v[194:195], v[192:193] op_sel_hi:[0,1]
	v_pk_fma_f32 v[190:191], v[196:197], v[38:39], v[190:191] op_sel_hi:[1,0,1]
	v_and_b32_e32 v197, 0xffff0000, v19
	v_lshlrev_b32_e32 v196, 16, v19
	v_pk_fma_f32 v[192:193], v[196:197], v[198:199], v[192:193] op_sel_hi:[1,0,1]
	v_and_b32_e32 v197, 0xffff0000, v255
	v_lshlrev_b32_e32 v196, 16, v255
	;; [unrolled: 3-line block ×3, first 2 shown]
	v_accvgpr_read_b32 v19, a10
	v_pk_fma_f32 v[192:193], v[196:197], v[200:201], v[192:193] op_sel_hi:[1,0,1]
	v_and_b32_e32 v197, 0xffff0000, v19
	v_lshlrev_b32_e32 v196, 16, v19
	v_accvgpr_read_b32 v19, a11
	v_pk_fma_f32 v[190:191], v[196:197], v[22:23], v[190:191] op_sel_hi:[1,0,1]
	v_and_b32_e32 v197, 0xffff0000, v19
	v_lshlrev_b32_e32 v196, 16, v19
	v_pk_fma_f32 v[192:193], v[196:197], v[202:203], v[192:193] op_sel_hi:[1,0,1]
	v_accvgpr_read_b32 v19, a21
	v_pk_add_f32 v[190:191], v[190:191], v[192:193]
	s_nop 0
	v_pk_add_f32 v[214:215], v[190:191], v[214:215]
	v_and_b32_e32 v191, 0xffff0000, v19
	v_lshlrev_b32_e32 v190, 16, v19
	v_pk_mul_f32 v[190:191], v[18:19], v[190:191] op_sel_hi:[0,1]
	v_accvgpr_read_b32 v19, a29
	v_and_b32_e32 v193, 0xffff0000, v19
	v_lshlrev_b32_e32 v192, 16, v19
	v_accvgpr_read_b32 v19, a35
	v_and_b32_e32 v197, 0xffff0000, v19
	v_lshlrev_b32_e32 v196, 16, v19
	v_accvgpr_read_b32 v19, a38
	v_pk_mul_f32 v[192:193], v[194:195], v[192:193] op_sel_hi:[0,1]
	v_pk_fma_f32 v[190:191], v[196:197], v[38:39], v[190:191] op_sel_hi:[1,0,1]
	v_and_b32_e32 v197, 0xffff0000, v19
	v_lshlrev_b32_e32 v196, 16, v19
	v_pk_fma_f32 v[192:193], v[196:197], v[198:199], v[192:193] op_sel_hi:[1,0,1]
	v_and_b32_e32 v197, 0xffff0000, v247
	v_lshlrev_b32_e32 v196, 16, v247
	;; [unrolled: 3-line block ×4, first 2 shown]
	v_accvgpr_read_b32 v19, a9
	v_pk_fma_f32 v[190:191], v[196:197], v[22:23], v[190:191] op_sel_hi:[1,0,1]
	v_and_b32_e32 v197, 0xffff0000, v19
	v_lshlrev_b32_e32 v196, 16, v19
	v_pk_fma_f32 v[192:193], v[196:197], v[202:203], v[192:193] op_sel_hi:[1,0,1]
	v_accvgpr_read_b32 v19, a19
	v_pk_add_f32 v[190:191], v[190:191], v[192:193]
	s_nop 0
	v_pk_add_f32 v[212:213], v[190:191], v[212:213]
	v_and_b32_e32 v191, 0xffff0000, v19
	v_lshlrev_b32_e32 v190, 16, v19
	v_pk_mul_f32 v[190:191], v[18:19], v[190:191] op_sel_hi:[0,1]
	v_accvgpr_read_b32 v19, a28
	v_and_b32_e32 v193, 0xffff0000, v19
	v_lshlrev_b32_e32 v192, 16, v19
	v_accvgpr_read_b32 v19, a33
	v_and_b32_e32 v197, 0xffff0000, v19
	v_lshlrev_b32_e32 v196, 16, v19
	v_accvgpr_read_b32 v19, a36
	v_pk_mul_f32 v[192:193], v[194:195], v[192:193] op_sel_hi:[0,1]
	v_pk_fma_f32 v[190:191], v[196:197], v[38:39], v[190:191] op_sel_hi:[1,0,1]
	v_and_b32_e32 v197, 0xffff0000, v19
	v_lshlrev_b32_e32 v196, 16, v19
	v_pk_fma_f32 v[192:193], v[196:197], v[198:199], v[192:193] op_sel_hi:[1,0,1]
	v_and_b32_e32 v197, 0xffff0000, v252
	v_lshlrev_b32_e32 v196, 16, v252
	;; [unrolled: 3-line block ×3, first 2 shown]
	v_accvgpr_read_b32 v19, a8
	v_pk_fma_f32 v[192:193], v[196:197], v[200:201], v[192:193] op_sel_hi:[1,0,1]
	v_and_b32_e32 v197, 0xffff0000, v19
	v_lshlrev_b32_e32 v196, 16, v19
	v_pk_fma_f32 v[190:191], v[196:197], v[22:23], v[190:191] op_sel_hi:[1,0,1]
	v_and_b32_e32 v197, 0xffff0000, v205
	v_lshlrev_b32_e32 v196, 16, v205
	v_pk_fma_f32 v[192:193], v[196:197], v[202:203], v[192:193] op_sel_hi:[1,0,1]
	v_accvgpr_read_b32 v19, a17
	v_pk_add_f32 v[190:191], v[190:191], v[192:193]
	v_accvgpr_read_b32 v23, a27
	v_pk_add_f32 v[210:211], v[190:191], v[210:211]
	v_and_b32_e32 v191, 0xffff0000, v19
	v_lshlrev_b32_e32 v190, 16, v19
	v_pk_mul_f32 v[18:19], v[18:19], v[190:191] op_sel_hi:[0,1]
	v_and_b32_e32 v191, 0xffff0000, v23
	v_lshlrev_b32_e32 v190, 16, v23
	v_accvgpr_read_b32 v23, a32
	v_and_b32_e32 v193, 0xffff0000, v23
	v_lshlrev_b32_e32 v192, 16, v23
	v_accvgpr_read_b32 v23, a34
	v_pk_mul_f32 v[190:191], v[194:195], v[190:191] op_sel_hi:[0,1]
	v_pk_fma_f32 v[18:19], v[192:193], v[38:39], v[18:19] op_sel_hi:[1,0,1]
	v_and_b32_e32 v39, 0xffff0000, v23
	v_lshlrev_b32_e32 v38, 16, v23
	v_pk_fma_f32 v[38:39], v[38:39], v[198:199], v[190:191] op_sel_hi:[1,0,1]
	v_and_b32_e32 v191, 0xffff0000, v248
	v_lshlrev_b32_e32 v190, 16, v248
	v_pk_fma_f32 v[18:19], v[190:191], v[30:31], v[18:19] op_sel_hi:[1,0,1]
	v_and_b32_e32 v31, 0xffff0000, v250
	v_lshlrev_b32_e32 v30, 16, v250
	v_accvgpr_read_b32 v23, a6
	v_pk_fma_f32 v[30:31], v[30:31], v[200:201], v[38:39] op_sel_hi:[1,0,1]
	v_and_b32_e32 v39, 0xffff0000, v23
	v_lshlrev_b32_e32 v38, 16, v23
	v_pk_fma_f32 v[18:19], v[38:39], v[22:23], v[18:19] op_sel_hi:[1,0,1]
	v_accvgpr_read_b32 v22, a7
	v_and_b32_e32 v23, 0xffff0000, v22
	v_lshlrev_b32_e32 v22, 16, v22
	v_pk_fma_f32 v[22:23], v[22:23], v[202:203], v[30:31] op_sel_hi:[1,0,1]
	s_nop 0
	v_pk_add_f32 v[18:19], v[18:19], v[22:23]
	s_nop 0
	v_pk_add_f32 v[208:209], v[18:19], v[208:209]
	s_branch .LBB38_6
.LBB38_23:                              ;   in Loop: Header=BB38_4 Depth=1
	v_mov_b32_e32 v196, v203
	v_mov_b32_e32 v194, v205
	v_lshrrev_b32_e32 v198, 16, v86
	v_lshrrev_b32_e32 v200, 16, v29
	;; [unrolled: 1-line block ×24, first 2 shown]
	s_branch .LBB38_25
.LBB38_24:                              ;   in Loop: Header=BB38_4 Depth=1
	v_lshrrev_b32_e32 v23, 16, v248
	v_lshrrev_b32_e32 v22, 16, v250
	;; [unrolled: 1-line block ×24, first 2 shown]
	v_mov_b32_e32 v219, v207
	v_mov_b32_e32 v218, v207
	;; [unrolled: 1-line block ×13, first 2 shown]
.LBB38_25:                              ;   in Loop: Header=BB38_4 Depth=1
	;;#ASMSTART
	s_nop 0
	v_add_f32 v185, v185, v185 row_shr:8 bound_ctrl:0 
	;;#ASMEND
	;;#ASMSTART
	s_nop 0
	v_add_f32 v219, v219, v219 row_shr:8 bound_ctrl:0 
	;;#ASMEND
	;;#ASMSTART
	s_nop 0
	v_add_f32 v218, v218, v218 row_shr:8 bound_ctrl:0 
	;;#ASMEND
	;;#ASMSTART
	s_nop 0
	v_add_f32 v217, v217, v217 row_shr:8 bound_ctrl:0 
	;;#ASMEND
	;;#ASMSTART
	s_nop 0
	v_add_f32 v216, v216, v216 row_shr:8 bound_ctrl:0 
	;;#ASMEND
	;;#ASMSTART
	s_nop 0
	v_add_f32 v215, v215, v215 row_shr:8 bound_ctrl:0 
	;;#ASMEND
	;;#ASMSTART
	s_nop 0
	v_add_f32 v214, v214, v214 row_shr:8 bound_ctrl:0 
	;;#ASMEND
	;;#ASMSTART
	s_nop 0
	v_add_f32 v213, v213, v213 row_shr:8 bound_ctrl:0 
	;;#ASMEND
	;;#ASMSTART
	s_nop 0
	v_add_f32 v212, v212, v212 row_shr:8 bound_ctrl:0 
	;;#ASMEND
	;;#ASMSTART
	s_nop 0
	v_add_f32 v211, v211, v211 row_shr:8 bound_ctrl:0 
	;;#ASMEND
	;;#ASMSTART
	s_nop 0
	v_add_f32 v210, v210, v210 row_shr:8 bound_ctrl:0 
	;;#ASMEND
	;;#ASMSTART
	s_nop 0
	v_add_f32 v209, v209, v209 row_shr:8 bound_ctrl:0 
	;;#ASMEND
	;;#ASMSTART
	s_nop 0
	v_add_f32 v208, v208, v208 row_shr:8 bound_ctrl:0 
	;;#ASMEND
	s_nop 0
	;;#ASMSTART
	s_nop 0
	v_add_f32 v185, v185, v185 row_shr:4 bound_ctrl:0 
	;;#ASMEND
	;;#ASMSTART
	s_nop 0
	v_add_f32 v219, v219, v219 row_shr:4 bound_ctrl:0 
	;;#ASMEND
	;;#ASMSTART
	s_nop 0
	v_add_f32 v218, v218, v218 row_shr:4 bound_ctrl:0 
	;;#ASMEND
	;;#ASMSTART
	s_nop 0
	v_add_f32 v217, v217, v217 row_shr:4 bound_ctrl:0 
	;;#ASMEND
	;;#ASMSTART
	s_nop 0
	v_add_f32 v216, v216, v216 row_shr:4 bound_ctrl:0 
	;;#ASMEND
	;;#ASMSTART
	s_nop 0
	v_add_f32 v215, v215, v215 row_shr:4 bound_ctrl:0 
	;;#ASMEND
	;;#ASMSTART
	s_nop 0
	v_add_f32 v214, v214, v214 row_shr:4 bound_ctrl:0 
	;;#ASMEND
	;;#ASMSTART
	s_nop 0
	v_add_f32 v213, v213, v213 row_shr:4 bound_ctrl:0 
	;;#ASMEND
	;;#ASMSTART
	s_nop 0
	v_add_f32 v212, v212, v212 row_shr:4 bound_ctrl:0 
	;;#ASMEND
	;;#ASMSTART
	s_nop 0
	v_add_f32 v211, v211, v211 row_shr:4 bound_ctrl:0 
	;;#ASMEND
	;;#ASMSTART
	s_nop 0
	v_add_f32 v210, v210, v210 row_shr:4 bound_ctrl:0 
	;;#ASMEND
	;;#ASMSTART
	s_nop 0
	v_add_f32 v209, v209, v209 row_shr:4 bound_ctrl:0 
	;;#ASMEND
	;;#ASMSTART
	s_nop 0
	v_add_f32 v208, v208, v208 row_shr:4 bound_ctrl:0 
	;;#ASMEND
	s_nop 0
	;; [unrolled: 53-line block ×3, first 2 shown]
	;;#ASMSTART
	s_nop 0
	v_add_f32 v185, v185, v185 wave_shr:1 bound_ctrl:0
	;;#ASMEND
	;;#ASMSTART
	s_nop 0
	v_add_f32 v219, v219, v219 wave_shr:1 bound_ctrl:0
	;;#ASMEND
	;;#ASMSTART
	s_nop 0
	v_add_f32 v218, v218, v218 wave_shr:1 bound_ctrl:0
	;;#ASMEND
	;;#ASMSTART
	s_nop 0
	v_add_f32 v217, v217, v217 wave_shr:1 bound_ctrl:0
	;;#ASMEND
	;;#ASMSTART
	s_nop 0
	v_add_f32 v216, v216, v216 wave_shr:1 bound_ctrl:0
	;;#ASMEND
	;;#ASMSTART
	s_nop 0
	v_add_f32 v215, v215, v215 wave_shr:1 bound_ctrl:0
	;;#ASMEND
	;;#ASMSTART
	s_nop 0
	v_add_f32 v214, v214, v214 wave_shr:1 bound_ctrl:0
	;;#ASMEND
	;;#ASMSTART
	s_nop 0
	v_add_f32 v213, v213, v213 wave_shr:1 bound_ctrl:0
	;;#ASMEND
	;;#ASMSTART
	s_nop 0
	v_add_f32 v212, v212, v212 wave_shr:1 bound_ctrl:0
	;;#ASMEND
	;;#ASMSTART
	s_nop 0
	v_add_f32 v211, v211, v211 wave_shr:1 bound_ctrl:0
	;;#ASMEND
	;;#ASMSTART
	s_nop 0
	v_add_f32 v210, v210, v210 wave_shr:1 bound_ctrl:0
	;;#ASMEND
	;;#ASMSTART
	s_nop 0
	v_add_f32 v209, v209, v209 wave_shr:1 bound_ctrl:0
	;;#ASMEND
	;;#ASMSTART
	s_nop 0
	v_add_f32 v208, v208, v208 wave_shr:1 bound_ctrl:0
	;;#ASMEND
	s_nop 0
	;;#ASMSTART
	s_nop 0
	v_add_f32 v185, v185, v185 row_bcast:15 bound_ctrl:0
	;;#ASMEND
	;;#ASMSTART
	s_nop 0
	v_add_f32 v219, v219, v219 row_bcast:15 bound_ctrl:0
	;;#ASMEND
	;; [unrolled: 4-line block ×13, first 2 shown]
	s_nop 0
	;;#ASMSTART
	s_nop 0
	v_add_f32 v185, v185, v185 row_bcast:31 bound_ctrl:0
	;;#ASMEND
	;;#ASMSTART
	s_nop 0
	v_add_f32 v219, v219, v219 row_bcast:31 bound_ctrl:0
	;;#ASMEND
	;; [unrolled: 4-line block ×13, first 2 shown]
	s_and_saveexec_b64 s[4:5], s[0:1]
	s_cbranch_execz .LBB38_3
; %bb.26:                               ;   in Loop: Header=BB38_4 Depth=1
	v_and_b32_e32 v30, 0x7f800000, v185
	v_cmp_ne_u32_e32 vcc, s28, v30
                                        ; implicit-def: $vgpr206
	s_and_saveexec_b64 s[16:17], vcc
	s_xor_b64 s[16:17], exec, s[16:17]
; %bb.27:                               ;   in Loop: Header=BB38_4 Depth=1
	v_bfe_u32 v30, v185, 16, 1
	v_add3_u32 v206, v185, v30, s29
                                        ; implicit-def: $vgpr185
; %bb.28:                               ;   in Loop: Header=BB38_4 Depth=1
	s_andn2_saveexec_b64 s[16:17], s[16:17]
; %bb.29:                               ;   in Loop: Header=BB38_4 Depth=1
	v_or_b32_e32 v30, 0x10000, v185
	v_cmp_eq_u32_sdwa vcc, v185, v207 src0_sel:WORD_0 src1_sel:DWORD
	s_nop 1
	v_cndmask_b32_e32 v206, v30, v185, vcc
; %bb.30:                               ;   in Loop: Header=BB38_4 Depth=1
	s_or_b64 exec, exec, s[16:17]
	v_accvgpr_read_b32 v30, a0
	v_mov_b32_e32 v31, v207
	s_waitcnt lgkmcnt(0)
	v_lshl_add_u64 v[30:31], v[30:31], 1, s[12:13]
	global_store_short_d16_hi v[30:31], v206, off
	v_and_b32_e32 v30, 0x7f800000, v219
	v_cmp_ne_u32_e32 vcc, s28, v30
                                        ; implicit-def: $vgpr185
	s_and_saveexec_b64 s[16:17], vcc
	s_xor_b64 s[16:17], exec, s[16:17]
; %bb.31:                               ;   in Loop: Header=BB38_4 Depth=1
	v_bfe_u32 v30, v219, 16, 1
	v_add3_u32 v185, v219, v30, s29
; %bb.32:                               ;   in Loop: Header=BB38_4 Depth=1
	s_andn2_saveexec_b64 s[16:17], s[16:17]
; %bb.33:                               ;   in Loop: Header=BB38_4 Depth=1
	v_or_b32_e32 v30, 0x10000, v219
	v_cmp_eq_u32_sdwa vcc, v219, v207 src0_sel:WORD_0 src1_sel:DWORD
	s_nop 1
	v_cndmask_b32_e32 v185, v30, v219, vcc
; %bb.34:                               ;   in Loop: Header=BB38_4 Depth=1
	s_or_b64 exec, exec, s[16:17]
	v_accvgpr_read_b32 v30, a0
	v_add_u32_e32 v206, s7, v30
	v_lshl_add_u64 v[30:31], v[206:207], 1, s[12:13]
	global_store_short_d16_hi v[30:31], v185, off
	v_and_b32_e32 v30, 0x7f800000, v218
	v_cmp_ne_u32_e32 vcc, s28, v30
                                        ; implicit-def: $vgpr185
	s_and_saveexec_b64 s[16:17], vcc
	s_xor_b64 s[16:17], exec, s[16:17]
; %bb.35:                               ;   in Loop: Header=BB38_4 Depth=1
	v_bfe_u32 v30, v218, 16, 1
	v_add3_u32 v185, v218, v30, s29
                                        ; implicit-def: $vgpr218
; %bb.36:                               ;   in Loop: Header=BB38_4 Depth=1
	s_andn2_saveexec_b64 s[16:17], s[16:17]
; %bb.37:                               ;   in Loop: Header=BB38_4 Depth=1
	v_or_b32_e32 v30, 0x10000, v218
	v_cmp_eq_u32_sdwa vcc, v218, v207 src0_sel:WORD_0 src1_sel:DWORD
	s_nop 1
	v_cndmask_b32_e32 v185, v30, v218, vcc
; %bb.38:                               ;   in Loop: Header=BB38_4 Depth=1
	s_or_b64 exec, exec, s[16:17]
	v_add_u32_e32 v206, s7, v206
	v_lshl_add_u64 v[30:31], v[206:207], 1, s[12:13]
	global_store_short_d16_hi v[30:31], v185, off
	v_and_b32_e32 v30, 0x7f800000, v217
	v_cmp_ne_u32_e32 vcc, s28, v30
                                        ; implicit-def: $vgpr185
	s_and_saveexec_b64 s[16:17], vcc
	s_xor_b64 s[16:17], exec, s[16:17]
; %bb.39:                               ;   in Loop: Header=BB38_4 Depth=1
	v_bfe_u32 v30, v217, 16, 1
	v_add3_u32 v185, v217, v30, s29
; %bb.40:                               ;   in Loop: Header=BB38_4 Depth=1
	s_andn2_saveexec_b64 s[16:17], s[16:17]
; %bb.41:                               ;   in Loop: Header=BB38_4 Depth=1
	v_or_b32_e32 v30, 0x10000, v217
	v_cmp_eq_u32_sdwa vcc, v217, v207 src0_sel:WORD_0 src1_sel:DWORD
	s_nop 1
	v_cndmask_b32_e32 v185, v30, v217, vcc
; %bb.42:                               ;   in Loop: Header=BB38_4 Depth=1
	s_or_b64 exec, exec, s[16:17]
	v_add_u32_e32 v206, s7, v206
	v_lshl_add_u64 v[30:31], v[206:207], 1, s[12:13]
	global_store_short_d16_hi v[30:31], v185, off
	v_and_b32_e32 v30, 0x7f800000, v216
	v_cmp_ne_u32_e32 vcc, s28, v30
                                        ; implicit-def: $vgpr185
	s_and_saveexec_b64 s[16:17], vcc
	s_xor_b64 s[16:17], exec, s[16:17]
; %bb.43:                               ;   in Loop: Header=BB38_4 Depth=1
	v_bfe_u32 v30, v216, 16, 1
	v_add3_u32 v185, v216, v30, s29
                                        ; implicit-def: $vgpr216
; %bb.44:                               ;   in Loop: Header=BB38_4 Depth=1
	s_andn2_saveexec_b64 s[16:17], s[16:17]
; %bb.45:                               ;   in Loop: Header=BB38_4 Depth=1
	v_or_b32_e32 v30, 0x10000, v216
	v_cmp_eq_u32_sdwa vcc, v216, v207 src0_sel:WORD_0 src1_sel:DWORD
	s_nop 1
	v_cndmask_b32_e32 v185, v30, v216, vcc
; %bb.46:                               ;   in Loop: Header=BB38_4 Depth=1
	s_or_b64 exec, exec, s[16:17]
	v_add_u32_e32 v206, s7, v206
	v_lshl_add_u64 v[30:31], v[206:207], 1, s[12:13]
	global_store_short_d16_hi v[30:31], v185, off
	v_and_b32_e32 v30, 0x7f800000, v215
	v_cmp_ne_u32_e32 vcc, s28, v30
                                        ; implicit-def: $vgpr185
	s_and_saveexec_b64 s[16:17], vcc
	s_xor_b64 s[16:17], exec, s[16:17]
; %bb.47:                               ;   in Loop: Header=BB38_4 Depth=1
	v_bfe_u32 v30, v215, 16, 1
	v_add3_u32 v185, v215, v30, s29
; %bb.48:                               ;   in Loop: Header=BB38_4 Depth=1
	s_andn2_saveexec_b64 s[16:17], s[16:17]
; %bb.49:                               ;   in Loop: Header=BB38_4 Depth=1
	v_or_b32_e32 v30, 0x10000, v215
	v_cmp_eq_u32_sdwa vcc, v215, v207 src0_sel:WORD_0 src1_sel:DWORD
	s_nop 1
	v_cndmask_b32_e32 v185, v30, v215, vcc
; %bb.50:                               ;   in Loop: Header=BB38_4 Depth=1
	s_or_b64 exec, exec, s[16:17]
	v_add_u32_e32 v206, s7, v206
	v_lshl_add_u64 v[30:31], v[206:207], 1, s[12:13]
	global_store_short_d16_hi v[30:31], v185, off
	v_and_b32_e32 v30, 0x7f800000, v214
	v_cmp_ne_u32_e32 vcc, s28, v30
                                        ; implicit-def: $vgpr185
	s_and_saveexec_b64 s[16:17], vcc
	s_xor_b64 s[16:17], exec, s[16:17]
; %bb.51:                               ;   in Loop: Header=BB38_4 Depth=1
	v_bfe_u32 v30, v214, 16, 1
	v_add3_u32 v185, v214, v30, s29
                                        ; implicit-def: $vgpr214
; %bb.52:                               ;   in Loop: Header=BB38_4 Depth=1
	s_andn2_saveexec_b64 s[16:17], s[16:17]
; %bb.53:                               ;   in Loop: Header=BB38_4 Depth=1
	v_or_b32_e32 v30, 0x10000, v214
	v_cmp_eq_u32_sdwa vcc, v214, v207 src0_sel:WORD_0 src1_sel:DWORD
	s_nop 1
	v_cndmask_b32_e32 v185, v30, v214, vcc
; %bb.54:                               ;   in Loop: Header=BB38_4 Depth=1
	s_or_b64 exec, exec, s[16:17]
	v_add_u32_e32 v206, s7, v206
	v_lshl_add_u64 v[30:31], v[206:207], 1, s[12:13]
	global_store_short_d16_hi v[30:31], v185, off
	v_and_b32_e32 v30, 0x7f800000, v213
	v_cmp_ne_u32_e32 vcc, s28, v30
                                        ; implicit-def: $vgpr185
	s_and_saveexec_b64 s[16:17], vcc
	s_xor_b64 s[16:17], exec, s[16:17]
; %bb.55:                               ;   in Loop: Header=BB38_4 Depth=1
	v_bfe_u32 v30, v213, 16, 1
	v_add3_u32 v185, v213, v30, s29
; %bb.56:                               ;   in Loop: Header=BB38_4 Depth=1
	s_andn2_saveexec_b64 s[16:17], s[16:17]
; %bb.57:                               ;   in Loop: Header=BB38_4 Depth=1
	v_or_b32_e32 v30, 0x10000, v213
	v_cmp_eq_u32_sdwa vcc, v213, v207 src0_sel:WORD_0 src1_sel:DWORD
	s_nop 1
	v_cndmask_b32_e32 v185, v30, v213, vcc
; %bb.58:                               ;   in Loop: Header=BB38_4 Depth=1
	s_or_b64 exec, exec, s[16:17]
	v_add_u32_e32 v206, s7, v206
	v_lshl_add_u64 v[30:31], v[206:207], 1, s[12:13]
	global_store_short_d16_hi v[30:31], v185, off
	v_and_b32_e32 v30, 0x7f800000, v212
	v_cmp_ne_u32_e32 vcc, s28, v30
                                        ; implicit-def: $vgpr185
	s_and_saveexec_b64 s[16:17], vcc
	s_xor_b64 s[16:17], exec, s[16:17]
; %bb.59:                               ;   in Loop: Header=BB38_4 Depth=1
	v_bfe_u32 v30, v212, 16, 1
	v_add3_u32 v185, v212, v30, s29
                                        ; implicit-def: $vgpr212
; %bb.60:                               ;   in Loop: Header=BB38_4 Depth=1
	s_andn2_saveexec_b64 s[16:17], s[16:17]
; %bb.61:                               ;   in Loop: Header=BB38_4 Depth=1
	v_or_b32_e32 v30, 0x10000, v212
	v_cmp_eq_u32_sdwa vcc, v212, v207 src0_sel:WORD_0 src1_sel:DWORD
	s_nop 1
	v_cndmask_b32_e32 v185, v30, v212, vcc
; %bb.62:                               ;   in Loop: Header=BB38_4 Depth=1
	s_or_b64 exec, exec, s[16:17]
	v_add_u32_e32 v206, s7, v206
	v_lshl_add_u64 v[30:31], v[206:207], 1, s[12:13]
	global_store_short_d16_hi v[30:31], v185, off
	v_and_b32_e32 v30, 0x7f800000, v211
	v_cmp_ne_u32_e32 vcc, s28, v30
                                        ; implicit-def: $vgpr185
	s_and_saveexec_b64 s[16:17], vcc
	s_xor_b64 s[16:17], exec, s[16:17]
; %bb.63:                               ;   in Loop: Header=BB38_4 Depth=1
	v_bfe_u32 v30, v211, 16, 1
	v_add3_u32 v185, v211, v30, s29
; %bb.64:                               ;   in Loop: Header=BB38_4 Depth=1
	s_andn2_saveexec_b64 s[16:17], s[16:17]
; %bb.65:                               ;   in Loop: Header=BB38_4 Depth=1
	v_or_b32_e32 v30, 0x10000, v211
	v_cmp_eq_u32_sdwa vcc, v211, v207 src0_sel:WORD_0 src1_sel:DWORD
	s_nop 1
	v_cndmask_b32_e32 v185, v30, v211, vcc
; %bb.66:                               ;   in Loop: Header=BB38_4 Depth=1
	s_or_b64 exec, exec, s[16:17]
	v_add_u32_e32 v206, s7, v206
	v_lshl_add_u64 v[30:31], v[206:207], 1, s[12:13]
	global_store_short_d16_hi v[30:31], v185, off
	v_and_b32_e32 v30, 0x7f800000, v210
	v_cmp_ne_u32_e32 vcc, s28, v30
                                        ; implicit-def: $vgpr185
	s_and_saveexec_b64 s[16:17], vcc
	s_xor_b64 s[16:17], exec, s[16:17]
; %bb.67:                               ;   in Loop: Header=BB38_4 Depth=1
	v_bfe_u32 v30, v210, 16, 1
	v_add3_u32 v185, v210, v30, s29
                                        ; implicit-def: $vgpr210
; %bb.68:                               ;   in Loop: Header=BB38_4 Depth=1
	s_andn2_saveexec_b64 s[16:17], s[16:17]
; %bb.69:                               ;   in Loop: Header=BB38_4 Depth=1
	v_or_b32_e32 v30, 0x10000, v210
	v_cmp_eq_u32_sdwa vcc, v210, v207 src0_sel:WORD_0 src1_sel:DWORD
	s_nop 1
	v_cndmask_b32_e32 v185, v30, v210, vcc
; %bb.70:                               ;   in Loop: Header=BB38_4 Depth=1
	s_or_b64 exec, exec, s[16:17]
	v_add_u32_e32 v206, s7, v206
	v_lshl_add_u64 v[30:31], v[206:207], 1, s[12:13]
	global_store_short_d16_hi v[30:31], v185, off
	v_and_b32_e32 v30, 0x7f800000, v209
	v_cmp_ne_u32_e32 vcc, s28, v30
                                        ; implicit-def: $vgpr185
	s_and_saveexec_b64 s[16:17], vcc
	s_xor_b64 s[16:17], exec, s[16:17]
; %bb.71:                               ;   in Loop: Header=BB38_4 Depth=1
	v_bfe_u32 v30, v209, 16, 1
	v_add3_u32 v185, v209, v30, s29
; %bb.72:                               ;   in Loop: Header=BB38_4 Depth=1
	s_andn2_saveexec_b64 s[16:17], s[16:17]
; %bb.73:                               ;   in Loop: Header=BB38_4 Depth=1
	v_or_b32_e32 v30, 0x10000, v209
	v_cmp_eq_u32_sdwa vcc, v209, v207 src0_sel:WORD_0 src1_sel:DWORD
	s_nop 1
	v_cndmask_b32_e32 v185, v30, v209, vcc
; %bb.74:                               ;   in Loop: Header=BB38_4 Depth=1
	s_or_b64 exec, exec, s[16:17]
	v_add_u32_e32 v206, s7, v206
	v_lshl_add_u64 v[30:31], v[206:207], 1, s[12:13]
	global_store_short_d16_hi v[30:31], v185, off
	v_and_b32_e32 v30, 0x7f800000, v208
	v_cmp_ne_u32_e32 vcc, s28, v30
                                        ; implicit-def: $vgpr185
	s_and_saveexec_b64 s[16:17], vcc
	s_xor_b64 s[16:17], exec, s[16:17]
; %bb.75:                               ;   in Loop: Header=BB38_4 Depth=1
	v_bfe_u32 v30, v208, 16, 1
	v_add3_u32 v185, v208, v30, s29
                                        ; implicit-def: $vgpr208
; %bb.76:                               ;   in Loop: Header=BB38_4 Depth=1
	s_andn2_saveexec_b64 s[16:17], s[16:17]
	s_cbranch_execz .LBB38_2
; %bb.77:                               ;   in Loop: Header=BB38_4 Depth=1
	v_or_b32_e32 v30, 0x10000, v208
	v_cmp_eq_u32_sdwa vcc, v208, v207 src0_sel:WORD_0 src1_sel:DWORD
	s_nop 1
	v_cndmask_b32_e32 v185, v30, v208, vcc
	s_branch .LBB38_2
.LBB38_78:
	s_endpgm
	.section	.rodata,"a",@progbits
	.p2align	6, 0x0
	.amdhsa_kernel _ZN5aiter32wv_splitk_small_fp16_bf16_kernelI14__hip_bfloat16Li64ELi1ELi1ELi8ELi4ELi13EEEviiPKT_S4_PS2_ii
		.amdhsa_group_segment_fixed_size 0
		.amdhsa_private_segment_fixed_size 0
		.amdhsa_kernarg_size 40
		.amdhsa_user_sgpr_count 2
		.amdhsa_user_sgpr_dispatch_ptr 0
		.amdhsa_user_sgpr_queue_ptr 0
		.amdhsa_user_sgpr_kernarg_segment_ptr 1
		.amdhsa_user_sgpr_dispatch_id 0
		.amdhsa_user_sgpr_kernarg_preload_length 0
		.amdhsa_user_sgpr_kernarg_preload_offset 0
		.amdhsa_user_sgpr_private_segment_size 0
		.amdhsa_uses_dynamic_stack 0
		.amdhsa_enable_private_segment 0
		.amdhsa_system_sgpr_workgroup_id_x 1
		.amdhsa_system_sgpr_workgroup_id_y 0
		.amdhsa_system_sgpr_workgroup_id_z 0
		.amdhsa_system_sgpr_workgroup_info 0
		.amdhsa_system_vgpr_workitem_id 1
		.amdhsa_next_free_vgpr 334
		.amdhsa_next_free_sgpr 31
		.amdhsa_accum_offset 256
		.amdhsa_reserve_vcc 1
		.amdhsa_float_round_mode_32 0
		.amdhsa_float_round_mode_16_64 0
		.amdhsa_float_denorm_mode_32 3
		.amdhsa_float_denorm_mode_16_64 3
		.amdhsa_dx10_clamp 1
		.amdhsa_ieee_mode 1
		.amdhsa_fp16_overflow 0
		.amdhsa_tg_split 0
		.amdhsa_exception_fp_ieee_invalid_op 0
		.amdhsa_exception_fp_denorm_src 0
		.amdhsa_exception_fp_ieee_div_zero 0
		.amdhsa_exception_fp_ieee_overflow 0
		.amdhsa_exception_fp_ieee_underflow 0
		.amdhsa_exception_fp_ieee_inexact 0
		.amdhsa_exception_int_div_zero 0
	.end_amdhsa_kernel
	.section	.text._ZN5aiter32wv_splitk_small_fp16_bf16_kernelI14__hip_bfloat16Li64ELi1ELi1ELi8ELi4ELi13EEEviiPKT_S4_PS2_ii,"axG",@progbits,_ZN5aiter32wv_splitk_small_fp16_bf16_kernelI14__hip_bfloat16Li64ELi1ELi1ELi8ELi4ELi13EEEviiPKT_S4_PS2_ii,comdat
.Lfunc_end38:
	.size	_ZN5aiter32wv_splitk_small_fp16_bf16_kernelI14__hip_bfloat16Li64ELi1ELi1ELi8ELi4ELi13EEEviiPKT_S4_PS2_ii, .Lfunc_end38-_ZN5aiter32wv_splitk_small_fp16_bf16_kernelI14__hip_bfloat16Li64ELi1ELi1ELi8ELi4ELi13EEEviiPKT_S4_PS2_ii
                                        ; -- End function
	.section	.AMDGPU.csdata,"",@progbits
; Kernel info:
; codeLenInByte = 12236
; NumSgprs: 37
; NumVgprs: 256
; NumAgprs: 78
; TotalNumVgprs: 334
; ScratchSize: 0
; MemoryBound: 0
; FloatMode: 240
; IeeeMode: 1
; LDSByteSize: 0 bytes/workgroup (compile time only)
; SGPRBlocks: 4
; VGPRBlocks: 41
; NumSGPRsForWavesPerEU: 37
; NumVGPRsForWavesPerEU: 334
; AccumOffset: 256
; Occupancy: 1
; WaveLimiterHint : 0
; COMPUTE_PGM_RSRC2:SCRATCH_EN: 0
; COMPUTE_PGM_RSRC2:USER_SGPR: 2
; COMPUTE_PGM_RSRC2:TRAP_HANDLER: 0
; COMPUTE_PGM_RSRC2:TGID_X_EN: 1
; COMPUTE_PGM_RSRC2:TGID_Y_EN: 0
; COMPUTE_PGM_RSRC2:TGID_Z_EN: 0
; COMPUTE_PGM_RSRC2:TIDIG_COMP_CNT: 1
; COMPUTE_PGM_RSRC3_GFX90A:ACCUM_OFFSET: 63
; COMPUTE_PGM_RSRC3_GFX90A:TG_SPLIT: 0
	.section	.text._ZN5aiter32wv_splitk_small_fp16_bf16_kernelI14__hip_bfloat16Li64ELi1ELi1ELi8ELi4ELi14EEEviiPKT_S4_PS2_ii,"axG",@progbits,_ZN5aiter32wv_splitk_small_fp16_bf16_kernelI14__hip_bfloat16Li64ELi1ELi1ELi8ELi4ELi14EEEviiPKT_S4_PS2_ii,comdat
	.protected	_ZN5aiter32wv_splitk_small_fp16_bf16_kernelI14__hip_bfloat16Li64ELi1ELi1ELi8ELi4ELi14EEEviiPKT_S4_PS2_ii ; -- Begin function _ZN5aiter32wv_splitk_small_fp16_bf16_kernelI14__hip_bfloat16Li64ELi1ELi1ELi8ELi4ELi14EEEviiPKT_S4_PS2_ii
	.globl	_ZN5aiter32wv_splitk_small_fp16_bf16_kernelI14__hip_bfloat16Li64ELi1ELi1ELi8ELi4ELi14EEEviiPKT_S4_PS2_ii
	.p2align	8
	.type	_ZN5aiter32wv_splitk_small_fp16_bf16_kernelI14__hip_bfloat16Li64ELi1ELi1ELi8ELi4ELi14EEEviiPKT_S4_PS2_ii,@function
_ZN5aiter32wv_splitk_small_fp16_bf16_kernelI14__hip_bfloat16Li64ELi1ELi1ELi8ELi4ELi14EEEviiPKT_S4_PS2_ii: ; @_ZN5aiter32wv_splitk_small_fp16_bf16_kernelI14__hip_bfloat16Li64ELi1ELi1ELi8ELi4ELi14EEEviiPKT_S4_PS2_ii
; %bb.0:
	s_load_dwordx2 s[4:5], s[0:1], 0x20
	s_load_dwordx2 s[6:7], s[0:1], 0x0
	v_bfe_u32 v1, v0, 10, 10
	s_waitcnt lgkmcnt(0)
	s_mul_i32 s2, s2, s4
	v_add_u32_e32 v2, s2, v1
	v_accvgpr_write_b32 a0, v2
	v_cmp_gt_u32_e32 vcc, s7, v2
	s_and_saveexec_b64 s[2:3], vcc
	s_cbranch_execz .LBB39_82
; %bb.1:
	v_and_b32_e32 v0, 0x3ff, v0
	s_load_dwordx4 s[8:11], s[0:1], 0x8
	s_load_dwordx2 s[12:13], s[0:1], 0x18
	v_lshlrev_b32_e32 v2, 3, v0
	v_cmp_eq_u32_e64 s[0:1], 63, v0
	v_accvgpr_read_b32 v0, a0
	v_mad_u64_u32 v[204:205], s[2:3], s6, v0, v[2:3]
	s_cmp_lg_u32 s6, 0
	s_mul_i32 s24, s5, s4
	s_mul_i32 s25, s24, s6
	v_mad_u64_u32 v[0:1], s[2:3], s6, 3, v[2:3]
	v_accvgpr_write_b32 a4, v0
	v_mad_u64_u32 v[0:1], s[2:3], s6, 5, v[2:3]
	v_accvgpr_write_b32 a6, v0
	;; [unrolled: 2-line block ×9, first 2 shown]
	v_lshl_add_u32 v207, s6, 1, v2
	v_accvgpr_write_b32 a2, v2
	s_cselect_b64 s[2:3], -1, 0
	v_cndmask_b32_e64 v0, 0, 1, s[2:3]
	v_add_u32_e32 v215, s6, v2
	v_lshl_add_u32 v209, s6, 2, v2
	v_lshl_add_u32 v213, s6, 3, v2
	s_mov_b64 s[14:15], 0
	s_mov_b32 s26, 0x5040100
	s_mov_b32 s27, 0x7060302
	;; [unrolled: 1-line block ×3, first 2 shown]
	s_movk_i32 s29, 0x7fff
	v_mov_b32_e32 v193, 0
	v_cmp_ne_u32_e64 s[2:3], 1, v0
                                        ; implicit-def: $vgpr97
                                        ; implicit-def: $vgpr0
                                        ; implicit-def: $vgpr51
                                        ; implicit-def: $vgpr5
                                        ; implicit-def: $vgpr188
                                        ; implicit-def: $agpr23
                                        ; implicit-def: $agpr22
                                        ; implicit-def: $vgpr99
                                        ; implicit-def: $vgpr13
                                        ; implicit-def: $vgpr235
                                        ; implicit-def: $vgpr189
                                        ; implicit-def: $vgpr18
                                        ; implicit-def: $vgpr199
                                        ; implicit-def: $vgpr216
                                        ; implicit-def: $vgpr86
                                        ; implicit-def: $vgpr217
                                        ; implicit-def: $vgpr232
                                        ; implicit-def: $agpr66
                                        ; implicit-def: $vgpr45
                                        ; implicit-def: $vgpr110
                                        ; implicit-def: $vgpr233
                                        ; implicit-def: $vgpr236
                                        ; implicit-def: $vgpr237
                                        ; implicit-def: $vgpr129
                                        ; implicit-def: $vgpr238
                                        ; implicit-def: $vgpr239
                                        ; implicit-def: $agpr67
                                        ; implicit-def: $vgpr134
                                        ; implicit-def: $vgpr154
                                        ; implicit-def: $vgpr240
                                        ; implicit-def: $vgpr241
                                        ; implicit-def: $vgpr242
                                        ; implicit-def: $vgpr165
                                        ; implicit-def: $vgpr243
                                        ; implicit-def: $vgpr244
                                        ; implicit-def: $agpr69
                                        ; implicit-def: $vgpr169
                                        ; implicit-def: $vgpr177
                                        ; implicit-def: $vgpr245
                                        ; implicit-def: $vgpr246
                                        ; implicit-def: $vgpr247
                                        ; implicit-def: $vgpr173
                                        ; implicit-def: $vgpr248
                                        ; implicit-def: $vgpr249
                                        ; implicit-def: $agpr70
                                        ; implicit-def: $vgpr181
                                        ; implicit-def: $vgpr178
                                        ; implicit-def: $vgpr250
                                        ; implicit-def: $vgpr251
                                        ; implicit-def: $vgpr252
                                        ; implicit-def: $vgpr185
                                        ; implicit-def: $vgpr253
                                        ; implicit-def: $vgpr254
                                        ; implicit-def: $agpr71
                                        ; implicit-def: $vgpr182
                                        ; implicit-def: $vgpr130
                                        ; implicit-def: $vgpr255
                                        ; implicit-def: $vgpr171
                                        ; implicit-def: $vgpr175
                                        ; implicit-def: $vgpr166
                                        ; implicit-def: $vgpr184
                                        ; implicit-def: $vgpr190
                                        ; implicit-def: $agpr72
                                        ; implicit-def: $vgpr170
                                        ; implicit-def: $vgpr174
                                        ; implicit-def: $vgpr206
                                        ; implicit-def: $vgpr208
                                        ; implicit-def: $vgpr210
                                        ; implicit-def: $agpr5
                                        ; implicit-def: $agpr7
                                        ; implicit-def: $agpr9
                                        ; implicit-def: $agpr11
                                        ; implicit-def: $vgpr191
                                        ; implicit-def: $vgpr11
                                        ; implicit-def: $agpr13
                                        ; implicit-def: $agpr15
                                        ; implicit-def: $agpr17
                                        ; implicit-def: $agpr19
                                        ; implicit-def: $vgpr9
                                        ; implicit-def: $vgpr155
                                        ; implicit-def: $agpr21
                                        ; implicit-def: $agpr26
                                        ; implicit-def: $agpr27
                                        ; implicit-def: $agpr28
                                        ; implicit-def: $vgpr153
                                        ; implicit-def: $vgpr135
                                        ; implicit-def: $agpr29
                                        ; implicit-def: $vgpr202
                                        ; implicit-def: $agpr30
                                        ; implicit-def: $vgpr203
                                        ; implicit-def: $vgpr133
                                        ; implicit-def: $vgpr111
                                        ; implicit-def: $agpr31
                                        ; implicit-def: $vgpr205
                                        ; implicit-def: $agpr32
                                        ; implicit-def: $vgpr195
                                        ; implicit-def: $vgpr109
                                        ; implicit-def: $vgpr87
                                        ; implicit-def: $agpr1
                                        ; implicit-def: $vgpr211
                                        ; implicit-def: $agpr33
                                        ; implicit-def: $vgpr21
                                        ; implicit-def: $vgpr85
                                        ; implicit-def: $vgpr67
                                        ; implicit-def: $agpr61
                                        ; implicit-def: $vgpr20
                                        ; implicit-def: $agpr63
                                        ; implicit-def: $vgpr186
                                        ; implicit-def: $vgpr65
                                        ; implicit-def: $vgpr47
                                        ; implicit-def: $vgpr19
                                        ; implicit-def: $vgpr7
                                        ; implicit-def: $vgpr15
                                        ; implicit-def: $vgpr3
                                        ; implicit-def: $agpr73
                                        ; implicit-def: $agpr24
                                        ; implicit-def: $agpr65
                                        ; implicit-def: $agpr64
                                        ; implicit-def: $vgpr63
                                        ; implicit-def: $vgpr83
                                        ; implicit-def: $vgpr59
                                        ; implicit-def: $vgpr78
                                        ; implicit-def: $agpr75
                                        ; implicit-def: $agpr25
                                        ; implicit-def: $agpr3
                                        ; implicit-def: $agpr43
                                        ; implicit-def: $vgpr95
                                        ; implicit-def: $vgpr107
                                        ; implicit-def: $vgpr79
                                        ; implicit-def: $vgpr102
                                        ; implicit-def: $agpr77
                                        ; implicit-def: $agpr74
                                        ; implicit-def: $agpr48
                                        ; implicit-def: $agpr42
                                        ; implicit-def: $vgpr119
                                        ; implicit-def: $vgpr127
                                        ; implicit-def: $vgpr103
                                        ; implicit-def: $vgpr122
                                        ; implicit-def: $agpr79
                                        ; implicit-def: $agpr76
                                        ; implicit-def: $agpr47
                                        ; implicit-def: $agpr41
                                        ; implicit-def: $vgpr143
                                        ; implicit-def: $vgpr151
                                        ; implicit-def: $vgpr123
                                        ; implicit-def: $vgpr146
                                        ; implicit-def: $agpr81
                                        ; implicit-def: $agpr78
                                        ; implicit-def: $agpr46
                                        ; implicit-def: $agpr40
                                        ; implicit-def: $vgpr163
                                        ; implicit-def: $vgpr212
                                        ; implicit-def: $vgpr147
                                        ; implicit-def: $vgpr179
                                        ; implicit-def: $agpr83
                                        ; implicit-def: $agpr80
                                        ; implicit-def: $agpr45
                                        ; implicit-def: $agpr39
                                        ; implicit-def: $vgpr194
                                        ; implicit-def: $vgpr214
                                        ; implicit-def: $vgpr187
                                        ; implicit-def: $vgpr183
                                        ; implicit-def: $agpr84
                                        ; implicit-def: $agpr82
                                        ; implicit-def: $agpr44
                                        ; implicit-def: $agpr38
                                        ; implicit-def: $vgpr39
                                        ; implicit-def: $vgpr70
                                        ; implicit-def: $agpr98
                                        ; implicit-def: $agpr91
                                        ; implicit-def: $agpr68
                                        ; implicit-def: $agpr62
                                        ; implicit-def: $vgpr71
                                        ; implicit-def: $vgpr90
                                        ; implicit-def: $agpr97
                                        ; implicit-def: $agpr90
                                        ; implicit-def: $agpr60
                                        ; implicit-def: $agpr58
                                        ; implicit-def: $vgpr91
                                        ; implicit-def: $vgpr114
                                        ; implicit-def: $agpr96
                                        ; implicit-def: $agpr89
                                        ; implicit-def: $agpr59
                                        ; implicit-def: $agpr56
                                        ; implicit-def: $vgpr115
                                        ; implicit-def: $vgpr138
                                        ; implicit-def: $agpr95
                                        ; implicit-def: $agpr88
                                        ; implicit-def: $agpr57
                                        ; implicit-def: $agpr54
                                        ; implicit-def: $vgpr139
                                        ; implicit-def: $vgpr158
                                        ; implicit-def: $agpr94
                                        ; implicit-def: $agpr87
                                        ; implicit-def: $agpr55
                                        ; implicit-def: $agpr52
                                        ; implicit-def: $vgpr159
                                        ; implicit-def: $vgpr98
                                        ; implicit-def: $agpr93
                                        ; implicit-def: $agpr86
                                        ; implicit-def: $agpr53
                                        ; implicit-def: $agpr50
                                        ; implicit-def: $vgpr167
                                        ; implicit-def: $vgpr131
                                        ; implicit-def: $agpr92
                                        ; implicit-def: $agpr85
                                        ; implicit-def: $agpr51
                                        ; implicit-def: $agpr49
                                        ; implicit-def: $vgpr144
                                        ; implicit-def: $vgpr149
                                        ; implicit-def: $vgpr152
                                        ; implicit-def: $vgpr157
                                        ; implicit-def: $vgpr162
                                        ; implicit-def: $vgpr120
                                        ; implicit-def: $vgpr125
                                        ; implicit-def: $vgpr132
                                        ; implicit-def: $vgpr137
                                        ; implicit-def: $vgpr142
                                        ; implicit-def: $vgpr100
                                        ; implicit-def: $vgpr105
                                        ; implicit-def: $vgpr108
                                        ; implicit-def: $vgpr113
                                        ; implicit-def: $vgpr118
                                        ; implicit-def: $vgpr76
                                        ; implicit-def: $vgpr81
                                        ; implicit-def: $vgpr84
                                        ; implicit-def: $vgpr89
                                        ; implicit-def: $vgpr94
                                        ; implicit-def: $vgpr56
                                        ; implicit-def: $vgpr61
                                        ; implicit-def: $vgpr64
                                        ; implicit-def: $vgpr69
                                        ; implicit-def: $vgpr74
                                        ; implicit-def: $vgpr36
                                        ; implicit-def: $vgpr41
                                        ; implicit-def: $vgpr44
                                        ; implicit-def: $vgpr49
                                        ; implicit-def: $vgpr54
                                        ; implicit-def: $agpr34_agpr35_agpr36_agpr37
                                        ; implicit-def: $vgpr24_vgpr25_vgpr26_vgpr27
                                        ; implicit-def: $vgpr28_vgpr29_vgpr30_vgpr31
                                        ; implicit-def: $vgpr32_vgpr33_vgpr34_vgpr35
                                        ; implicit-def: $vgpr180
                                        ; implicit-def: $vgpr176
                                        ; implicit-def: $vgpr172
                                        ; implicit-def: $vgpr168
                                        ; implicit-def: $vgpr164
                                        ; implicit-def: $vgpr128
                                        ; implicit-def: $vgpr96
	s_branch .LBB39_4
.LBB39_2:                               ;   in Loop: Header=BB39_4 Depth=1
	s_or_b64 exec, exec, s[16:17]
	v_add_u32_e32 v192, s7, v192
	v_lshl_add_u64 v[22:23], v[192:193], 1, s[12:13]
	global_store_short_d16_hi v[22:23], v219, off
.LBB39_3:                               ;   in Loop: Header=BB39_4 Depth=1
	s_or_b64 exec, exec, s[4:5]
	v_accvgpr_read_b32 v22, a7
	v_perm_b32 v22, v10, v22, s26
	v_accvgpr_read_b32 v10, a11
	v_perm_b32 v10, v2, v10, s26
	v_accvgpr_read_b32 v2, a15
	v_perm_b32 v2, v75, v2, s26
	v_accvgpr_write_b32 a15, v2
	v_accvgpr_read_b32 v2, a19
	v_perm_b32 v2, v66, v2, s26
	v_accvgpr_write_b32 a19, v2
	v_accvgpr_read_b32 v2, a26
	v_perm_b32 v2, v50, v2, s26
	;; [unrolled: 3-line block ×4, first 2 shown]
	v_accvgpr_read_b32 v2, a108
	v_perm_b32 v133, v2, v133, s26
	v_accvgpr_read_b32 v2, a107
	v_perm_b32 v111, v2, v111, s26
	;; [unrolled: 2-line block ×6, first 2 shown]
	v_accvgpr_read_b32 v2, a102
	v_accvgpr_read_b32 v8, a0
	v_perm_b32 v211, v2, v211, s26
	v_accvgpr_read_b32 v2, a101
	v_add_u32_e32 v8, s24, v8
	v_perm_b32 v21, v2, v21, s26
	v_accvgpr_read_b32 v2, a100
	v_perm_b32 v85, v2, v85, s26
	v_accvgpr_read_b32 v2, a99
	v_cmp_le_u32_e32 vcc, s7, v8
	v_accvgpr_write_b32 a7, v22
	v_accvgpr_write_b32 a11, v10
	v_perm_b32 v191, v234, v191, s26
	v_perm_b32 v11, v198, v11, s26
	;; [unrolled: 1-line block ×12, first 2 shown]
	v_accvgpr_write_b32 a0, v8
	s_or_b64 s[14:15], vcc, s[14:15]
	v_add_u32_e32 v204, s25, v204
	s_andn2_b64 exec, exec, s[14:15]
	s_cbranch_execz .LBB39_82
.LBB39_4:                               ; =>This Loop Header: Depth=1
                                        ;     Child Loop BB39_10 Depth 2
	s_and_b64 vcc, exec, s[2:3]
	s_cbranch_vccnz .LBB39_24
; %bb.5:                                ;   in Loop: Header=BB39_4 Depth=1
	v_mov_b32_e32 v218, 0
	s_mov_b32 s30, 0
	v_mov_b32_e32 v219, v218
	v_mov_b32_e32 v220, v218
	v_mov_b32_e32 v221, v218
	v_mov_b32_e32 v222, v218
	v_mov_b32_e32 v223, v218
	v_mov_b32_e32 v224, v218
	v_mov_b32_e32 v225, v218
	v_mov_b32_e32 v226, v218
	v_mov_b32_e32 v227, v218
	v_mov_b32_e32 v228, v218
	v_mov_b32_e32 v229, v218
	v_mov_b32_e32 v230, v218
	v_mov_b32_e32 v231, v218
	s_branch .LBB39_10
.LBB39_6:                               ;   in Loop: Header=BB39_10 Depth=2
	s_or_b64 exec, exec, s[20:21]
.LBB39_7:                               ;   in Loop: Header=BB39_10 Depth=2
	s_or_b64 exec, exec, s[18:19]
.LBB39_8:                               ;   in Loop: Header=BB39_10 Depth=2
	s_or_b64 exec, exec, s[16:17]
.LBB39_9:                               ;   in Loop: Header=BB39_10 Depth=2
	s_or_b64 exec, exec, s[4:5]
	s_addk_i32 s30, 0x800
	s_cmp_ge_u32 s30, s6
	s_cbranch_scc1 .LBB39_23
.LBB39_10:                              ;   Parent Loop BB39_4 Depth=1
                                        ; =>  This Inner Loop Header: Depth=2
	v_accvgpr_read_b32 v2, a2
	v_add_u32_e32 v198, s30, v2
	v_cmp_gt_u32_e32 vcc, s6, v198
	v_add_u32_e32 v234, 0x200, v198
	s_and_saveexec_b64 s[16:17], vcc
	s_cbranch_execz .LBB39_18
; %bb.11:                               ;   in Loop: Header=BB39_10 Depth=2
	v_accvgpr_read_b32 v2, a4
	v_add_u32_e32 v216, s30, v2
	v_accvgpr_read_b32 v2, a6
	v_add_u32_e32 v192, s30, v204
	v_add_u32_e32 v252, s30, v2
	v_accvgpr_read_b32 v2, a8
	s_waitcnt lgkmcnt(0)
	v_lshl_add_u64 v[4:5], v[192:193], 1, s[8:9]
	v_mov_b32_e32 v199, v193
	v_add_u32_e32 v188, s30, v215
	v_mov_b32_e32 v189, v193
	v_add_u32_e32 v250, s30, v2
	v_accvgpr_read_b32 v2, a10
	global_load_dwordx4 v[32:35], v[4:5], off nt
	v_lshl_add_u64 v[4:5], v[198:199], 1, s[10:11]
	v_lshl_add_u64 v[6:7], v[188:189], 1, s[10:11]
	v_add_u32_e32 v232, s30, v207
	v_mov_b32_e32 v233, v193
	v_mov_b32_e32 v217, v193
	v_add_u32_e32 v248, s30, v2
	v_accvgpr_read_b32 v2, a12
	global_load_dwordx4 v[52:55], v[4:5], off
	global_load_dwordx4 v[40:43], v[6:7], off
	v_lshl_add_u64 v[4:5], v[232:233], 1, s[10:11]
	v_lshl_add_u64 v[6:7], v[216:217], 1, s[10:11]
	v_add_u32_e32 v254, s30, v209
	v_mov_b32_e32 v255, v193
	v_mov_b32_e32 v253, v193
	v_add_u32_e32 v244, s30, v2
	v_accvgpr_read_b32 v2, a14
	global_load_dwordx4 v[72:75], v[4:5], off
	global_load_dwordx4 v[60:63], v[6:7], off
	v_lshl_add_u64 v[4:5], v[254:255], 1, s[10:11]
	v_lshl_add_u64 v[6:7], v[252:253], 1, s[10:11]
	v_mov_b32_e32 v251, v193
	v_mov_b32_e32 v249, v193
	v_add_u32_e32 v242, s30, v2
	v_accvgpr_read_b32 v2, a16
	global_load_dwordx4 v[92:95], v[4:5], off
	global_load_dwordx4 v[80:83], v[6:7], off
	v_lshl_add_u64 v[4:5], v[250:251], 1, s[10:11]
	v_lshl_add_u64 v[6:7], v[248:249], 1, s[10:11]
	v_add_u32_e32 v246, s30, v213
	v_mov_b32_e32 v247, v193
	v_mov_b32_e32 v245, v193
	v_add_u32_e32 v240, s30, v2
	v_accvgpr_read_b32 v2, a18
	global_load_dwordx4 v[116:119], v[4:5], off
	global_load_dwordx4 v[104:107], v[6:7], off
	v_lshl_add_u64 v[4:5], v[246:247], 1, s[10:11]
	v_lshl_add_u64 v[6:7], v[244:245], 1, s[10:11]
	v_mov_b32_e32 v243, v193
	v_mov_b32_e32 v241, v193
	v_add_u32_e32 v238, s30, v2
	v_accvgpr_read_b32 v2, a20
	global_load_dwordx4 v[140:143], v[4:5], off
	global_load_dwordx4 v[124:127], v[6:7], off
	v_lshl_add_u64 v[4:5], v[242:243], 1, s[10:11]
	v_lshl_add_u64 v[6:7], v[240:241], 1, s[10:11]
	v_mov_b32_e32 v239, v193
	v_add_u32_e32 v236, s30, v2
	v_mov_b32_e32 v237, v193
	global_load_dwordx4 v[160:163], v[4:5], off
	global_load_dwordx4 v[148:151], v[6:7], off
	v_lshl_add_u64 v[4:5], v[238:239], 1, s[10:11]
	v_lshl_add_u64 v[6:7], v[236:237], 1, s[10:11]
	global_load_dwordx4 v[16:19], v[4:5], off
	s_nop 0
	global_load_dwordx4 v[4:7], v[6:7], off
	v_cmp_gt_u32_e64 s[4:5], s6, v234
	s_and_saveexec_b64 s[18:19], s[4:5]
	s_cbranch_execz .LBB39_17
; %bb.12:                               ;   in Loop: Header=BB39_10 Depth=2
	v_add_u32_e32 v0, 0x200, v192
	v_mov_b32_e32 v1, v193
	v_lshl_add_u64 v[0:1], v[0:1], 1, s[8:9]
	v_mov_b32_e32 v235, v193
	v_add_u32_e32 v2, 0x200, v188
	v_mov_b32_e32 v3, v193
	global_load_dwordx4 v[28:31], v[0:1], off nt
	v_lshl_add_u64 v[0:1], v[234:235], 1, s[10:11]
	v_lshl_add_u64 v[2:3], v[2:3], 1, s[10:11]
	global_load_dwordx4 v[48:51], v[0:1], off
	global_load_dwordx4 v[36:39], v[2:3], off
	v_add_u32_e32 v0, 0x200, v232
	v_mov_b32_e32 v1, v193
	v_add_u32_e32 v2, 0x200, v216
	v_mov_b32_e32 v3, v193
	v_lshl_add_u64 v[0:1], v[0:1], 1, s[10:11]
	v_lshl_add_u64 v[2:3], v[2:3], 1, s[10:11]
	global_load_dwordx4 v[68:71], v[0:1], off
	global_load_dwordx4 v[56:59], v[2:3], off
	v_add_u32_e32 v0, 0x200, v254
	v_mov_b32_e32 v1, v193
	v_add_u32_e32 v2, 0x200, v252
	v_mov_b32_e32 v3, v193
	;; [unrolled: 8-line block ×6, first 2 shown]
	v_lshl_add_u64 v[0:1], v[0:1], 1, s[10:11]
	v_lshl_add_u64 v[2:3], v[2:3], 1, s[10:11]
	global_load_dwordx4 v[12:15], v[0:1], off
	s_nop 0
	global_load_dwordx4 v[0:3], v[2:3], off
	v_add_u32_e32 v10, 0x400, v198
	v_cmp_gt_u32_e64 s[4:5], s6, v10
	s_and_saveexec_b64 s[20:21], s[4:5]
	s_cbranch_execz .LBB39_16
; %bb.13:                               ;   in Loop: Header=BB39_10 Depth=2
	v_add_u32_e32 v8, 0x400, v192
	v_mov_b32_e32 v9, v193
	v_lshl_add_u64 v[8:9], v[8:9], 1, s[8:9]
	v_mov_b32_e32 v11, v193
	global_load_dwordx4 v[24:27], v[8:9], off nt
	v_lshl_add_u64 v[8:9], v[10:11], 1, s[10:11]
	v_add_u32_e32 v10, 0x400, v188
	v_lshl_add_u64 v[10:11], v[10:11], 1, s[10:11]
	global_load_dwordx4 v[44:47], v[8:9], off
	global_load_dwordx4 v[96:99], v[10:11], off
	v_add_u32_e32 v8, 0x400, v232
	v_mov_b32_e32 v9, v193
	v_lshl_add_u64 v[8:9], v[8:9], 1, s[10:11]
	v_add_u32_e32 v10, 0x400, v216
	v_mov_b32_e32 v11, v193
	v_lshl_add_u64 v[10:11], v[10:11], 1, s[10:11]
	global_load_dwordx4 v[64:67], v[8:9], off
	global_load_dwordx4 v[128:131], v[10:11], off
	v_add_u32_e32 v8, 0x400, v254
	v_mov_b32_e32 v9, v193
	v_lshl_add_u64 v[8:9], v[8:9], 1, s[10:11]
	v_add_u32_e32 v10, 0x400, v252
	v_mov_b32_e32 v11, v193
	;; [unrolled: 8-line block ×6, first 2 shown]
	v_lshl_add_u64 v[10:11], v[10:11], 1, s[10:11]
	global_load_dwordx4 a[22:25], v[8:9], off
	global_load_dwordx4 v[180:183], v[10:11], off
	v_add_u32_e32 v184, 0x600, v198
	v_cmp_gt_u32_e64 s[4:5], s6, v184
	s_and_saveexec_b64 s[22:23], s[4:5]
	s_cbranch_execz .LBB39_15
; %bb.14:                               ;   in Loop: Header=BB39_10 Depth=2
	v_add_u32_e32 v192, 0x600, v192
	v_lshl_add_u64 v[8:9], v[192:193], 1, s[8:9]
	v_mov_b32_e32 v185, v193
	global_load_dwordx4 a[34:37], v[8:9], off nt
	v_lshl_add_u64 v[8:9], v[184:185], 1, s[10:11]
	v_add_u32_e32 v192, 0x600, v188
	global_load_dwordx4 v[184:187], v[8:9], off
	v_lshl_add_u64 v[8:9], v[192:193], 1, s[10:11]
	v_add_u32_e32 v192, 0x600, v232
	global_load_dwordx4 v[188:191], v[8:9], off
	v_lshl_add_u64 v[8:9], v[192:193], 1, s[10:11]
	v_add_u32_e32 v192, 0x600, v216
	v_mov_b32_e32 v199, v207
	v_mov_b32_e32 v235, v209
	global_load_dwordx4 v[206:209], v[8:9], off
	v_lshl_add_u64 v[8:9], v[192:193], 1, s[10:11]
	v_add_u32_e32 v192, 0x600, v254
	v_accvgpr_write_b32 a3, v215
	global_load_dwordx4 v[214:217], v[8:9], off
	v_lshl_add_u64 v[8:9], v[192:193], 1, s[10:11]
	v_add_u32_e32 v192, 0x600, v252
	v_accvgpr_write_b32 a1, v213
	global_load_dwordx4 v[210:213], v[8:9], off
	v_lshl_add_u64 v[8:9], v[192:193], 1, s[10:11]
	v_add_u32_e32 v192, 0x600, v250
	global_load_dwordx4 v[252:255], v[8:9], off
	v_lshl_add_u64 v[8:9], v[192:193], 1, s[10:11]
	v_add_u32_e32 v192, 0x600, v248
	;; [unrolled: 3-line block ×8, first 2 shown]
	v_lshl_add_u64 v[232:233], v[192:193], 1, s[10:11]
	global_load_dwordx4 v[8:11], v[8:9], off
	s_waitcnt vmcnt(7)
	v_perm_b32 v205, v212, v254, s26
	global_load_dwordx4 v[236:239], v[232:233], off
	s_waitcnt vmcnt(0)
	v_perm_b32 v192, v11, v239, s26
	v_accvgpr_write_b32 a5, v192
	v_perm_b32 v192, v10, v238, s26
	v_accvgpr_write_b32 a7, v192
	;; [unrolled: 2-line block ×3, first 2 shown]
	v_perm_b32 v192, v8, v236, s26
	v_perm_b32 v8, v8, v236, s27
	v_accvgpr_write_b32 a44, v8
	v_perm_b32 v8, v197, v243, s26
	v_accvgpr_write_b32 a13, v8
	;; [unrolled: 2-line block ×29, first 2 shown]
	v_perm_b32 v8, v209, v217, s26
	v_accvgpr_read_b32 v213, a1
	v_accvgpr_write_b32 a1, v8
	v_perm_b32 v8, v207, v215, s26
	v_accvgpr_write_b32 a58, v8
	v_perm_b32 v8, v206, v214, s26
	;; [unrolled: 2-line block ×5, first 2 shown]
	v_accvgpr_read_b32 v215, a3
	v_accvgpr_write_b32 a3, v8
	v_perm_b32 v8, v187, v191, s26
	v_accvgpr_write_b32 a61, v8
	v_perm_b32 v8, v185, v189, s26
	;; [unrolled: 2-line block ×4, first 2 shown]
	v_perm_b32 v9, v9, v237, s27
	v_accvgpr_write_b32 a63, v8
	v_perm_b32 v8, v185, v189, s27
	v_perm_b32 v11, v11, v239, s27
	;; [unrolled: 1-line block ×3, first 2 shown]
	v_accvgpr_write_b32 a51, v9
	v_perm_b32 v9, v202, v250, s26
	v_accvgpr_write_b32 a68, v8
	v_perm_b32 v8, v184, v188, s27
	v_accvgpr_write_b32 a38, v192
	v_accvgpr_write_b32 a9, v11
	;; [unrolled: 1-line block ×3, first 2 shown]
	v_perm_b32 v203, v202, v250, s27
	v_mov_b32_e32 v202, v9
	v_perm_b32 v195, v212, v254, s27
	v_perm_b32 v211, v208, v216, s26
	v_mov_b32_e32 v209, v235
	v_perm_b32 v21, v208, v216, s27
	v_mov_b32_e32 v207, v199
	v_perm_b32 v20, v186, v190, s26
	v_perm_b32 v186, v186, v190, s27
	v_accvgpr_write_b32 a65, v8
.LBB39_15:                              ;   in Loop: Header=BB39_10 Depth=2
	s_or_b64 exec, exec, s[22:23]
	s_waitcnt vmcnt(13)
	v_lshrrev_b32_e32 v8, 16, v44
	v_accvgpr_write_b32 a72, v8
	s_waitcnt vmcnt(11)
	v_lshrrev_b32_e32 v8, 16, v64
	v_accvgpr_write_b32 a71, v8
	;; [unrolled: 3-line block ×6, first 2 shown]
	s_waitcnt vmcnt(1)
	v_accvgpr_read_b32 v8, a22
	v_accvgpr_read_b32 v10, a24
	v_lshrrev_b32_e32 v8, 16, v8
	v_accvgpr_read_b32 v9, a23
	v_accvgpr_read_b32 v11, a25
	v_accvgpr_write_b32 a23, v8
	s_waitcnt vmcnt(0)
	v_perm_b32 v8, v10, v182, s26
	v_accvgpr_write_b32 a85, v8
	v_perm_b32 v8, v9, v181, s26
	v_accvgpr_write_b32 a82, v8
	;; [unrolled: 2-line block ×27, first 2 shown]
	v_perm_b32 v8, v45, v97, s27
	v_perm_b32 v191, v11, v183, s26
	v_perm_b32 v11, v11, v183, s27
	v_perm_b32 v9, v155, v179, s26
	v_perm_b32 v155, v155, v179, s27
	v_perm_b32 v153, v135, v175, s26
	v_perm_b32 v135, v135, v175, s27
	v_perm_b32 v133, v111, v171, s26
	v_perm_b32 v111, v111, v171, s27
	v_perm_b32 v109, v87, v167, s26
	v_perm_b32 v87, v87, v167, s27
	v_perm_b32 v85, v67, v131, s26
	v_perm_b32 v67, v67, v131, s27
	v_perm_b32 v65, v47, v99, s26
	v_perm_b32 v47, v47, v99, s27
	v_accvgpr_write_b32 a73, v8
.LBB39_16:                              ;   in Loop: Header=BB39_10 Depth=2
	s_or_b64 exec, exec, s[20:21]
	s_waitcnt vmcnt(13)
	v_lshrrev_b32_e32 v174, 16, v48
	v_lshrrev_b32_e32 v170, 16, v49
	s_waitcnt vmcnt(12)
	v_lshrrev_b32_e32 v166, 16, v36
	s_waitcnt vmcnt(11)
	v_lshrrev_b32_e32 v130, 16, v68
	v_lshrrev_b32_e32 v182, 16, v69
	s_waitcnt vmcnt(10)
	v_lshrrev_b32_e32 v185, 16, v56
	;; [unrolled: 5-line block ×7, first 2 shown]
	v_perm_b32 v131, v15, v3, s26
	v_perm_b32 v183, v14, v2, s26
	;; [unrolled: 1-line block ×28, first 2 shown]
.LBB39_17:                              ;   in Loop: Header=BB39_10 Depth=2
	s_or_b64 exec, exec, s[18:19]
	s_waitcnt vmcnt(13)
	v_lshrrev_b32_e32 v210, 16, v52
	v_lshrrev_b32_e32 v208, 16, v53
	v_lshrrev_b32_e32 v206, 16, v54
	s_waitcnt vmcnt(12)
	v_lshrrev_b32_e32 v190, 16, v40
	v_lshrrev_b32_e32 v184, 16, v41
	s_waitcnt vmcnt(11)
	v_lshrrev_b32_e32 v175, 16, v72
	v_lshrrev_b32_e32 v171, 16, v73
	v_lshrrev_b32_e32 v255, 16, v74
	s_waitcnt vmcnt(10)
	v_lshrrev_b32_e32 v254, 16, v60
	v_lshrrev_b32_e32 v253, 16, v61
	;; [unrolled: 7-line block ×7, first 2 shown]
	v_perm_b32 v214, v19, v7, s26
	v_perm_b32 v194, v19, v7, s27
	;; [unrolled: 1-line block ×14, first 2 shown]
.LBB39_18:                              ;   in Loop: Header=BB39_10 Depth=2
	s_or_b64 exec, exec, s[16:17]
	s_and_saveexec_b64 s[4:5], vcc
	s_cbranch_execz .LBB39_9
; %bb.19:                               ;   in Loop: Header=BB39_10 Depth=2
	v_lshlrev_b32_e32 v66, 16, v32
	v_lshlrev_b32_e32 v23, 16, v52
	;; [unrolled: 1-line block ×3, first 2 shown]
	v_and_b32_e32 v58, 0xffff0000, v32
	v_lshlrev_b32_e32 v197, 16, v210
	v_lshlrev_b32_e32 v50, 16, v33
	;; [unrolled: 1-line block ×3, first 2 shown]
	v_pk_mul_f32 v[22:23], v[66:67], v[22:23] op_sel_hi:[0,1]
	v_lshlrev_b32_e32 v201, 16, v53
	v_lshlrev_b32_e32 v200, 16, v41
	v_and_b32_e32 v46, 0xffff0000, v33
	v_pk_mul_f32 v[196:197], v[58:59], v[196:197] op_sel_hi:[0,1]
	v_pk_fma_f32 v[22:23], v[200:201], v[50:51], v[22:23] op_sel_hi:[1,0,1]
	v_lshlrev_b32_e32 v201, 16, v208
	v_lshlrev_b32_e32 v200, 16, v184
	;; [unrolled: 1-line block ×3, first 2 shown]
	v_pk_fma_f32 v[196:197], v[200:201], v[46:47], v[196:197] op_sel_hi:[1,0,1]
	v_lshlrev_b32_e32 v201, 16, v54
	v_lshlrev_b32_e32 v200, 16, v42
	v_and_b32_e32 v14, 0xffff0000, v34
	v_pk_fma_f32 v[22:23], v[200:201], v[38:39], v[22:23] op_sel_hi:[1,0,1]
	v_and_b32_e32 v200, 0xffff0000, v42
	v_lshlrev_b32_e32 v201, 16, v206
	v_lshlrev_b32_e32 v10, 16, v35
	v_pk_fma_f32 v[196:197], v[200:201], v[14:15], v[196:197] op_sel_hi:[1,0,1]
	v_and_b32_e32 v201, 0xffff0000, v7
	v_lshlrev_b32_e32 v200, 16, v7
	v_and_b32_e32 v2, 0xffff0000, v35
	v_pk_fma_f32 v[22:23], v[200:201], v[10:11], v[22:23] op_sel_hi:[1,0,1]
	v_and_b32_e32 v201, 0xffff0000, v19
	v_lshlrev_b32_e32 v200, 16, v19
	v_pk_fma_f32 v[196:197], v[200:201], v[2:3], v[196:197] op_sel_hi:[1,0,1]
	v_lshlrev_b32_e32 v201, 16, v73
	v_pk_add_f32 v[22:23], v[22:23], v[196:197]
	v_lshlrev_b32_e32 v197, 16, v175
	v_pk_add_f32 v[230:231], v[22:23], v[230:231]
	v_lshlrev_b32_e32 v23, 16, v72
	v_lshlrev_b32_e32 v22, 16, v60
	v_lshlrev_b32_e32 v196, 16, v254
	v_pk_mul_f32 v[22:23], v[66:67], v[22:23] op_sel_hi:[0,1]
	v_lshlrev_b32_e32 v200, 16, v61
	v_pk_mul_f32 v[196:197], v[58:59], v[196:197] op_sel_hi:[0,1]
	v_pk_fma_f32 v[22:23], v[200:201], v[50:51], v[22:23] op_sel_hi:[1,0,1]
	v_lshlrev_b32_e32 v201, 16, v171
	v_lshlrev_b32_e32 v200, 16, v253
	v_pk_fma_f32 v[196:197], v[200:201], v[46:47], v[196:197] op_sel_hi:[1,0,1]
	v_lshlrev_b32_e32 v201, 16, v74
	v_lshlrev_b32_e32 v200, 16, v62
	v_pk_fma_f32 v[22:23], v[200:201], v[38:39], v[22:23] op_sel_hi:[1,0,1]
	v_and_b32_e32 v200, 0xffff0000, v62
	v_lshlrev_b32_e32 v201, 16, v255
	v_pk_fma_f32 v[196:197], v[200:201], v[14:15], v[196:197] op_sel_hi:[1,0,1]
	v_and_b32_e32 v201, 0xffff0000, v83
	v_lshlrev_b32_e32 v200, 16, v83
	v_pk_fma_f32 v[22:23], v[200:201], v[10:11], v[22:23] op_sel_hi:[1,0,1]
	v_and_b32_e32 v201, 0xffff0000, v63
	v_lshlrev_b32_e32 v200, 16, v63
	v_pk_fma_f32 v[196:197], v[200:201], v[2:3], v[196:197] op_sel_hi:[1,0,1]
	v_lshlrev_b32_e32 v201, 16, v93
	v_pk_add_f32 v[22:23], v[22:23], v[196:197]
	v_lshlrev_b32_e32 v197, 16, v252
	v_pk_add_f32 v[228:229], v[22:23], v[228:229]
	v_lshlrev_b32_e32 v23, 16, v92
	v_lshlrev_b32_e32 v22, 16, v80
	v_lshlrev_b32_e32 v196, 16, v249
	v_pk_mul_f32 v[22:23], v[66:67], v[22:23] op_sel_hi:[0,1]
	v_lshlrev_b32_e32 v200, 16, v81
	v_pk_mul_f32 v[196:197], v[58:59], v[196:197] op_sel_hi:[0,1]
	v_pk_fma_f32 v[22:23], v[200:201], v[50:51], v[22:23] op_sel_hi:[1,0,1]
	v_lshlrev_b32_e32 v201, 16, v251
	v_lshlrev_b32_e32 v200, 16, v248
	v_pk_fma_f32 v[196:197], v[200:201], v[46:47], v[196:197] op_sel_hi:[1,0,1]
	v_lshlrev_b32_e32 v201, 16, v94
	v_lshlrev_b32_e32 v200, 16, v82
	v_pk_fma_f32 v[22:23], v[200:201], v[38:39], v[22:23] op_sel_hi:[1,0,1]
	v_and_b32_e32 v200, 0xffff0000, v82
	v_lshlrev_b32_e32 v201, 16, v250
	v_pk_fma_f32 v[196:197], v[200:201], v[14:15], v[196:197] op_sel_hi:[1,0,1]
	v_and_b32_e32 v201, 0xffff0000, v107
	v_lshlrev_b32_e32 v200, 16, v107
	;; [unrolled: 26-line block ×6, first 2 shown]
	v_pk_fma_f32 v[22:23], v[200:201], v[10:11], v[22:23] op_sel_hi:[1,0,1]
	v_and_b32_e32 v201, 0xffff0000, v194
	v_lshlrev_b32_e32 v200, 16, v194
	v_pk_fma_f32 v[196:197], v[200:201], v[2:3], v[196:197] op_sel_hi:[1,0,1]
	v_cmp_gt_u32_e32 vcc, s6, v234
	v_pk_add_f32 v[22:23], v[22:23], v[196:197]
	s_nop 0
	v_pk_add_f32 v[218:219], v[22:23], v[218:219]
	s_and_saveexec_b64 s[16:17], vcc
	s_cbranch_execz .LBB39_8
; %bb.20:                               ;   in Loop: Header=BB39_10 Depth=2
	v_lshlrev_b32_e32 v66, 16, v28
	v_lshlrev_b32_e32 v23, 16, v48
	;; [unrolled: 1-line block ×3, first 2 shown]
	v_and_b32_e32 v58, 0xffff0000, v28
	v_lshlrev_b32_e32 v50, 16, v29
	v_pk_mul_f32 v[22:23], v[66:67], v[22:23] op_sel_hi:[0,1]
	v_lshlrev_b32_e32 v197, 16, v174
	v_lshlrev_b32_e32 v196, 16, v166
	;; [unrolled: 1-line block ×4, first 2 shown]
	v_and_b32_e32 v46, 0xffff0000, v29
	v_pk_mul_f32 v[196:197], v[58:59], v[196:197] op_sel_hi:[0,1]
	v_pk_fma_f32 v[22:23], v[200:201], v[50:51], v[22:23] op_sel_hi:[1,0,1]
	v_and_b32_e32 v200, 0xffff0000, v37
	v_lshlrev_b32_e32 v201, 16, v170
	v_lshlrev_b32_e32 v38, 16, v30
	v_pk_fma_f32 v[196:197], v[200:201], v[46:47], v[196:197] op_sel_hi:[1,0,1]
	v_and_b32_e32 v201, 0xffff0000, v3
	v_lshlrev_b32_e32 v200, 16, v3
	v_and_b32_e32 v14, 0xffff0000, v30
	v_pk_fma_f32 v[22:23], v[200:201], v[38:39], v[22:23] op_sel_hi:[1,0,1]
	v_and_b32_e32 v201, 0xffff0000, v15
	v_lshlrev_b32_e32 v200, 16, v15
	v_lshlrev_b32_e32 v10, 16, v31
	v_pk_fma_f32 v[196:197], v[200:201], v[14:15], v[196:197] op_sel_hi:[1,0,1]
	v_and_b32_e32 v201, 0xffff0000, v70
	v_lshlrev_b32_e32 v200, 16, v70
	v_and_b32_e32 v2, 0xffff0000, v31
	v_pk_fma_f32 v[22:23], v[200:201], v[10:11], v[22:23] op_sel_hi:[1,0,1]
	v_and_b32_e32 v201, 0xffff0000, v39
	v_lshlrev_b32_e32 v200, 16, v39
	v_pk_fma_f32 v[196:197], v[200:201], v[2:3], v[196:197] op_sel_hi:[1,0,1]
	v_lshlrev_b32_e32 v201, 16, v69
	v_pk_add_f32 v[22:23], v[22:23], v[196:197]
	v_lshlrev_b32_e32 v197, 16, v130
	v_pk_add_f32 v[230:231], v[22:23], v[230:231]
	v_lshlrev_b32_e32 v23, 16, v68
	v_lshlrev_b32_e32 v22, 16, v56
	v_pk_mul_f32 v[22:23], v[66:67], v[22:23] op_sel_hi:[0,1]
	v_lshlrev_b32_e32 v196, 16, v185
	v_lshlrev_b32_e32 v200, 16, v57
	v_pk_mul_f32 v[196:197], v[58:59], v[196:197] op_sel_hi:[0,1]
	v_pk_fma_f32 v[22:23], v[200:201], v[50:51], v[22:23] op_sel_hi:[1,0,1]
	v_and_b32_e32 v200, 0xffff0000, v57
	v_lshlrev_b32_e32 v201, 16, v182
	v_pk_fma_f32 v[196:197], v[200:201], v[46:47], v[196:197] op_sel_hi:[1,0,1]
	v_and_b32_e32 v201, 0xffff0000, v78
	v_lshlrev_b32_e32 v200, 16, v78
	v_pk_fma_f32 v[22:23], v[200:201], v[38:39], v[22:23] op_sel_hi:[1,0,1]
	v_and_b32_e32 v201, 0xffff0000, v59
	v_lshlrev_b32_e32 v200, 16, v59
	v_pk_fma_f32 v[196:197], v[200:201], v[14:15], v[196:197] op_sel_hi:[1,0,1]
	v_and_b32_e32 v201, 0xffff0000, v90
	v_lshlrev_b32_e32 v200, 16, v90
	v_pk_fma_f32 v[22:23], v[200:201], v[10:11], v[22:23] op_sel_hi:[1,0,1]
	v_and_b32_e32 v201, 0xffff0000, v71
	v_lshlrev_b32_e32 v200, 16, v71
	v_pk_fma_f32 v[196:197], v[200:201], v[2:3], v[196:197] op_sel_hi:[1,0,1]
	v_lshlrev_b32_e32 v201, 16, v89
	v_pk_add_f32 v[22:23], v[22:23], v[196:197]
	v_lshlrev_b32_e32 v197, 16, v178
	v_pk_add_f32 v[228:229], v[22:23], v[228:229]
	v_lshlrev_b32_e32 v23, 16, v88
	v_lshlrev_b32_e32 v22, 16, v76
	v_pk_mul_f32 v[22:23], v[66:67], v[22:23] op_sel_hi:[0,1]
	v_lshlrev_b32_e32 v196, 16, v173
	v_lshlrev_b32_e32 v200, 16, v77
	v_pk_mul_f32 v[196:197], v[58:59], v[196:197] op_sel_hi:[0,1]
	v_pk_fma_f32 v[22:23], v[200:201], v[50:51], v[22:23] op_sel_hi:[1,0,1]
	v_and_b32_e32 v200, 0xffff0000, v77
	v_lshlrev_b32_e32 v201, 16, v181
	v_pk_fma_f32 v[196:197], v[200:201], v[46:47], v[196:197] op_sel_hi:[1,0,1]
	v_and_b32_e32 v201, 0xffff0000, v102
	v_lshlrev_b32_e32 v200, 16, v102
	v_pk_fma_f32 v[22:23], v[200:201], v[38:39], v[22:23] op_sel_hi:[1,0,1]
	v_and_b32_e32 v201, 0xffff0000, v79
	v_lshlrev_b32_e32 v200, 16, v79
	v_pk_fma_f32 v[196:197], v[200:201], v[14:15], v[196:197] op_sel_hi:[1,0,1]
	v_and_b32_e32 v201, 0xffff0000, v114
	v_lshlrev_b32_e32 v200, 16, v114
	;; [unrolled: 26-line block ×6, first 2 shown]
	v_pk_fma_f32 v[22:23], v[200:201], v[10:11], v[22:23] op_sel_hi:[1,0,1]
	v_and_b32_e32 v201, 0xffff0000, v167
	v_lshlrev_b32_e32 v200, 16, v167
	v_pk_fma_f32 v[196:197], v[200:201], v[2:3], v[196:197] op_sel_hi:[1,0,1]
	v_add_u32_e32 v2, 0x400, v198
	v_pk_add_f32 v[22:23], v[22:23], v[196:197]
	v_cmp_gt_u32_e32 vcc, s6, v2
	v_pk_add_f32 v[218:219], v[22:23], v[218:219]
	s_and_saveexec_b64 s[18:19], vcc
	s_cbranch_execz .LBB39_7
; %bb.21:                               ;   in Loop: Header=BB39_10 Depth=2
	v_accvgpr_read_b32 v8, a72
	v_lshlrev_b32_e32 v66, 16, v24
	v_lshlrev_b32_e32 v23, 16, v44
	;; [unrolled: 1-line block ×4, first 2 shown]
	v_accvgpr_read_b32 v8, a24
	v_and_b32_e32 v58, 0xffff0000, v24
	v_lshlrev_b32_e32 v50, 16, v25
	v_pk_mul_f32 v[22:23], v[66:67], v[22:23] op_sel_hi:[0,1]
	v_and_b32_e32 v196, 0xffff0000, v96
	v_and_b32_e32 v201, 0xffff0000, v8
	v_lshlrev_b32_e32 v200, 16, v8
	v_accvgpr_read_b32 v8, a73
	v_and_b32_e32 v46, 0xffff0000, v25
	v_pk_mul_f32 v[196:197], v[58:59], v[196:197] op_sel_hi:[0,1]
	v_pk_fma_f32 v[22:23], v[200:201], v[50:51], v[22:23] op_sel_hi:[1,0,1]
	v_and_b32_e32 v201, 0xffff0000, v8
	v_lshlrev_b32_e32 v200, 16, v8
	v_accvgpr_read_b32 v8, a91
	v_lshlrev_b32_e32 v38, 16, v26
	v_pk_fma_f32 v[196:197], v[200:201], v[46:47], v[196:197] op_sel_hi:[1,0,1]
	v_and_b32_e32 v201, 0xffff0000, v8
	v_lshlrev_b32_e32 v200, 16, v8
	v_accvgpr_read_b32 v8, a98
	v_and_b32_e32 v14, 0xffff0000, v26
	v_pk_fma_f32 v[22:23], v[200:201], v[38:39], v[22:23] op_sel_hi:[1,0,1]
	v_and_b32_e32 v201, 0xffff0000, v8
	v_lshlrev_b32_e32 v200, 16, v8
	v_lshlrev_b32_e32 v10, 16, v27
	v_pk_fma_f32 v[196:197], v[200:201], v[14:15], v[196:197] op_sel_hi:[1,0,1]
	v_and_b32_e32 v201, 0xffff0000, v65
	v_lshlrev_b32_e32 v200, 16, v65
	v_and_b32_e32 v2, 0xffff0000, v27
	v_pk_fma_f32 v[22:23], v[200:201], v[10:11], v[22:23] op_sel_hi:[1,0,1]
	v_and_b32_e32 v201, 0xffff0000, v47
	v_lshlrev_b32_e32 v200, 16, v47
	v_pk_fma_f32 v[196:197], v[200:201], v[2:3], v[196:197] op_sel_hi:[1,0,1]
	v_accvgpr_read_b32 v8, a71
	v_pk_add_f32 v[22:23], v[22:23], v[196:197]
	v_lshlrev_b32_e32 v197, 16, v8
	v_pk_add_f32 v[230:231], v[22:23], v[230:231]
	v_lshlrev_b32_e32 v23, 16, v64
	v_lshlrev_b32_e32 v22, 16, v128
	v_accvgpr_read_b32 v8, a25
	v_pk_mul_f32 v[22:23], v[66:67], v[22:23] op_sel_hi:[0,1]
	v_and_b32_e32 v196, 0xffff0000, v128
	v_and_b32_e32 v201, 0xffff0000, v8
	v_lshlrev_b32_e32 v200, 16, v8
	v_accvgpr_read_b32 v8, a75
	v_pk_mul_f32 v[196:197], v[58:59], v[196:197] op_sel_hi:[0,1]
	v_pk_fma_f32 v[22:23], v[200:201], v[50:51], v[22:23] op_sel_hi:[1,0,1]
	v_and_b32_e32 v201, 0xffff0000, v8
	v_lshlrev_b32_e32 v200, 16, v8
	v_accvgpr_read_b32 v8, a90
	v_pk_fma_f32 v[196:197], v[200:201], v[46:47], v[196:197] op_sel_hi:[1,0,1]
	v_and_b32_e32 v201, 0xffff0000, v8
	v_lshlrev_b32_e32 v200, 16, v8
	v_accvgpr_read_b32 v8, a97
	v_pk_fma_f32 v[22:23], v[200:201], v[38:39], v[22:23] op_sel_hi:[1,0,1]
	v_and_b32_e32 v201, 0xffff0000, v8
	v_lshlrev_b32_e32 v200, 16, v8
	v_pk_fma_f32 v[196:197], v[200:201], v[14:15], v[196:197] op_sel_hi:[1,0,1]
	v_and_b32_e32 v201, 0xffff0000, v85
	v_lshlrev_b32_e32 v200, 16, v85
	v_pk_fma_f32 v[22:23], v[200:201], v[10:11], v[22:23] op_sel_hi:[1,0,1]
	v_and_b32_e32 v201, 0xffff0000, v67
	v_lshlrev_b32_e32 v200, 16, v67
	v_pk_fma_f32 v[196:197], v[200:201], v[2:3], v[196:197] op_sel_hi:[1,0,1]
	v_accvgpr_read_b32 v8, a70
	v_pk_add_f32 v[22:23], v[22:23], v[196:197]
	v_lshlrev_b32_e32 v197, 16, v8
	v_pk_add_f32 v[228:229], v[22:23], v[228:229]
	v_lshlrev_b32_e32 v23, 16, v84
	v_lshlrev_b32_e32 v22, 16, v164
	v_accvgpr_read_b32 v8, a74
	v_pk_mul_f32 v[22:23], v[66:67], v[22:23] op_sel_hi:[0,1]
	v_and_b32_e32 v196, 0xffff0000, v164
	v_and_b32_e32 v201, 0xffff0000, v8
	v_lshlrev_b32_e32 v200, 16, v8
	v_accvgpr_read_b32 v8, a77
	v_pk_mul_f32 v[196:197], v[58:59], v[196:197] op_sel_hi:[0,1]
	v_pk_fma_f32 v[22:23], v[200:201], v[50:51], v[22:23] op_sel_hi:[1,0,1]
	v_and_b32_e32 v201, 0xffff0000, v8
	v_lshlrev_b32_e32 v200, 16, v8
	v_accvgpr_read_b32 v8, a89
	v_pk_fma_f32 v[196:197], v[200:201], v[46:47], v[196:197] op_sel_hi:[1,0,1]
	v_and_b32_e32 v201, 0xffff0000, v8
	v_lshlrev_b32_e32 v200, 16, v8
	v_accvgpr_read_b32 v8, a96
	v_pk_fma_f32 v[22:23], v[200:201], v[38:39], v[22:23] op_sel_hi:[1,0,1]
	v_and_b32_e32 v201, 0xffff0000, v8
	v_lshlrev_b32_e32 v200, 16, v8
	v_pk_fma_f32 v[196:197], v[200:201], v[14:15], v[196:197] op_sel_hi:[1,0,1]
	v_and_b32_e32 v201, 0xffff0000, v109
	v_lshlrev_b32_e32 v200, 16, v109
	;; [unrolled: 31-line block ×5, first 2 shown]
	v_pk_fma_f32 v[22:23], v[200:201], v[10:11], v[22:23] op_sel_hi:[1,0,1]
	v_and_b32_e32 v201, 0xffff0000, v155
	v_lshlrev_b32_e32 v200, 16, v155
	v_pk_fma_f32 v[196:197], v[200:201], v[2:3], v[196:197] op_sel_hi:[1,0,1]
	v_accvgpr_read_b32 v8, a22
	v_pk_add_f32 v[22:23], v[22:23], v[196:197]
	v_and_b32_e32 v196, 0xffff0000, v180
	v_pk_add_f32 v[220:221], v[22:23], v[220:221]
	v_lshlrev_b32_e32 v23, 16, v8
	v_accvgpr_read_b32 v8, a23
	v_lshlrev_b32_e32 v22, 16, v180
	v_lshlrev_b32_e32 v197, 16, v8
	v_accvgpr_read_b32 v8, a82
	v_pk_mul_f32 v[22:23], v[66:67], v[22:23] op_sel_hi:[0,1]
	v_and_b32_e32 v201, 0xffff0000, v8
	v_lshlrev_b32_e32 v200, 16, v8
	v_accvgpr_read_b32 v8, a84
	v_pk_mul_f32 v[196:197], v[58:59], v[196:197] op_sel_hi:[0,1]
	v_pk_fma_f32 v[22:23], v[200:201], v[50:51], v[22:23] op_sel_hi:[1,0,1]
	v_and_b32_e32 v201, 0xffff0000, v8
	v_lshlrev_b32_e32 v200, 16, v8
	v_accvgpr_read_b32 v8, a85
	v_pk_fma_f32 v[196:197], v[200:201], v[46:47], v[196:197] op_sel_hi:[1,0,1]
	v_and_b32_e32 v201, 0xffff0000, v8
	v_lshlrev_b32_e32 v200, 16, v8
	v_accvgpr_read_b32 v8, a92
	v_pk_fma_f32 v[22:23], v[200:201], v[38:39], v[22:23] op_sel_hi:[1,0,1]
	v_and_b32_e32 v201, 0xffff0000, v8
	v_lshlrev_b32_e32 v200, 16, v8
	v_pk_fma_f32 v[196:197], v[200:201], v[14:15], v[196:197] op_sel_hi:[1,0,1]
	v_and_b32_e32 v201, 0xffff0000, v191
	v_lshlrev_b32_e32 v200, 16, v191
	;; [unrolled: 3-line block ×3, first 2 shown]
	v_pk_fma_f32 v[196:197], v[200:201], v[2:3], v[196:197] op_sel_hi:[1,0,1]
	v_add_u32_e32 v2, 0x600, v198
	v_pk_add_f32 v[22:23], v[22:23], v[196:197]
	v_cmp_gt_u32_e32 vcc, s6, v2
	v_pk_add_f32 v[218:219], v[22:23], v[218:219]
	s_and_saveexec_b64 s[20:21], vcc
	s_cbranch_execz .LBB39_6
; %bb.22:                               ;   in Loop: Header=BB39_10 Depth=2
	v_mov_b32_e32 v2, v202
	v_mov_b32_e32 v8, v203
	v_accvgpr_read_b32 v203, a37
	v_accvgpr_read_b32 v202, a36
	v_lshlrev_b32_e32 v38, 16, v202
	v_and_b32_e32 v14, 0xffff0000, v202
	v_mov_b32_e32 v202, v2
	v_lshlrev_b32_e32 v10, 16, v203
	v_and_b32_e32 v2, 0xffff0000, v203
	v_mov_b32_e32 v203, v8
	v_accvgpr_read_b32 v8, a64
	v_accvgpr_read_b32 v200, a34
	v_and_b32_e32 v23, 0xffff0000, v8
	v_lshlrev_b32_e32 v22, 16, v8
	v_accvgpr_read_b32 v8, a65
	v_accvgpr_read_b32 v201, a35
	v_lshlrev_b32_e32 v66, 16, v200
	v_and_b32_e32 v197, 0xffff0000, v8
	v_lshlrev_b32_e32 v196, 16, v8
	v_accvgpr_read_b32 v8, a62
	v_and_b32_e32 v58, 0xffff0000, v200
	v_lshlrev_b32_e32 v50, 16, v201
	v_and_b32_e32 v46, 0xffff0000, v201
	v_pk_mul_f32 v[22:23], v[66:67], v[22:23] op_sel_hi:[0,1]
	v_and_b32_e32 v201, 0xffff0000, v8
	v_lshlrev_b32_e32 v200, 16, v8
	v_accvgpr_read_b32 v8, a68
	v_pk_mul_f32 v[196:197], v[58:59], v[196:197] op_sel_hi:[0,1]
	v_pk_fma_f32 v[22:23], v[200:201], v[50:51], v[22:23] op_sel_hi:[1,0,1]
	v_and_b32_e32 v201, 0xffff0000, v8
	v_lshlrev_b32_e32 v200, 16, v8
	v_pk_fma_f32 v[196:197], v[200:201], v[46:47], v[196:197] op_sel_hi:[1,0,1]
	v_and_b32_e32 v201, 0xffff0000, v20
	v_lshlrev_b32_e32 v200, 16, v20
	v_pk_fma_f32 v[22:23], v[200:201], v[38:39], v[22:23] op_sel_hi:[1,0,1]
	v_and_b32_e32 v201, 0xffff0000, v186
	v_lshlrev_b32_e32 v200, 16, v186
	v_accvgpr_read_b32 v8, a61
	v_pk_fma_f32 v[196:197], v[200:201], v[14:15], v[196:197] op_sel_hi:[1,0,1]
	v_and_b32_e32 v201, 0xffff0000, v8
	v_lshlrev_b32_e32 v200, 16, v8
	v_accvgpr_read_b32 v8, a63
	v_pk_fma_f32 v[22:23], v[200:201], v[10:11], v[22:23] op_sel_hi:[1,0,1]
	v_and_b32_e32 v201, 0xffff0000, v8
	v_lshlrev_b32_e32 v200, 16, v8
	v_pk_fma_f32 v[196:197], v[200:201], v[2:3], v[196:197] op_sel_hi:[1,0,1]
	v_accvgpr_read_b32 v8, a43
	v_pk_add_f32 v[22:23], v[22:23], v[196:197]
	s_nop 0
	v_pk_add_f32 v[230:231], v[22:23], v[230:231]
	v_and_b32_e32 v23, 0xffff0000, v8
	v_lshlrev_b32_e32 v22, 16, v8
	v_accvgpr_read_b32 v8, a3
	v_and_b32_e32 v197, 0xffff0000, v8
	v_lshlrev_b32_e32 v196, 16, v8
	v_accvgpr_read_b32 v8, a58
	v_pk_mul_f32 v[22:23], v[66:67], v[22:23] op_sel_hi:[0,1]
	v_and_b32_e32 v201, 0xffff0000, v8
	v_lshlrev_b32_e32 v200, 16, v8
	v_accvgpr_read_b32 v8, a60
	v_pk_mul_f32 v[196:197], v[58:59], v[196:197] op_sel_hi:[0,1]
	v_pk_fma_f32 v[22:23], v[200:201], v[50:51], v[22:23] op_sel_hi:[1,0,1]
	v_and_b32_e32 v201, 0xffff0000, v8
	v_lshlrev_b32_e32 v200, 16, v8
	v_pk_fma_f32 v[196:197], v[200:201], v[46:47], v[196:197] op_sel_hi:[1,0,1]
	v_and_b32_e32 v201, 0xffff0000, v211
	v_lshlrev_b32_e32 v200, 16, v211
	v_pk_fma_f32 v[22:23], v[200:201], v[38:39], v[22:23] op_sel_hi:[1,0,1]
	v_and_b32_e32 v201, 0xffff0000, v21
	v_lshlrev_b32_e32 v200, 16, v21
	v_accvgpr_read_b32 v8, a1
	v_pk_fma_f32 v[196:197], v[200:201], v[14:15], v[196:197] op_sel_hi:[1,0,1]
	v_and_b32_e32 v201, 0xffff0000, v8
	v_lshlrev_b32_e32 v200, 16, v8
	v_accvgpr_read_b32 v8, a33
	v_pk_fma_f32 v[22:23], v[200:201], v[10:11], v[22:23] op_sel_hi:[1,0,1]
	v_and_b32_e32 v201, 0xffff0000, v8
	v_lshlrev_b32_e32 v200, 16, v8
	v_pk_fma_f32 v[196:197], v[200:201], v[2:3], v[196:197] op_sel_hi:[1,0,1]
	v_accvgpr_read_b32 v8, a42
	v_pk_add_f32 v[22:23], v[22:23], v[196:197]
	s_nop 0
	v_pk_add_f32 v[228:229], v[22:23], v[228:229]
	v_and_b32_e32 v23, 0xffff0000, v8
	v_lshlrev_b32_e32 v22, 16, v8
	v_accvgpr_read_b32 v8, a48
	v_and_b32_e32 v197, 0xffff0000, v8
	v_lshlrev_b32_e32 v196, 16, v8
	v_accvgpr_read_b32 v8, a56
	v_pk_mul_f32 v[22:23], v[66:67], v[22:23] op_sel_hi:[0,1]
	v_and_b32_e32 v201, 0xffff0000, v8
	v_lshlrev_b32_e32 v200, 16, v8
	v_accvgpr_read_b32 v8, a59
	v_pk_mul_f32 v[196:197], v[58:59], v[196:197] op_sel_hi:[0,1]
	v_pk_fma_f32 v[22:23], v[200:201], v[50:51], v[22:23] op_sel_hi:[1,0,1]
	v_and_b32_e32 v201, 0xffff0000, v8
	v_lshlrev_b32_e32 v200, 16, v8
	v_pk_fma_f32 v[196:197], v[200:201], v[46:47], v[196:197] op_sel_hi:[1,0,1]
	v_and_b32_e32 v201, 0xffff0000, v205
	v_lshlrev_b32_e32 v200, 16, v205
	v_pk_fma_f32 v[22:23], v[200:201], v[38:39], v[22:23] op_sel_hi:[1,0,1]
	v_and_b32_e32 v201, 0xffff0000, v195
	v_lshlrev_b32_e32 v200, 16, v195
	v_accvgpr_read_b32 v8, a31
	v_pk_fma_f32 v[196:197], v[200:201], v[14:15], v[196:197] op_sel_hi:[1,0,1]
	v_and_b32_e32 v201, 0xffff0000, v8
	v_lshlrev_b32_e32 v200, 16, v8
	v_accvgpr_read_b32 v8, a32
	v_pk_fma_f32 v[22:23], v[200:201], v[10:11], v[22:23] op_sel_hi:[1,0,1]
	v_and_b32_e32 v201, 0xffff0000, v8
	v_lshlrev_b32_e32 v200, 16, v8
	v_pk_fma_f32 v[196:197], v[200:201], v[2:3], v[196:197] op_sel_hi:[1,0,1]
	v_accvgpr_read_b32 v8, a41
	v_pk_add_f32 v[22:23], v[22:23], v[196:197]
	s_nop 0
	v_pk_add_f32 v[226:227], v[22:23], v[226:227]
	v_and_b32_e32 v23, 0xffff0000, v8
	v_lshlrev_b32_e32 v22, 16, v8
	v_accvgpr_read_b32 v8, a47
	v_and_b32_e32 v197, 0xffff0000, v8
	v_lshlrev_b32_e32 v196, 16, v8
	v_accvgpr_read_b32 v8, a54
	v_pk_mul_f32 v[22:23], v[66:67], v[22:23] op_sel_hi:[0,1]
	v_and_b32_e32 v201, 0xffff0000, v8
	v_lshlrev_b32_e32 v200, 16, v8
	v_accvgpr_read_b32 v8, a57
	v_pk_mul_f32 v[196:197], v[58:59], v[196:197] op_sel_hi:[0,1]
	v_pk_fma_f32 v[22:23], v[200:201], v[50:51], v[22:23] op_sel_hi:[1,0,1]
	v_and_b32_e32 v201, 0xffff0000, v8
	v_lshlrev_b32_e32 v200, 16, v8
	v_pk_fma_f32 v[196:197], v[200:201], v[46:47], v[196:197] op_sel_hi:[1,0,1]
	v_and_b32_e32 v201, 0xffff0000, v202
	v_lshlrev_b32_e32 v200, 16, v202
	v_pk_fma_f32 v[22:23], v[200:201], v[38:39], v[22:23] op_sel_hi:[1,0,1]
	v_and_b32_e32 v201, 0xffff0000, v203
	v_lshlrev_b32_e32 v200, 16, v203
	v_accvgpr_read_b32 v8, a29
	v_pk_fma_f32 v[196:197], v[200:201], v[14:15], v[196:197] op_sel_hi:[1,0,1]
	v_and_b32_e32 v201, 0xffff0000, v8
	v_lshlrev_b32_e32 v200, 16, v8
	v_accvgpr_read_b32 v8, a30
	v_pk_fma_f32 v[22:23], v[200:201], v[10:11], v[22:23] op_sel_hi:[1,0,1]
	v_and_b32_e32 v201, 0xffff0000, v8
	v_lshlrev_b32_e32 v200, 16, v8
	v_pk_fma_f32 v[196:197], v[200:201], v[2:3], v[196:197] op_sel_hi:[1,0,1]
	v_accvgpr_read_b32 v8, a40
	v_pk_add_f32 v[22:23], v[22:23], v[196:197]
	s_nop 0
	v_pk_add_f32 v[224:225], v[22:23], v[224:225]
	v_and_b32_e32 v23, 0xffff0000, v8
	v_lshlrev_b32_e32 v22, 16, v8
	v_accvgpr_read_b32 v8, a46
	v_and_b32_e32 v197, 0xffff0000, v8
	v_lshlrev_b32_e32 v196, 16, v8
	v_accvgpr_read_b32 v8, a52
	v_pk_mul_f32 v[22:23], v[66:67], v[22:23] op_sel_hi:[0,1]
	v_and_b32_e32 v201, 0xffff0000, v8
	v_lshlrev_b32_e32 v200, 16, v8
	v_accvgpr_read_b32 v8, a55
	v_pk_mul_f32 v[196:197], v[58:59], v[196:197] op_sel_hi:[0,1]
	v_pk_fma_f32 v[22:23], v[200:201], v[50:51], v[22:23] op_sel_hi:[1,0,1]
	v_and_b32_e32 v201, 0xffff0000, v8
	v_lshlrev_b32_e32 v200, 16, v8
	v_accvgpr_read_b32 v8, a26
	v_pk_fma_f32 v[196:197], v[200:201], v[46:47], v[196:197] op_sel_hi:[1,0,1]
	v_and_b32_e32 v201, 0xffff0000, v8
	v_lshlrev_b32_e32 v200, 16, v8
	v_accvgpr_read_b32 v8, a28
	;; [unrolled: 4-line block ×4, first 2 shown]
	v_pk_fma_f32 v[22:23], v[200:201], v[10:11], v[22:23] op_sel_hi:[1,0,1]
	v_and_b32_e32 v201, 0xffff0000, v8
	v_lshlrev_b32_e32 v200, 16, v8
	v_pk_fma_f32 v[196:197], v[200:201], v[2:3], v[196:197] op_sel_hi:[1,0,1]
	v_accvgpr_read_b32 v8, a39
	v_pk_add_f32 v[22:23], v[22:23], v[196:197]
	s_nop 0
	v_pk_add_f32 v[222:223], v[22:23], v[222:223]
	v_and_b32_e32 v23, 0xffff0000, v8
	v_lshlrev_b32_e32 v22, 16, v8
	v_accvgpr_read_b32 v8, a45
	v_and_b32_e32 v197, 0xffff0000, v8
	v_lshlrev_b32_e32 v196, 16, v8
	v_accvgpr_read_b32 v8, a50
	v_pk_mul_f32 v[22:23], v[66:67], v[22:23] op_sel_hi:[0,1]
	v_and_b32_e32 v201, 0xffff0000, v8
	v_lshlrev_b32_e32 v200, 16, v8
	v_accvgpr_read_b32 v8, a53
	v_pk_mul_f32 v[196:197], v[58:59], v[196:197] op_sel_hi:[0,1]
	v_pk_fma_f32 v[22:23], v[200:201], v[50:51], v[22:23] op_sel_hi:[1,0,1]
	v_and_b32_e32 v201, 0xffff0000, v8
	v_lshlrev_b32_e32 v200, 16, v8
	v_accvgpr_read_b32 v8, a15
	v_pk_fma_f32 v[196:197], v[200:201], v[46:47], v[196:197] op_sel_hi:[1,0,1]
	v_and_b32_e32 v201, 0xffff0000, v8
	v_lshlrev_b32_e32 v200, 16, v8
	v_accvgpr_read_b32 v8, a19
	v_pk_fma_f32 v[22:23], v[200:201], v[38:39], v[22:23] op_sel_hi:[1,0,1]
	v_and_b32_e32 v201, 0xffff0000, v8
	v_lshlrev_b32_e32 v200, 16, v8
	v_accvgpr_read_b32 v8, a13
	v_pk_fma_f32 v[196:197], v[200:201], v[14:15], v[196:197] op_sel_hi:[1,0,1]
	v_and_b32_e32 v201, 0xffff0000, v8
	v_lshlrev_b32_e32 v200, 16, v8
	v_accvgpr_read_b32 v8, a17
	v_pk_fma_f32 v[22:23], v[200:201], v[10:11], v[22:23] op_sel_hi:[1,0,1]
	v_and_b32_e32 v201, 0xffff0000, v8
	v_lshlrev_b32_e32 v200, 16, v8
	v_pk_fma_f32 v[196:197], v[200:201], v[2:3], v[196:197] op_sel_hi:[1,0,1]
	v_accvgpr_read_b32 v8, a38
	v_pk_add_f32 v[22:23], v[22:23], v[196:197]
	s_nop 0
	v_pk_add_f32 v[220:221], v[22:23], v[220:221]
	v_and_b32_e32 v23, 0xffff0000, v8
	v_lshlrev_b32_e32 v22, 16, v8
	v_accvgpr_read_b32 v8, a44
	v_and_b32_e32 v197, 0xffff0000, v8
	v_lshlrev_b32_e32 v196, 16, v8
	v_accvgpr_read_b32 v8, a49
	v_pk_mul_f32 v[22:23], v[66:67], v[22:23] op_sel_hi:[0,1]
	v_and_b32_e32 v201, 0xffff0000, v8
	v_lshlrev_b32_e32 v200, 16, v8
	v_accvgpr_read_b32 v8, a51
	v_pk_mul_f32 v[196:197], v[58:59], v[196:197] op_sel_hi:[0,1]
	v_pk_fma_f32 v[22:23], v[200:201], v[50:51], v[22:23] op_sel_hi:[1,0,1]
	v_and_b32_e32 v201, 0xffff0000, v8
	v_lshlrev_b32_e32 v200, 16, v8
	v_accvgpr_read_b32 v8, a7
	v_pk_fma_f32 v[196:197], v[200:201], v[46:47], v[196:197] op_sel_hi:[1,0,1]
	v_and_b32_e32 v201, 0xffff0000, v8
	v_lshlrev_b32_e32 v200, 16, v8
	v_accvgpr_read_b32 v8, a11
	;; [unrolled: 4-line block ×4, first 2 shown]
	v_pk_fma_f32 v[22:23], v[200:201], v[10:11], v[22:23] op_sel_hi:[1,0,1]
	v_and_b32_e32 v201, 0xffff0000, v8
	v_lshlrev_b32_e32 v200, 16, v8
	v_pk_fma_f32 v[196:197], v[200:201], v[2:3], v[196:197] op_sel_hi:[1,0,1]
	s_nop 0
	v_pk_add_f32 v[22:23], v[22:23], v[196:197]
	s_nop 0
	v_pk_add_f32 v[218:219], v[22:23], v[218:219]
	s_branch .LBB39_6
.LBB39_23:                              ;   in Loop: Header=BB39_4 Depth=1
	v_lshrrev_b32_e32 v2, 16, v67
	v_accvgpr_write_b32 a99, v2
	v_lshrrev_b32_e32 v2, 16, v85
	v_accvgpr_write_b32 a100, v2
	;; [unrolled: 2-line block ×11, first 2 shown]
	v_accvgpr_read_b32 v2, a28
	v_lshrrev_b32_e32 v46, 16, v2
	v_accvgpr_read_b32 v2, a26
	v_lshrrev_b32_e32 v50, 16, v2
	v_accvgpr_read_b32 v2, a19
	v_lshrrev_b32_e32 v66, 16, v2
	v_accvgpr_read_b32 v2, a15
	v_lshrrev_b32_e32 v75, 16, v2
	v_accvgpr_read_b32 v2, a11
	v_accvgpr_read_b32 v8, a7
	v_lshrrev_b32_e32 v196, 16, v47
	v_lshrrev_b32_e32 v197, 16, v65
	;; [unrolled: 1-line block ×13, first 2 shown]
	s_branch .LBB39_25
.LBB39_24:                              ;   in Loop: Header=BB39_4 Depth=1
	v_accvgpr_read_b32 v8, a15
	v_lshrrev_b32_e32 v75, 16, v8
	v_accvgpr_read_b32 v8, a19
	v_lshrrev_b32_e32 v66, 16, v8
	;; [unrolled: 2-line block ×4, first 2 shown]
	v_lshrrev_b32_e32 v8, 16, v203
	v_accvgpr_write_b32 a109, v8
	v_lshrrev_b32_e32 v8, 16, v133
	v_accvgpr_write_b32 a108, v8
	;; [unrolled: 2-line block ×8, first 2 shown]
	v_lshrrev_b32_e32 v8, 16, v21
	v_accvgpr_read_b32 v2, a7
	v_accvgpr_write_b32 a101, v8
	v_lshrrev_b32_e32 v8, 16, v85
	v_lshrrev_b32_e32 v10, 16, v2
	v_accvgpr_read_b32 v2, a11
	v_accvgpr_write_b32 a100, v8
	v_lshrrev_b32_e32 v8, 16, v67
	v_lshrrev_b32_e32 v2, 16, v2
	;; [unrolled: 1-line block ×9, first 2 shown]
	v_accvgpr_write_b32 a99, v8
	v_lshrrev_b32_e32 v201, 16, v20
	v_lshrrev_b32_e32 v200, 16, v186
	;; [unrolled: 1-line block ×4, first 2 shown]
	v_mov_b32_e32 v231, v193
	v_mov_b32_e32 v230, v193
	v_mov_b32_e32 v229, v193
	v_mov_b32_e32 v228, v193
	v_mov_b32_e32 v227, v193
	v_mov_b32_e32 v226, v193
	v_mov_b32_e32 v225, v193
	v_mov_b32_e32 v224, v193
	v_mov_b32_e32 v223, v193
	v_mov_b32_e32 v222, v193
	v_mov_b32_e32 v221, v193
	v_mov_b32_e32 v220, v193
	v_mov_b32_e32 v219, v193
	v_mov_b32_e32 v218, v193
.LBB39_25:                              ;   in Loop: Header=BB39_4 Depth=1
	;;#ASMSTART
	s_nop 0
	v_add_f32 v231, v231, v231 row_shr:8 bound_ctrl:0 
	;;#ASMEND
	;;#ASMSTART
	s_nop 0
	v_add_f32 v230, v230, v230 row_shr:8 bound_ctrl:0 
	;;#ASMEND
	;;#ASMSTART
	s_nop 0
	v_add_f32 v229, v229, v229 row_shr:8 bound_ctrl:0 
	;;#ASMEND
	;;#ASMSTART
	s_nop 0
	v_add_f32 v228, v228, v228 row_shr:8 bound_ctrl:0 
	;;#ASMEND
	;;#ASMSTART
	s_nop 0
	v_add_f32 v227, v227, v227 row_shr:8 bound_ctrl:0 
	;;#ASMEND
	;;#ASMSTART
	s_nop 0
	v_add_f32 v226, v226, v226 row_shr:8 bound_ctrl:0 
	;;#ASMEND
	;;#ASMSTART
	s_nop 0
	v_add_f32 v225, v225, v225 row_shr:8 bound_ctrl:0 
	;;#ASMEND
	;;#ASMSTART
	s_nop 0
	v_add_f32 v224, v224, v224 row_shr:8 bound_ctrl:0 
	;;#ASMEND
	;;#ASMSTART
	s_nop 0
	v_add_f32 v223, v223, v223 row_shr:8 bound_ctrl:0 
	;;#ASMEND
	;;#ASMSTART
	s_nop 0
	v_add_f32 v222, v222, v222 row_shr:8 bound_ctrl:0 
	;;#ASMEND
	;;#ASMSTART
	s_nop 0
	v_add_f32 v221, v221, v221 row_shr:8 bound_ctrl:0 
	;;#ASMEND
	;;#ASMSTART
	s_nop 0
	v_add_f32 v220, v220, v220 row_shr:8 bound_ctrl:0 
	;;#ASMEND
	;;#ASMSTART
	s_nop 0
	v_add_f32 v219, v219, v219 row_shr:8 bound_ctrl:0 
	;;#ASMEND
	;;#ASMSTART
	s_nop 0
	v_add_f32 v218, v218, v218 row_shr:8 bound_ctrl:0 
	;;#ASMEND
	s_nop 0
	;;#ASMSTART
	s_nop 0
	v_add_f32 v231, v231, v231 row_shr:4 bound_ctrl:0 
	;;#ASMEND
	;;#ASMSTART
	s_nop 0
	v_add_f32 v230, v230, v230 row_shr:4 bound_ctrl:0 
	;;#ASMEND
	;;#ASMSTART
	s_nop 0
	v_add_f32 v229, v229, v229 row_shr:4 bound_ctrl:0 
	;;#ASMEND
	;;#ASMSTART
	s_nop 0
	v_add_f32 v228, v228, v228 row_shr:4 bound_ctrl:0 
	;;#ASMEND
	;;#ASMSTART
	s_nop 0
	v_add_f32 v227, v227, v227 row_shr:4 bound_ctrl:0 
	;;#ASMEND
	;;#ASMSTART
	s_nop 0
	v_add_f32 v226, v226, v226 row_shr:4 bound_ctrl:0 
	;;#ASMEND
	;;#ASMSTART
	s_nop 0
	v_add_f32 v225, v225, v225 row_shr:4 bound_ctrl:0 
	;;#ASMEND
	;;#ASMSTART
	s_nop 0
	v_add_f32 v224, v224, v224 row_shr:4 bound_ctrl:0 
	;;#ASMEND
	;;#ASMSTART
	s_nop 0
	v_add_f32 v223, v223, v223 row_shr:4 bound_ctrl:0 
	;;#ASMEND
	;;#ASMSTART
	s_nop 0
	v_add_f32 v222, v222, v222 row_shr:4 bound_ctrl:0 
	;;#ASMEND
	;;#ASMSTART
	s_nop 0
	v_add_f32 v221, v221, v221 row_shr:4 bound_ctrl:0 
	;;#ASMEND
	;;#ASMSTART
	s_nop 0
	v_add_f32 v220, v220, v220 row_shr:4 bound_ctrl:0 
	;;#ASMEND
	;;#ASMSTART
	s_nop 0
	v_add_f32 v219, v219, v219 row_shr:4 bound_ctrl:0 
	;;#ASMEND
	;;#ASMSTART
	s_nop 0
	v_add_f32 v218, v218, v218 row_shr:4 bound_ctrl:0 
	;;#ASMEND
	s_nop 0
	;; [unrolled: 57-line block ×3, first 2 shown]
	;;#ASMSTART
	s_nop 0
	v_add_f32 v231, v231, v231 wave_shr:1 bound_ctrl:0
	;;#ASMEND
	;;#ASMSTART
	s_nop 0
	v_add_f32 v230, v230, v230 wave_shr:1 bound_ctrl:0
	;;#ASMEND
	;;#ASMSTART
	s_nop 0
	v_add_f32 v229, v229, v229 wave_shr:1 bound_ctrl:0
	;;#ASMEND
	;;#ASMSTART
	s_nop 0
	v_add_f32 v228, v228, v228 wave_shr:1 bound_ctrl:0
	;;#ASMEND
	;;#ASMSTART
	s_nop 0
	v_add_f32 v227, v227, v227 wave_shr:1 bound_ctrl:0
	;;#ASMEND
	;;#ASMSTART
	s_nop 0
	v_add_f32 v226, v226, v226 wave_shr:1 bound_ctrl:0
	;;#ASMEND
	;;#ASMSTART
	s_nop 0
	v_add_f32 v225, v225, v225 wave_shr:1 bound_ctrl:0
	;;#ASMEND
	;;#ASMSTART
	s_nop 0
	v_add_f32 v224, v224, v224 wave_shr:1 bound_ctrl:0
	;;#ASMEND
	;;#ASMSTART
	s_nop 0
	v_add_f32 v223, v223, v223 wave_shr:1 bound_ctrl:0
	;;#ASMEND
	;;#ASMSTART
	s_nop 0
	v_add_f32 v222, v222, v222 wave_shr:1 bound_ctrl:0
	;;#ASMEND
	;;#ASMSTART
	s_nop 0
	v_add_f32 v221, v221, v221 wave_shr:1 bound_ctrl:0
	;;#ASMEND
	;;#ASMSTART
	s_nop 0
	v_add_f32 v220, v220, v220 wave_shr:1 bound_ctrl:0
	;;#ASMEND
	;;#ASMSTART
	s_nop 0
	v_add_f32 v219, v219, v219 wave_shr:1 bound_ctrl:0
	;;#ASMEND
	;;#ASMSTART
	s_nop 0
	v_add_f32 v218, v218, v218 wave_shr:1 bound_ctrl:0
	;;#ASMEND
	s_nop 0
	;;#ASMSTART
	s_nop 0
	v_add_f32 v231, v231, v231 row_bcast:15 bound_ctrl:0
	;;#ASMEND
	;;#ASMSTART
	s_nop 0
	v_add_f32 v230, v230, v230 row_bcast:15 bound_ctrl:0
	;;#ASMEND
	;; [unrolled: 4-line block ×14, first 2 shown]
	s_nop 0
	;;#ASMSTART
	s_nop 0
	v_add_f32 v231, v231, v231 row_bcast:31 bound_ctrl:0
	;;#ASMEND
	;;#ASMSTART
	s_nop 0
	v_add_f32 v230, v230, v230 row_bcast:31 bound_ctrl:0
	;;#ASMEND
	;; [unrolled: 4-line block ×14, first 2 shown]
	s_and_saveexec_b64 s[4:5], s[0:1]
	s_cbranch_execz .LBB39_3
; %bb.26:                               ;   in Loop: Header=BB39_4 Depth=1
	v_and_b32_e32 v8, 0x7f800000, v231
	v_cmp_ne_u32_e32 vcc, s28, v8
                                        ; implicit-def: $vgpr192
	s_and_saveexec_b64 s[16:17], vcc
	s_xor_b64 s[16:17], exec, s[16:17]
; %bb.27:                               ;   in Loop: Header=BB39_4 Depth=1
	v_bfe_u32 v8, v231, 16, 1
	v_add3_u32 v192, v231, v8, s29
; %bb.28:                               ;   in Loop: Header=BB39_4 Depth=1
	s_andn2_saveexec_b64 s[16:17], s[16:17]
; %bb.29:                               ;   in Loop: Header=BB39_4 Depth=1
	v_or_b32_e32 v8, 0x10000, v231
	v_cmp_eq_u32_sdwa vcc, v231, v193 src0_sel:WORD_0 src1_sel:DWORD
	s_nop 1
	v_cndmask_b32_e32 v192, v8, v231, vcc
; %bb.30:                               ;   in Loop: Header=BB39_4 Depth=1
	s_or_b64 exec, exec, s[16:17]
	v_accvgpr_read_b32 v22, a0
	v_mov_b32_e32 v23, v193
	v_and_b32_e32 v8, 0x7f800000, v230
	s_waitcnt lgkmcnt(0)
	v_lshl_add_u64 v[22:23], v[22:23], 1, s[12:13]
	v_cmp_ne_u32_e32 vcc, s28, v8
	global_store_short_d16_hi v[22:23], v192, off
                                        ; implicit-def: $vgpr231
	s_and_saveexec_b64 s[16:17], vcc
	s_xor_b64 s[16:17], exec, s[16:17]
; %bb.31:                               ;   in Loop: Header=BB39_4 Depth=1
	v_bfe_u32 v8, v230, 16, 1
	v_add3_u32 v231, v230, v8, s29
                                        ; implicit-def: $vgpr230
; %bb.32:                               ;   in Loop: Header=BB39_4 Depth=1
	s_andn2_saveexec_b64 s[16:17], s[16:17]
; %bb.33:                               ;   in Loop: Header=BB39_4 Depth=1
	v_or_b32_e32 v8, 0x10000, v230
	v_cmp_eq_u32_sdwa vcc, v230, v193 src0_sel:WORD_0 src1_sel:DWORD
	s_nop 1
	v_cndmask_b32_e32 v231, v8, v230, vcc
; %bb.34:                               ;   in Loop: Header=BB39_4 Depth=1
	s_or_b64 exec, exec, s[16:17]
	v_accvgpr_read_b32 v8, a0
	v_add_u32_e32 v192, s7, v8
	v_and_b32_e32 v8, 0x7f800000, v229
	v_lshl_add_u64 v[22:23], v[192:193], 1, s[12:13]
	v_cmp_ne_u32_e32 vcc, s28, v8
	global_store_short_d16_hi v[22:23], v231, off
                                        ; implicit-def: $vgpr230
	s_and_saveexec_b64 s[16:17], vcc
	s_xor_b64 s[16:17], exec, s[16:17]
; %bb.35:                               ;   in Loop: Header=BB39_4 Depth=1
	v_bfe_u32 v8, v229, 16, 1
	v_add3_u32 v230, v229, v8, s29
; %bb.36:                               ;   in Loop: Header=BB39_4 Depth=1
	s_andn2_saveexec_b64 s[16:17], s[16:17]
; %bb.37:                               ;   in Loop: Header=BB39_4 Depth=1
	v_or_b32_e32 v8, 0x10000, v229
	v_cmp_eq_u32_sdwa vcc, v229, v193 src0_sel:WORD_0 src1_sel:DWORD
	s_nop 1
	v_cndmask_b32_e32 v230, v8, v229, vcc
; %bb.38:                               ;   in Loop: Header=BB39_4 Depth=1
	s_or_b64 exec, exec, s[16:17]
	v_add_u32_e32 v192, s7, v192
	v_and_b32_e32 v8, 0x7f800000, v228
	v_lshl_add_u64 v[22:23], v[192:193], 1, s[12:13]
	v_cmp_ne_u32_e32 vcc, s28, v8
	global_store_short_d16_hi v[22:23], v230, off
                                        ; implicit-def: $vgpr229
	s_and_saveexec_b64 s[16:17], vcc
	s_xor_b64 s[16:17], exec, s[16:17]
; %bb.39:                               ;   in Loop: Header=BB39_4 Depth=1
	v_bfe_u32 v8, v228, 16, 1
	v_add3_u32 v229, v228, v8, s29
                                        ; implicit-def: $vgpr228
; %bb.40:                               ;   in Loop: Header=BB39_4 Depth=1
	s_andn2_saveexec_b64 s[16:17], s[16:17]
; %bb.41:                               ;   in Loop: Header=BB39_4 Depth=1
	v_or_b32_e32 v8, 0x10000, v228
	v_cmp_eq_u32_sdwa vcc, v228, v193 src0_sel:WORD_0 src1_sel:DWORD
	s_nop 1
	v_cndmask_b32_e32 v229, v8, v228, vcc
; %bb.42:                               ;   in Loop: Header=BB39_4 Depth=1
	s_or_b64 exec, exec, s[16:17]
	v_add_u32_e32 v192, s7, v192
	v_and_b32_e32 v8, 0x7f800000, v227
	v_lshl_add_u64 v[22:23], v[192:193], 1, s[12:13]
	v_cmp_ne_u32_e32 vcc, s28, v8
	global_store_short_d16_hi v[22:23], v229, off
                                        ; implicit-def: $vgpr228
	s_and_saveexec_b64 s[16:17], vcc
	s_xor_b64 s[16:17], exec, s[16:17]
; %bb.43:                               ;   in Loop: Header=BB39_4 Depth=1
	v_bfe_u32 v8, v227, 16, 1
	v_add3_u32 v228, v227, v8, s29
; %bb.44:                               ;   in Loop: Header=BB39_4 Depth=1
	s_andn2_saveexec_b64 s[16:17], s[16:17]
; %bb.45:                               ;   in Loop: Header=BB39_4 Depth=1
	v_or_b32_e32 v8, 0x10000, v227
	v_cmp_eq_u32_sdwa vcc, v227, v193 src0_sel:WORD_0 src1_sel:DWORD
	s_nop 1
	v_cndmask_b32_e32 v228, v8, v227, vcc
; %bb.46:                               ;   in Loop: Header=BB39_4 Depth=1
	s_or_b64 exec, exec, s[16:17]
	v_add_u32_e32 v192, s7, v192
	v_and_b32_e32 v8, 0x7f800000, v226
	v_lshl_add_u64 v[22:23], v[192:193], 1, s[12:13]
	v_cmp_ne_u32_e32 vcc, s28, v8
	global_store_short_d16_hi v[22:23], v228, off
                                        ; implicit-def: $vgpr227
	s_and_saveexec_b64 s[16:17], vcc
	s_xor_b64 s[16:17], exec, s[16:17]
; %bb.47:                               ;   in Loop: Header=BB39_4 Depth=1
	v_bfe_u32 v8, v226, 16, 1
	v_add3_u32 v227, v226, v8, s29
                                        ; implicit-def: $vgpr226
; %bb.48:                               ;   in Loop: Header=BB39_4 Depth=1
	s_andn2_saveexec_b64 s[16:17], s[16:17]
; %bb.49:                               ;   in Loop: Header=BB39_4 Depth=1
	v_or_b32_e32 v8, 0x10000, v226
	v_cmp_eq_u32_sdwa vcc, v226, v193 src0_sel:WORD_0 src1_sel:DWORD
	s_nop 1
	v_cndmask_b32_e32 v227, v8, v226, vcc
; %bb.50:                               ;   in Loop: Header=BB39_4 Depth=1
	s_or_b64 exec, exec, s[16:17]
	v_add_u32_e32 v192, s7, v192
	v_and_b32_e32 v8, 0x7f800000, v225
	v_lshl_add_u64 v[22:23], v[192:193], 1, s[12:13]
	v_cmp_ne_u32_e32 vcc, s28, v8
	global_store_short_d16_hi v[22:23], v227, off
                                        ; implicit-def: $vgpr226
	s_and_saveexec_b64 s[16:17], vcc
	s_xor_b64 s[16:17], exec, s[16:17]
; %bb.51:                               ;   in Loop: Header=BB39_4 Depth=1
	v_bfe_u32 v8, v225, 16, 1
	v_add3_u32 v226, v225, v8, s29
; %bb.52:                               ;   in Loop: Header=BB39_4 Depth=1
	s_andn2_saveexec_b64 s[16:17], s[16:17]
; %bb.53:                               ;   in Loop: Header=BB39_4 Depth=1
	v_or_b32_e32 v8, 0x10000, v225
	v_cmp_eq_u32_sdwa vcc, v225, v193 src0_sel:WORD_0 src1_sel:DWORD
	s_nop 1
	v_cndmask_b32_e32 v226, v8, v225, vcc
; %bb.54:                               ;   in Loop: Header=BB39_4 Depth=1
	s_or_b64 exec, exec, s[16:17]
	v_add_u32_e32 v192, s7, v192
	v_and_b32_e32 v8, 0x7f800000, v224
	v_lshl_add_u64 v[22:23], v[192:193], 1, s[12:13]
	v_cmp_ne_u32_e32 vcc, s28, v8
	global_store_short_d16_hi v[22:23], v226, off
                                        ; implicit-def: $vgpr225
	s_and_saveexec_b64 s[16:17], vcc
	s_xor_b64 s[16:17], exec, s[16:17]
; %bb.55:                               ;   in Loop: Header=BB39_4 Depth=1
	v_bfe_u32 v8, v224, 16, 1
	v_add3_u32 v225, v224, v8, s29
                                        ; implicit-def: $vgpr224
; %bb.56:                               ;   in Loop: Header=BB39_4 Depth=1
	s_andn2_saveexec_b64 s[16:17], s[16:17]
; %bb.57:                               ;   in Loop: Header=BB39_4 Depth=1
	v_or_b32_e32 v8, 0x10000, v224
	v_cmp_eq_u32_sdwa vcc, v224, v193 src0_sel:WORD_0 src1_sel:DWORD
	s_nop 1
	v_cndmask_b32_e32 v225, v8, v224, vcc
; %bb.58:                               ;   in Loop: Header=BB39_4 Depth=1
	s_or_b64 exec, exec, s[16:17]
	v_add_u32_e32 v192, s7, v192
	v_and_b32_e32 v8, 0x7f800000, v223
	v_lshl_add_u64 v[22:23], v[192:193], 1, s[12:13]
	v_cmp_ne_u32_e32 vcc, s28, v8
	global_store_short_d16_hi v[22:23], v225, off
                                        ; implicit-def: $vgpr224
	s_and_saveexec_b64 s[16:17], vcc
	s_xor_b64 s[16:17], exec, s[16:17]
; %bb.59:                               ;   in Loop: Header=BB39_4 Depth=1
	v_bfe_u32 v8, v223, 16, 1
	v_add3_u32 v224, v223, v8, s29
; %bb.60:                               ;   in Loop: Header=BB39_4 Depth=1
	s_andn2_saveexec_b64 s[16:17], s[16:17]
; %bb.61:                               ;   in Loop: Header=BB39_4 Depth=1
	v_or_b32_e32 v8, 0x10000, v223
	v_cmp_eq_u32_sdwa vcc, v223, v193 src0_sel:WORD_0 src1_sel:DWORD
	s_nop 1
	v_cndmask_b32_e32 v224, v8, v223, vcc
; %bb.62:                               ;   in Loop: Header=BB39_4 Depth=1
	s_or_b64 exec, exec, s[16:17]
	v_add_u32_e32 v192, s7, v192
	v_and_b32_e32 v8, 0x7f800000, v222
	v_lshl_add_u64 v[22:23], v[192:193], 1, s[12:13]
	v_cmp_ne_u32_e32 vcc, s28, v8
	global_store_short_d16_hi v[22:23], v224, off
                                        ; implicit-def: $vgpr223
	s_and_saveexec_b64 s[16:17], vcc
	s_xor_b64 s[16:17], exec, s[16:17]
; %bb.63:                               ;   in Loop: Header=BB39_4 Depth=1
	v_bfe_u32 v8, v222, 16, 1
	v_add3_u32 v223, v222, v8, s29
                                        ; implicit-def: $vgpr222
; %bb.64:                               ;   in Loop: Header=BB39_4 Depth=1
	s_andn2_saveexec_b64 s[16:17], s[16:17]
; %bb.65:                               ;   in Loop: Header=BB39_4 Depth=1
	v_or_b32_e32 v8, 0x10000, v222
	v_cmp_eq_u32_sdwa vcc, v222, v193 src0_sel:WORD_0 src1_sel:DWORD
	s_nop 1
	v_cndmask_b32_e32 v223, v8, v222, vcc
; %bb.66:                               ;   in Loop: Header=BB39_4 Depth=1
	s_or_b64 exec, exec, s[16:17]
	v_add_u32_e32 v192, s7, v192
	v_and_b32_e32 v8, 0x7f800000, v221
	v_lshl_add_u64 v[22:23], v[192:193], 1, s[12:13]
	v_cmp_ne_u32_e32 vcc, s28, v8
	global_store_short_d16_hi v[22:23], v223, off
                                        ; implicit-def: $vgpr222
	s_and_saveexec_b64 s[16:17], vcc
	s_xor_b64 s[16:17], exec, s[16:17]
; %bb.67:                               ;   in Loop: Header=BB39_4 Depth=1
	v_bfe_u32 v8, v221, 16, 1
	v_add3_u32 v222, v221, v8, s29
; %bb.68:                               ;   in Loop: Header=BB39_4 Depth=1
	s_andn2_saveexec_b64 s[16:17], s[16:17]
; %bb.69:                               ;   in Loop: Header=BB39_4 Depth=1
	v_or_b32_e32 v8, 0x10000, v221
	v_cmp_eq_u32_sdwa vcc, v221, v193 src0_sel:WORD_0 src1_sel:DWORD
	s_nop 1
	v_cndmask_b32_e32 v222, v8, v221, vcc
; %bb.70:                               ;   in Loop: Header=BB39_4 Depth=1
	s_or_b64 exec, exec, s[16:17]
	v_add_u32_e32 v192, s7, v192
	v_and_b32_e32 v8, 0x7f800000, v220
	v_lshl_add_u64 v[22:23], v[192:193], 1, s[12:13]
	v_cmp_ne_u32_e32 vcc, s28, v8
	global_store_short_d16_hi v[22:23], v222, off
                                        ; implicit-def: $vgpr221
	s_and_saveexec_b64 s[16:17], vcc
	s_xor_b64 s[16:17], exec, s[16:17]
; %bb.71:                               ;   in Loop: Header=BB39_4 Depth=1
	v_bfe_u32 v8, v220, 16, 1
	v_add3_u32 v221, v220, v8, s29
                                        ; implicit-def: $vgpr220
; %bb.72:                               ;   in Loop: Header=BB39_4 Depth=1
	s_andn2_saveexec_b64 s[16:17], s[16:17]
; %bb.73:                               ;   in Loop: Header=BB39_4 Depth=1
	v_or_b32_e32 v8, 0x10000, v220
	v_cmp_eq_u32_sdwa vcc, v220, v193 src0_sel:WORD_0 src1_sel:DWORD
	s_nop 1
	v_cndmask_b32_e32 v221, v8, v220, vcc
; %bb.74:                               ;   in Loop: Header=BB39_4 Depth=1
	s_or_b64 exec, exec, s[16:17]
	v_add_u32_e32 v192, s7, v192
	v_and_b32_e32 v8, 0x7f800000, v219
	v_lshl_add_u64 v[22:23], v[192:193], 1, s[12:13]
	v_cmp_ne_u32_e32 vcc, s28, v8
	global_store_short_d16_hi v[22:23], v221, off
                                        ; implicit-def: $vgpr220
	s_and_saveexec_b64 s[16:17], vcc
	s_xor_b64 s[16:17], exec, s[16:17]
; %bb.75:                               ;   in Loop: Header=BB39_4 Depth=1
	v_bfe_u32 v8, v219, 16, 1
	v_add3_u32 v220, v219, v8, s29
; %bb.76:                               ;   in Loop: Header=BB39_4 Depth=1
	s_andn2_saveexec_b64 s[16:17], s[16:17]
; %bb.77:                               ;   in Loop: Header=BB39_4 Depth=1
	v_or_b32_e32 v8, 0x10000, v219
	v_cmp_eq_u32_sdwa vcc, v219, v193 src0_sel:WORD_0 src1_sel:DWORD
	s_nop 1
	v_cndmask_b32_e32 v220, v8, v219, vcc
; %bb.78:                               ;   in Loop: Header=BB39_4 Depth=1
	s_or_b64 exec, exec, s[16:17]
	v_add_u32_e32 v192, s7, v192
	v_and_b32_e32 v8, 0x7f800000, v218
	v_lshl_add_u64 v[22:23], v[192:193], 1, s[12:13]
	v_cmp_ne_u32_e32 vcc, s28, v8
	global_store_short_d16_hi v[22:23], v220, off
                                        ; implicit-def: $vgpr219
	s_and_saveexec_b64 s[16:17], vcc
	s_xor_b64 s[16:17], exec, s[16:17]
; %bb.79:                               ;   in Loop: Header=BB39_4 Depth=1
	v_bfe_u32 v8, v218, 16, 1
	v_add3_u32 v219, v218, v8, s29
                                        ; implicit-def: $vgpr218
; %bb.80:                               ;   in Loop: Header=BB39_4 Depth=1
	s_andn2_saveexec_b64 s[16:17], s[16:17]
	s_cbranch_execz .LBB39_2
; %bb.81:                               ;   in Loop: Header=BB39_4 Depth=1
	v_or_b32_e32 v8, 0x10000, v218
	v_cmp_eq_u32_sdwa vcc, v218, v193 src0_sel:WORD_0 src1_sel:DWORD
	s_nop 1
	v_cndmask_b32_e32 v219, v8, v218, vcc
	s_branch .LBB39_2
.LBB39_82:
	s_endpgm
	.section	.rodata,"a",@progbits
	.p2align	6, 0x0
	.amdhsa_kernel _ZN5aiter32wv_splitk_small_fp16_bf16_kernelI14__hip_bfloat16Li64ELi1ELi1ELi8ELi4ELi14EEEviiPKT_S4_PS2_ii
		.amdhsa_group_segment_fixed_size 0
		.amdhsa_private_segment_fixed_size 0
		.amdhsa_kernarg_size 40
		.amdhsa_user_sgpr_count 2
		.amdhsa_user_sgpr_dispatch_ptr 0
		.amdhsa_user_sgpr_queue_ptr 0
		.amdhsa_user_sgpr_kernarg_segment_ptr 1
		.amdhsa_user_sgpr_dispatch_id 0
		.amdhsa_user_sgpr_kernarg_preload_length 0
		.amdhsa_user_sgpr_kernarg_preload_offset 0
		.amdhsa_user_sgpr_private_segment_size 0
		.amdhsa_uses_dynamic_stack 0
		.amdhsa_enable_private_segment 0
		.amdhsa_system_sgpr_workgroup_id_x 1
		.amdhsa_system_sgpr_workgroup_id_y 0
		.amdhsa_system_sgpr_workgroup_id_z 0
		.amdhsa_system_sgpr_workgroup_info 0
		.amdhsa_system_vgpr_workitem_id 1
		.amdhsa_next_free_vgpr 366
		.amdhsa_next_free_sgpr 31
		.amdhsa_accum_offset 256
		.amdhsa_reserve_vcc 1
		.amdhsa_float_round_mode_32 0
		.amdhsa_float_round_mode_16_64 0
		.amdhsa_float_denorm_mode_32 3
		.amdhsa_float_denorm_mode_16_64 3
		.amdhsa_dx10_clamp 1
		.amdhsa_ieee_mode 1
		.amdhsa_fp16_overflow 0
		.amdhsa_tg_split 0
		.amdhsa_exception_fp_ieee_invalid_op 0
		.amdhsa_exception_fp_denorm_src 0
		.amdhsa_exception_fp_ieee_div_zero 0
		.amdhsa_exception_fp_ieee_overflow 0
		.amdhsa_exception_fp_ieee_underflow 0
		.amdhsa_exception_fp_ieee_inexact 0
		.amdhsa_exception_int_div_zero 0
	.end_amdhsa_kernel
	.section	.text._ZN5aiter32wv_splitk_small_fp16_bf16_kernelI14__hip_bfloat16Li64ELi1ELi1ELi8ELi4ELi14EEEviiPKT_S4_PS2_ii,"axG",@progbits,_ZN5aiter32wv_splitk_small_fp16_bf16_kernelI14__hip_bfloat16Li64ELi1ELi1ELi8ELi4ELi14EEEviiPKT_S4_PS2_ii,comdat
.Lfunc_end39:
	.size	_ZN5aiter32wv_splitk_small_fp16_bf16_kernelI14__hip_bfloat16Li64ELi1ELi1ELi8ELi4ELi14EEEviiPKT_S4_PS2_ii, .Lfunc_end39-_ZN5aiter32wv_splitk_small_fp16_bf16_kernelI14__hip_bfloat16Li64ELi1ELi1ELi8ELi4ELi14EEEviiPKT_S4_PS2_ii
                                        ; -- End function
	.section	.AMDGPU.csdata,"",@progbits
; Kernel info:
; codeLenInByte = 13788
; NumSgprs: 37
; NumVgprs: 256
; NumAgprs: 110
; TotalNumVgprs: 366
; ScratchSize: 0
; MemoryBound: 0
; FloatMode: 240
; IeeeMode: 1
; LDSByteSize: 0 bytes/workgroup (compile time only)
; SGPRBlocks: 4
; VGPRBlocks: 45
; NumSGPRsForWavesPerEU: 37
; NumVGPRsForWavesPerEU: 366
; AccumOffset: 256
; Occupancy: 1
; WaveLimiterHint : 0
; COMPUTE_PGM_RSRC2:SCRATCH_EN: 0
; COMPUTE_PGM_RSRC2:USER_SGPR: 2
; COMPUTE_PGM_RSRC2:TRAP_HANDLER: 0
; COMPUTE_PGM_RSRC2:TGID_X_EN: 1
; COMPUTE_PGM_RSRC2:TGID_Y_EN: 0
; COMPUTE_PGM_RSRC2:TGID_Z_EN: 0
; COMPUTE_PGM_RSRC2:TIDIG_COMP_CNT: 1
; COMPUTE_PGM_RSRC3_GFX90A:ACCUM_OFFSET: 63
; COMPUTE_PGM_RSRC3_GFX90A:TG_SPLIT: 0
	.section	.text._ZN5aiter32wv_splitk_small_fp16_bf16_kernelI14__hip_bfloat16Li64ELi1ELi1ELi8ELi4ELi15EEEviiPKT_S4_PS2_ii,"axG",@progbits,_ZN5aiter32wv_splitk_small_fp16_bf16_kernelI14__hip_bfloat16Li64ELi1ELi1ELi8ELi4ELi15EEEviiPKT_S4_PS2_ii,comdat
	.protected	_ZN5aiter32wv_splitk_small_fp16_bf16_kernelI14__hip_bfloat16Li64ELi1ELi1ELi8ELi4ELi15EEEviiPKT_S4_PS2_ii ; -- Begin function _ZN5aiter32wv_splitk_small_fp16_bf16_kernelI14__hip_bfloat16Li64ELi1ELi1ELi8ELi4ELi15EEEviiPKT_S4_PS2_ii
	.globl	_ZN5aiter32wv_splitk_small_fp16_bf16_kernelI14__hip_bfloat16Li64ELi1ELi1ELi8ELi4ELi15EEEviiPKT_S4_PS2_ii
	.p2align	8
	.type	_ZN5aiter32wv_splitk_small_fp16_bf16_kernelI14__hip_bfloat16Li64ELi1ELi1ELi8ELi4ELi15EEEviiPKT_S4_PS2_ii,@function
_ZN5aiter32wv_splitk_small_fp16_bf16_kernelI14__hip_bfloat16Li64ELi1ELi1ELi8ELi4ELi15EEEviiPKT_S4_PS2_ii: ; @_ZN5aiter32wv_splitk_small_fp16_bf16_kernelI14__hip_bfloat16Li64ELi1ELi1ELi8ELi4ELi15EEEviiPKT_S4_PS2_ii
; %bb.0:
	s_load_dwordx2 s[4:5], s[0:1], 0x20
	s_load_dwordx2 s[6:7], s[0:1], 0x0
	v_bfe_u32 v1, v0, 10, 10
	s_waitcnt lgkmcnt(0)
	s_mul_i32 s2, s2, s4
	v_add_u32_e32 v2, s2, v1
	v_accvgpr_write_b32 a58, v2
	v_cmp_gt_u32_e32 vcc, s7, v2
	s_and_saveexec_b64 s[2:3], vcc
	s_cbranch_execz .LBB40_86
; %bb.1:
	v_and_b32_e32 v0, 0x3ff, v0
	s_load_dwordx4 s[8:11], s[0:1], 0x8
	s_load_dwordx2 s[12:13], s[0:1], 0x18
	v_lshlrev_b32_e32 v32, 3, v0
	v_cmp_eq_u32_e64 s[0:1], 63, v0
	v_accvgpr_read_b32 v0, a58
	v_mad_u64_u32 v[212:213], s[2:3], s6, v0, v[32:33]
	v_lshl_add_u32 v0, s6, 1, v32
	v_accvgpr_write_b32 a59, v0
	v_mad_u64_u32 v[0:1], s[2:3], s6, 5, v[32:33]
	v_accvgpr_write_b32 a4, v0
	v_mad_u64_u32 v[0:1], s[2:3], s6, 6, v[32:33]
	;; [unrolled: 2-line block ×8, first 2 shown]
	s_cmp_lg_u32 s6, 0
	v_accvgpr_write_b32 a18, v0
	v_mad_u64_u32 v[0:1], s[2:3], s6, 14, v[32:33]
	v_accvgpr_write_b32 a20, v0
	v_add_u32_e32 v0, s6, v32
	s_mul_i32 s24, s5, s4
	v_accvgpr_write_b32 a37, v0
	v_mad_u64_u32 v[44:45], s[2:3], s6, 3, v[32:33]
	s_mul_i32 s25, s24, s6
	v_lshl_add_u32 v68, s6, 2, v32
	v_lshl_add_u32 v23, s6, 3, v32
	s_cselect_b64 s[2:3], -1, 0
	v_cndmask_b32_e64 v0, 0, 1, s[2:3]
	s_mov_b64 s[14:15], 0
	s_mov_b32 s26, 0x5040100
	s_mov_b32 s27, 0x7060302
	;; [unrolled: 1-line block ×3, first 2 shown]
	s_movk_i32 s29, 0x7fff
	v_mov_b32_e32 v231, 0
	v_cmp_ne_u32_e64 s[2:3], 1, v0
                                        ; implicit-def: $agpr115
                                        ; implicit-def: $vgpr0
                                        ; implicit-def: $vgpr62
                                        ; implicit-def: $vgpr5
                                        ; implicit-def: $vgpr200
                                        ; implicit-def: $agpr23
                                        ; implicit-def: $agpr22
                                        ; implicit-def: $agpr116
                                        ; implicit-def: $vgpr13
                                        ; implicit-def: $agpr117
                                        ; implicit-def: $vgpr201
                                        ; implicit-def: $vgpr204
                                        ; implicit-def: $vgpr205
                                        ; implicit-def: $agpr118
                                        ; implicit-def: $vgpr208
                                        ; implicit-def: $vgpr209
                                        ; implicit-def: $agpr47
                                        ; implicit-def: $vgpr165
                                        ; implicit-def: $vgpr187
                                        ; implicit-def: $vgpr214
                                        ; implicit-def: $vgpr215
                                        ; implicit-def: $vgpr216
                                        ; implicit-def: $vgpr181
                                        ; implicit-def: $vgpr217
                                        ; implicit-def: $vgpr218
                                        ; implicit-def: $agpr48
                                        ; implicit-def: $vgpr189
                                        ; implicit-def: $vgpr185
                                        ; implicit-def: $vgpr219
                                        ; implicit-def: $vgpr220
                                        ; implicit-def: $vgpr221
                                        ; implicit-def: $vgpr193
                                        ; implicit-def: $vgpr222
                                        ; implicit-def: $vgpr223
                                        ; implicit-def: $agpr49
                                        ; implicit-def: $vgpr190
                                        ; implicit-def: $vgpr194
                                        ; implicit-def: $vgpr224
                                        ; implicit-def: $vgpr225
                                        ; implicit-def: $vgpr226
                                        ; implicit-def: $vgpr198
                                        ; implicit-def: $vgpr227
                                        ; implicit-def: $vgpr228
                                        ; implicit-def: $agpr51
                                        ; implicit-def: $vgpr166
                                        ; implicit-def: $vgpr182
                                        ; implicit-def: $vgpr229
                                        ; implicit-def: $vgpr233
                                        ; implicit-def: $vgpr234
                                        ; implicit-def: $vgpr186
                                        ; implicit-def: $vgpr235
                                        ; implicit-def: $vgpr250
                                        ; implicit-def: $agpr52
                                        ; implicit-def: $vgpr191
                                        ; implicit-def: $vgpr195
                                        ; implicit-def: $vgpr251
                                        ; implicit-def: $vgpr254
                                        ; implicit-def: $vgpr255
                                        ; implicit-def: $vgpr197
                                        ; implicit-def: $vgpr210
                                        ; implicit-def: $vgpr211
                                        ; implicit-def: $agpr92
                                        ; implicit-def: $vgpr202
                                        ; implicit-def: $vgpr102
                                        ; implicit-def: $vgpr206
                                        ; implicit-def: $vgpr121
                                        ; implicit-def: $vgpr123
                                        ; implicit-def: $agpr1
                                        ; implicit-def: $agpr3
                                        ; implicit-def: $agpr5
                                        ; implicit-def: $agpr7
                                        ; implicit-def: $vgpr203
                                        ; implicit-def: $vgpr199
                                        ; implicit-def: $agpr9
                                        ; implicit-def: $agpr11
                                        ; implicit-def: $agpr13
                                        ; implicit-def: $agpr15
                                        ; implicit-def: $vgpr9
                                        ; implicit-def: $vgpr147
                                        ; implicit-def: $agpr17
                                        ; implicit-def: $agpr19
                                        ; implicit-def: $agpr21
                                        ; implicit-def: $agpr26
                                        ; implicit-def: $vgpr145
                                        ; implicit-def: $vgpr127
                                        ; implicit-def: $agpr27
                                        ; implicit-def: $agpr28
                                        ; implicit-def: $agpr29
                                        ; implicit-def: $agpr30
                                        ; implicit-def: $vgpr125
                                        ; implicit-def: $vgpr103
                                        ; implicit-def: $agpr31
                                        ; implicit-def: $agpr32
                                        ; implicit-def: $agpr33
                                        ; implicit-def: $agpr34
                                        ; implicit-def: $vgpr101
                                        ; implicit-def: $vgpr71
                                        ; implicit-def: $agpr0
                                        ; implicit-def: $agpr2
                                        ; implicit-def: $agpr35
                                        ; implicit-def: $agpr36
                                        ; implicit-def: $vgpr69
                                        ; implicit-def: $vgpr47
                                        ; implicit-def: $agpr84
                                        ; implicit-def: $agpr85
                                        ; implicit-def: $agpr86
                                        ; implicit-def: $agpr87
                                        ; implicit-def: $vgpr45
                                        ; implicit-def: $vgpr70
                                        ; implicit-def: $vgpr43
                                        ; implicit-def: $vgpr7
                                        ; implicit-def: $vgpr39
                                        ; implicit-def: $vgpr50
                                        ; implicit-def: $vgpr55
                                        ; implicit-def: $vgpr53
                                        ; implicit-def: $agpr89
                                        ; implicit-def: $agpr88
                                        ; implicit-def: $vgpr59
                                        ; implicit-def: $vgpr79
                                        ; implicit-def: $vgpr51
                                        ; implicit-def: $vgpr74
                                        ; implicit-def: $agpr25
                                        ; implicit-def: $vgpr54
                                        ; implicit-def: $agpr61
                                        ; implicit-def: $agpr60
                                        ; implicit-def: $vgpr119
                                        ; implicit-def: $vgpr111
                                        ; implicit-def: $vgpr75
                                        ; implicit-def: $vgpr106
                                        ; implicit-def: $agpr93
                                        ; implicit-def: $agpr24
                                        ; implicit-def: $agpr73
                                        ; implicit-def: $agpr68
                                        ; implicit-def: $vgpr143
                                        ; implicit-def: $vgpr135
                                        ; implicit-def: $vgpr107
                                        ; implicit-def: $vgpr130
                                        ; implicit-def: $agpr95
                                        ; implicit-def: $agpr53
                                        ; implicit-def: $agpr72
                                        ; implicit-def: $agpr67
                                        ; implicit-def: $vgpr163
                                        ; implicit-def: $vgpr155
                                        ; implicit-def: $vgpr131
                                        ; implicit-def: $vgpr150
                                        ; implicit-def: $agpr97
                                        ; implicit-def: $agpr94
                                        ; implicit-def: $agpr71
                                        ; implicit-def: $agpr66
                                        ; implicit-def: $vgpr179
                                        ; implicit-def: $vgpr171
                                        ; implicit-def: $vgpr151
                                        ; implicit-def: $vgpr122
                                        ; implicit-def: $agpr99
                                        ; implicit-def: $agpr96
                                        ; implicit-def: $agpr70
                                        ; implicit-def: $agpr65
                                        ; implicit-def: $vgpr33
                                        ; implicit-def: $vgpr253
                                        ; implicit-def: $vgpr146
                                        ; implicit-def: $vgpr126
                                        ; implicit-def: $agpr100
                                        ; implicit-def: $agpr98
                                        ; implicit-def: $agpr69
                                        ; implicit-def: $agpr64
                                        ; implicit-def: $vgpr63
                                        ; implicit-def: $vgpr82
                                        ; implicit-def: $agpr114
                                        ; implicit-def: $agpr107
                                        ; implicit-def: $agpr91
                                        ; implicit-def: $agpr90
                                        ; implicit-def: $vgpr83
                                        ; implicit-def: $vgpr114
                                        ; implicit-def: $agpr113
                                        ; implicit-def: $agpr106
                                        ; implicit-def: $agpr63
                                        ; implicit-def: $agpr62
                                        ; implicit-def: $vgpr115
                                        ; implicit-def: $vgpr138
                                        ; implicit-def: $agpr112
                                        ; implicit-def: $agpr105
                                        ; implicit-def: $agpr83
                                        ; implicit-def: $agpr81
                                        ; implicit-def: $vgpr139
                                        ; implicit-def: $vgpr158
                                        ; implicit-def: $agpr111
                                        ; implicit-def: $agpr104
                                        ; implicit-def: $agpr82
                                        ; implicit-def: $agpr79
                                        ; implicit-def: $vgpr159
                                        ; implicit-def: $vgpr174
                                        ; implicit-def: $agpr110
                                        ; implicit-def: $agpr103
                                        ; implicit-def: $agpr80
                                        ; implicit-def: $agpr77
                                        ; implicit-def: $vgpr175
                                        ; implicit-def: $vgpr167
                                        ; implicit-def: $agpr109
                                        ; implicit-def: $agpr102
                                        ; implicit-def: $agpr78
                                        ; implicit-def: $agpr75
                                        ; implicit-def: $vgpr207
                                        ; implicit-def: $vgpr183
                                        ; implicit-def: $agpr108
                                        ; implicit-def: $agpr101
                                        ; implicit-def: $agpr76
                                        ; implicit-def: $agpr74
                                        ; implicit-def: $vgpr170
                                        ; implicit-def: $vgpr172
                                        ; implicit-def: $vgpr177
                                        ; implicit-def: $vgpr144
                                        ; implicit-def: $vgpr149
                                        ; implicit-def: $vgpr154
                                        ; implicit-def: $vgpr156
                                        ; implicit-def: $vgpr161
                                        ; implicit-def: $vgpr124
                                        ; implicit-def: $vgpr129
                                        ; implicit-def: $vgpr134
                                        ; implicit-def: $vgpr136
                                        ; implicit-def: $vgpr141
                                        ; implicit-def: $vgpr100
                                        ; implicit-def: $vgpr105
                                        ; implicit-def: $vgpr110
                                        ; implicit-def: $vgpr112
                                        ; implicit-def: $vgpr117
                                        ; implicit-def: $vgpr52
                                        ; implicit-def: $vgpr73
                                        ; implicit-def: $vgpr78
                                        ; implicit-def: $vgpr80
                                        ; implicit-def: $vgpr89
                                        ; implicit-def: $agpr50
                                        ; implicit-def: $vgpr49
                                        ; implicit-def: $vgpr58
                                        ; implicit-def: $vgpr60
                                        ; implicit-def: $vgpr65
                                        ; implicit-def: $agpr46
                                        ; implicit-def: $vgpr37
                                        ; implicit-def: $vgpr42
                                        ; implicit-def: $agpr38_agpr39_agpr40_agpr41
                                        ; implicit-def: $agpr42_agpr43_agpr44_agpr45
                                        ; implicit-def: $vgpr24_vgpr25_vgpr26_vgpr27
                                        ; implicit-def: $vgpr28_vgpr29_vgpr30_vgpr31
                                        ; implicit-def: $vgpr196
                                        ; implicit-def: $vgpr192
                                        ; implicit-def: $vgpr188
                                        ; implicit-def: $vgpr184
                                        ; implicit-def: $vgpr180
                                        ; implicit-def: $vgpr164
                                        ; implicit-def: $vgpr120
                                        ; implicit-def: $agpr57
                                        ; implicit-def: $vgpr87
                                        ; implicit-def: $vgpr95
                                        ; implicit-def: $vgpr99
	s_branch .LBB40_4
.LBB40_2:                               ;   in Loop: Header=BB40_4 Depth=1
	s_or_b64 exec, exec, s[16:17]
	v_add_u32_e32 v230, s7, v230
	v_lshl_add_u64 v[16:17], v[230:231], 1, s[12:13]
	global_store_short_d16_hi v[16:17], v213, off
.LBB40_3:                               ;   in Loop: Header=BB40_4 Depth=1
	s_or_b64 exec, exec, s[4:5]
	v_accvgpr_read_b32 v8, a3
	v_perm_b32 v8, v252, v8, s26
	v_accvgpr_write_b32 a3, v8
	v_accvgpr_read_b32 v8, a7
	v_perm_b32 v8, v232, v8, s26
	v_accvgpr_write_b32 a7, v8
	;; [unrolled: 3-line block ×6, first 2 shown]
	v_accvgpr_read_b32 v8, a28
	v_perm_b32 v8, v3, v8, s26
	v_accvgpr_read_b32 v3, a30
	v_perm_b32 v3, v2, v3, s26
	v_accvgpr_read_b32 v2, a127
	v_perm_b32 v125, v2, v125, s26
	v_accvgpr_read_b32 v2, a126
	v_accvgpr_write_b32 a30, v3
	v_perm_b32 v103, v2, v103, s26
	v_accvgpr_read_b32 v2, a32
	v_accvgpr_read_b32 v3, a125
	v_perm_b32 v2, v3, v2, s26
	v_accvgpr_write_b32 a32, v2
	v_accvgpr_read_b32 v2, a34
	v_accvgpr_read_b32 v3, a124
	v_perm_b32 v2, v3, v2, s26
	v_accvgpr_write_b32 a34, v2
	v_accvgpr_read_b32 v2, a123
	v_perm_b32 v101, v2, v101, s26
	v_accvgpr_read_b32 v2, a122
	v_perm_b32 v71, v2, v71, s26
	v_accvgpr_read_b32 v2, a2
	v_accvgpr_read_b32 v3, a121
	v_perm_b32 v2, v3, v2, s26
	v_accvgpr_write_b32 a2, v2
	v_accvgpr_read_b32 v2, a36
	v_accvgpr_read_b32 v3, a120
	v_perm_b32 v2, v3, v2, s26
	v_accvgpr_write_b32 a36, v2
	v_accvgpr_read_b32 v2, a119
	v_perm_b32 v69, v2, v69, s26
	v_accvgpr_read_b32 v2, a85
	v_accvgpr_read_b32 v16, a58
	v_perm_b32 v2, v21, v2, s26
	v_add_u32_e32 v16, s24, v16
	v_accvgpr_write_b32 a85, v2
	v_accvgpr_read_b32 v2, a87
	v_perm_b32 v2, v20, v2, s26
	v_cmp_le_u32_e32 vcc, s7, v16
	v_perm_b32 v203, v91, v203, s26
	v_perm_b32 v199, v67, v199, s26
	;; [unrolled: 1-line block ×6, first 2 shown]
	v_accvgpr_write_b32 a28, v8
	v_perm_b32 v47, v22, v47, s26
	v_accvgpr_write_b32 a87, v2
	v_perm_b32 v45, v19, v45, s26
	v_perm_b32 v70, v18, v70, s26
	v_accvgpr_write_b32 a58, v16
	s_or_b64 s[14:15], vcc, s[14:15]
	v_add_u32_e32 v212, s25, v212
	s_andn2_b64 exec, exec, s[14:15]
	s_cbranch_execz .LBB40_86
.LBB40_4:                               ; =>This Loop Header: Depth=1
                                        ;     Child Loop BB40_10 Depth 2
	s_and_b64 vcc, exec, s[2:3]
	s_mov_b32 s30, 0
	s_cbranch_vccnz .LBB40_24
; %bb.5:                                ;   in Loop: Header=BB40_4 Depth=1
	v_mov_b32_e32 v213, 0
	v_mov_b32_e32 v236, 0
	;; [unrolled: 1-line block ×15, first 2 shown]
	s_branch .LBB40_10
.LBB40_6:                               ;   in Loop: Header=BB40_10 Depth=2
	s_or_b64 exec, exec, s[20:21]
.LBB40_7:                               ;   in Loop: Header=BB40_10 Depth=2
	s_or_b64 exec, exec, s[18:19]
.LBB40_8:                               ;   in Loop: Header=BB40_10 Depth=2
	s_or_b64 exec, exec, s[16:17]
.LBB40_9:                               ;   in Loop: Header=BB40_10 Depth=2
	s_or_b64 exec, exec, s[4:5]
	s_addk_i32 s30, 0x800
	s_cmp_ge_u32 s30, s6
	s_cbranch_scc1 .LBB40_23
.LBB40_10:                              ;   Parent Loop BB40_4 Depth=1
                                        ; =>  This Inner Loop Header: Depth=2
	v_add_u32_e32 v232, s30, v32
	v_cmp_gt_u32_e32 vcc, s6, v232
	v_add_u32_e32 v252, 0x200, v232
	s_and_saveexec_b64 s[16:17], vcc
	s_cbranch_execz .LBB40_18
; %bb.11:                               ;   in Loop: Header=BB40_10 Depth=2
	v_add_u32_e32 v230, s30, v212
	s_waitcnt lgkmcnt(0)
	v_lshl_add_u64 v[2:3], v[230:231], 1, s[8:9]
	v_mov_b32_e32 v233, v231
	v_accvgpr_read_b32 v4, a37
	global_load_dwordx4 v[28:31], v[2:3], off nt
	v_lshl_add_u64 v[2:3], v[232:233], 1, s[10:11]
	v_add_u32_e32 v200, s30, v4
	v_mov_b32_e32 v201, v231
	v_lshl_add_u64 v[4:5], v[200:201], 1, s[10:11]
	global_load_dwordx4 v[96:99], v[2:3], off
	global_load_dwordx4 v[40:43], v[4:5], off
	v_accvgpr_read_b32 v2, a59
	v_add_u32_e32 v204, s30, v2
	v_mov_b32_e32 v205, v231
	v_add_u32_e32 v220, s30, v44
	v_mov_b32_e32 v221, v231
	v_lshl_add_u64 v[2:3], v[204:205], 1, s[10:11]
	v_lshl_add_u64 v[4:5], v[220:221], 1, s[10:11]
	global_load_dwordx4 v[64:67], v[2:3], off
	global_load_dwordx4 v[56:59], v[4:5], off
	v_accvgpr_read_b32 v4, a4
	v_add_u32_e32 v208, s30, v68
	v_mov_b32_e32 v209, v231
	v_add_u32_e32 v250, s30, v4
	v_mov_b32_e32 v251, v231
	v_lshl_add_u64 v[2:3], v[208:209], 1, s[10:11]
	v_lshl_add_u64 v[4:5], v[250:251], 1, s[10:11]
	global_load_dwordx4 v[88:91], v[2:3], off
	global_load_dwordx4 v[76:79], v[4:5], off
	v_accvgpr_read_b32 v2, a6
	v_accvgpr_read_b32 v4, a8
	v_add_u32_e32 v218, s30, v2
	v_mov_b32_e32 v219, v231
	v_add_u32_e32 v216, s30, v4
	v_mov_b32_e32 v217, v231
	v_lshl_add_u64 v[2:3], v[218:219], 1, s[10:11]
	v_lshl_add_u64 v[4:5], v[216:217], 1, s[10:11]
	global_load_dwordx4 v[116:119], v[2:3], off
	global_load_dwordx4 v[108:111], v[4:5], off
	v_add_u32_e32 v224, s30, v23
	v_mov_b32_e32 v225, v231
	v_accvgpr_read_b32 v4, a10
	v_lshl_add_u64 v[2:3], v[224:225], 1, s[10:11]
	v_add_u32_e32 v222, s30, v4
	v_mov_b32_e32 v223, v231
	v_lshl_add_u64 v[4:5], v[222:223], 1, s[10:11]
	global_load_dwordx4 v[140:143], v[2:3], off
	global_load_dwordx4 v[132:135], v[4:5], off
	v_accvgpr_read_b32 v2, a12
	v_add_u32_e32 v228, s30, v2
	v_mov_b32_e32 v229, v231
	v_accvgpr_read_b32 v4, a14
	v_lshl_add_u64 v[2:3], v[228:229], 1, s[10:11]
	v_add_u32_e32 v226, s30, v4
	v_mov_b32_e32 v227, v231
	v_lshl_add_u64 v[4:5], v[226:227], 1, s[10:11]
	global_load_dwordx4 v[160:163], v[2:3], off
	global_load_dwordx4 v[152:155], v[4:5], off
	v_accvgpr_read_b32 v2, a16
	;; [unrolled: 10-line block ×3, first 2 shown]
	v_add_u32_e32 v254, s30, v2
	v_mov_b32_e32 v255, v231
	v_lshl_add_u64 v[2:3], v[254:255], 1, s[10:11]
	global_load_dwordx4 v[4:7], v[2:3], off
	v_cmp_gt_u32_e64 s[4:5], s6, v252
	s_and_saveexec_b64 s[18:19], s[4:5]
	s_cbranch_execz .LBB40_17
; %bb.12:                               ;   in Loop: Header=BB40_10 Depth=2
	v_add_u32_e32 v0, 0x200, v230
	v_mov_b32_e32 v1, v231
	v_lshl_add_u64 v[0:1], v[0:1], 1, s[8:9]
	v_mov_b32_e32 v253, v231
	global_load_dwordx4 v[24:27], v[0:1], off nt
	v_lshl_add_u64 v[0:1], v[252:253], 1, s[10:11]
	v_add_u32_e32 v2, 0x200, v200
	v_mov_b32_e32 v3, v231
	v_lshl_add_u64 v[2:3], v[2:3], 1, s[10:11]
	global_load_dwordx4 v[92:95], v[0:1], off
	global_load_dwordx4 v[36:39], v[2:3], off
	v_add_u32_e32 v0, 0x200, v204
	v_mov_b32_e32 v1, v231
	v_lshl_add_u64 v[0:1], v[0:1], 1, s[10:11]
	v_add_u32_e32 v2, 0x200, v220
	v_mov_b32_e32 v3, v231
	v_lshl_add_u64 v[2:3], v[2:3], 1, s[10:11]
	global_load_dwordx4 v[60:63], v[0:1], off
	global_load_dwordx4 v[48:51], v[2:3], off
	v_add_u32_e32 v0, 0x200, v208
	v_mov_b32_e32 v1, v231
	;; [unrolled: 8-line block ×7, first 2 shown]
	v_lshl_add_u64 v[0:1], v[0:1], 1, s[10:11]
	global_load_dwordx4 v[0:3], v[0:1], off
	v_add_u32_e32 v10, 0x400, v232
	v_cmp_gt_u32_e64 s[4:5], s6, v10
	s_and_saveexec_b64 s[20:21], s[4:5]
	s_cbranch_execz .LBB40_16
; %bb.13:                               ;   in Loop: Header=BB40_10 Depth=2
	v_add_u32_e32 v8, 0x400, v230
	v_mov_b32_e32 v9, v231
	v_lshl_add_u64 v[8:9], v[8:9], 1, s[8:9]
	v_mov_b32_e32 v11, v231
	global_load_dwordx4 a[42:45], v[8:9], off nt
	v_lshl_add_u64 v[8:9], v[10:11], 1, s[10:11]
	v_add_u32_e32 v10, 0x400, v200
	v_lshl_add_u64 v[10:11], v[10:11], 1, s[10:11]
	global_load_dwordx4 v[84:87], v[8:9], off
	global_load_dwordx4 a[46:49], v[10:11], off
	v_add_u32_e32 v8, 0x400, v204
	v_mov_b32_e32 v9, v231
	v_lshl_add_u64 v[8:9], v[8:9], 1, s[10:11]
	v_add_u32_e32 v10, 0x400, v220
	v_mov_b32_e32 v11, v231
	v_lshl_add_u64 v[10:11], v[10:11], 1, s[10:11]
	global_load_dwordx4 v[120:123], v[8:9], off
	global_load_dwordx4 a[50:53], v[10:11], off
	v_add_u32_e32 v8, 0x400, v208
	v_mov_b32_e32 v9, v231
	v_lshl_add_u64 v[8:9], v[8:9], 1, s[10:11]
	v_add_u32_e32 v10, 0x400, v250
	v_mov_b32_e32 v11, v231
	;; [unrolled: 8-line block ×6, first 2 shown]
	v_lshl_add_u64 v[10:11], v[10:11], 1, s[10:11]
	global_load_dwordx4 v[192:195], v[8:9], off
	global_load_dwordx4 a[22:25], v[10:11], off
	v_add_u32_e32 v8, 0x400, v254
	v_mov_b32_e32 v9, v231
	v_lshl_add_u64 v[8:9], v[8:9], 1, s[10:11]
	global_load_dwordx4 v[196:199], v[8:9], off
	v_add_u32_e32 v202, 0x600, v232
	v_cmp_gt_u32_e64 s[4:5], s6, v202
	s_and_saveexec_b64 s[22:23], s[4:5]
	s_cbranch_execz .LBB40_15
; %bb.14:                               ;   in Loop: Header=BB40_10 Depth=2
	v_add_u32_e32 v230, 0x600, v230
	v_lshl_add_u64 v[8:9], v[230:231], 1, s[8:9]
	v_mov_b32_e32 v203, v231
	global_load_dwordx4 a[38:41], v[8:9], off nt
	v_lshl_add_u64 v[8:9], v[202:203], 1, s[10:11]
	v_add_u32_e32 v230, 0x600, v200
	global_load_dwordx4 a[54:57], v[8:9], off
	v_lshl_add_u64 v[8:9], v[230:231], 1, s[10:11]
	v_add_u32_e32 v230, 0x600, v204
	global_load_dwordx4 v[200:203], v[8:9], off
	;; [unrolled: 3-line block ×5, first 2 shown]
	v_lshl_add_u64 v[8:9], v[230:231], 1, s[10:11]
	s_waitcnt vmcnt(15)
	v_accvgpr_write_b32 a63, v55
	v_add_u32_e32 v230, 0x600, v218
	v_accvgpr_write_b32 a62, v54
	v_accvgpr_write_b32 a61, v53
	;; [unrolled: 1-line block ×3, first 2 shown]
	global_load_dwordx4 v[52:55], v[8:9], off
	v_lshl_add_u64 v[8:9], v[230:231], 1, s[10:11]
	v_add_u32_e32 v230, 0x600, v216
	global_load_dwordx4 v[218:221], v[8:9], off
	v_lshl_add_u64 v[8:9], v[230:231], 1, s[10:11]
	v_add_u32_e32 v230, 0x600, v224
	v_lshl_add_u64 v[20:21], v[230:231], 1, s[10:11]
	v_add_u32_e32 v230, 0x600, v222
	v_accvgpr_write_b32 a0, v32
	v_lshl_add_u64 v[32:33], v[230:231], 1, s[10:11]
	v_add_u32_e32 v230, 0x600, v228
	global_load_dwordx4 v[222:225], v[32:33], off
	v_lshl_add_u64 v[32:33], v[230:231], 1, s[10:11]
	v_add_u32_e32 v230, 0x600, v226
	v_accvgpr_write_b32 a2, v44
	v_lshl_add_u64 v[44:45], v[230:231], 1, s[10:11]
	v_add_u32_e32 v230, 0x600, v214
	global_load_dwordx4 v[32:35], v[32:33], off
	v_mov_b32_e32 v235, v68
	global_load_dwordx4 v[226:229], v[44:45], off
	v_lshl_add_u64 v[44:45], v[230:231], 1, s[10:11]
	v_add_u32_e32 v230, 0x600, v234
	global_load_dwordx4 v[214:217], v[44:45], off
	v_lshl_add_u64 v[44:45], v[230:231], 1, s[10:11]
	v_add_u32_e32 v230, 0x600, v254
	v_lshl_add_u64 v[68:69], v[230:231], 1, s[10:11]
	global_load_dwordx4 v[44:47], v[44:45], off
	v_mov_b32_e32 v251, v23
	global_load_dwordx4 v[68:71], v[68:69], off
	v_accvgpr_read_b32 v233, a59
	global_load_dwordx4 v[8:11], v[8:9], off
	s_waitcnt vmcnt(1)
	v_perm_b32 v230, v47, v71, s26
	global_load_dwordx4 v[20:23], v[20:21], off
	v_accvgpr_write_b32 a1, v230
	v_perm_b32 v230, v46, v70, s26
	v_accvgpr_write_b32 a3, v230
	v_perm_b32 v230, v45, v69, s26
	;; [unrolled: 2-line block ×3, first 2 shown]
	v_perm_b32 v44, v44, v68, s27
	v_accvgpr_write_b32 a69, v44
	v_perm_b32 v44, v229, v217, s26
	v_accvgpr_write_b32 a9, v44
	;; [unrolled: 2-line block ×12, first 2 shown]
	v_perm_b32 v44, v222, v32, s26
	v_perm_b32 v32, v222, v32, s27
	v_accvgpr_write_b32 a71, v32
	v_accvgpr_write_b32 a66, v44
	v_accvgpr_read_b32 v44, a2
	v_perm_b32 v47, v47, v71, s27
	v_perm_b32 v46, v46, v70, s27
	;; [unrolled: 1-line block ×6, first 2 shown]
	v_accvgpr_write_b32 a64, v230
	v_accvgpr_write_b32 a5, v47
	;; [unrolled: 1-line block ×7, first 2 shown]
	v_mov_b32_e32 v68, v235
	s_waitcnt vmcnt(0)
	v_perm_b32 v32, v11, v23, s26
	v_accvgpr_write_b32 a27, v32
	v_perm_b32 v32, v10, v22, s26
	v_accvgpr_write_b32 a28, v32
	;; [unrolled: 2-line block ×3, first 2 shown]
	v_perm_b32 v32, v8, v20, s26
	v_perm_b32 v8, v8, v20, s27
	v_accvgpr_write_b32 a72, v8
	v_perm_b32 v8, v55, v221, s26
	v_accvgpr_write_b32 a31, v8
	;; [unrolled: 2-line block ×10, first 2 shown]
	v_accvgpr_read_b32 v32, a0
	v_accvgpr_write_b32 a0, v8
	v_perm_b32 v8, v18, v210, s26
	v_accvgpr_read_b32 v52, a60
	v_accvgpr_write_b32 a2, v8
	v_perm_b32 v8, v17, v209, s26
	v_accvgpr_read_b32 v53, a61
	v_accvgpr_read_b32 v54, a62
	;; [unrolled: 1-line block ×3, first 2 shown]
	v_accvgpr_write_b32 a62, v8
	v_perm_b32 v8, v16, v208, s26
	v_accvgpr_write_b32 a60, v8
	v_perm_b32 v8, v19, v211, s27
	;; [unrolled: 2-line block ×12, first 2 shown]
	v_perm_b32 v11, v11, v23, s27
	v_perm_b32 v10, v10, v22, s27
	;; [unrolled: 1-line block ×3, first 2 shown]
	v_accvgpr_write_b32 a91, v8
	v_perm_b32 v8, v200, v204, s27
	v_accvgpr_write_b32 a29, v11
	v_accvgpr_write_b32 a30, v10
	;; [unrolled: 1-line block ×3, first 2 shown]
	v_mov_b32_e32 v23, v251
	v_accvgpr_write_b32 a89, v8
.LBB40_15:                              ;   in Loop: Header=BB40_10 Depth=2
	s_or_b64 exec, exec, s[22:23]
	s_waitcnt vmcnt(13)
	v_accvgpr_read_b32 v16, a46
	s_waitcnt vmcnt(11)
	v_accvgpr_read_b32 v207, a53
	v_lshrrev_b32_e32 v8, 16, v16
	v_accvgpr_read_b32 v204, a50
	v_accvgpr_write_b32 a92, v8
	v_lshrrev_b32_e32 v8, 16, v204
	v_accvgpr_read_b32 v206, a52
	v_accvgpr_read_b32 v205, a51
	v_accvgpr_write_b32 a52, v8
	s_waitcnt vmcnt(9)
	v_lshrrev_b32_e32 v8, 16, v52
	v_accvgpr_write_b32 a51, v8
	s_waitcnt vmcnt(7)
	v_lshrrev_b32_e32 v8, 16, v100
	v_accvgpr_read_b32 v17, a47
	v_accvgpr_read_b32 v18, a48
	;; [unrolled: 1-line block ×3, first 2 shown]
	v_accvgpr_write_b32 a49, v8
	s_waitcnt vmcnt(5)
	v_lshrrev_b32_e32 v8, 16, v124
	v_accvgpr_write_b32 a48, v8
	s_waitcnt vmcnt(3)
	v_lshrrev_b32_e32 v8, 16, v144
	v_accvgpr_write_b32 a47, v8
	s_waitcnt vmcnt(1)
	v_accvgpr_read_b32 v8, a22
	v_accvgpr_read_b32 v10, a24
	v_lshrrev_b32_e32 v8, 16, v8
	v_accvgpr_read_b32 v9, a23
	v_accvgpr_read_b32 v11, a25
	v_accvgpr_write_b32 a23, v8
	s_waitcnt vmcnt(0)
	v_perm_b32 v8, v10, v198, s26
	v_accvgpr_write_b32 a101, v8
	v_perm_b32 v8, v9, v197, s26
	v_accvgpr_write_b32 a98, v8
	;; [unrolled: 2-line block ×24, first 2 shown]
	v_perm_b32 v8, v18, v122, s27
	v_perm_b32 v203, v11, v199, s26
	;; [unrolled: 1-line block ×17, first 2 shown]
	v_accvgpr_write_b32 a114, v8
	v_perm_b32 v55, v17, v121, s27
.LBB40_16:                              ;   in Loop: Header=BB40_10 Depth=2
	s_or_b64 exec, exec, s[20:21]
	s_waitcnt vmcnt(2)
	v_lshrrev_b32_e32 v8, 16, v172
	v_accvgpr_write_b32 a118, v8
	s_waitcnt vmcnt(1)
	v_lshrrev_b32_e32 v8, 16, v12
	v_accvgpr_write_b32 a117, v8
	v_lshrrev_b32_e32 v8, 16, v13
	v_accvgpr_write_b32 a116, v8
	s_waitcnt vmcnt(0)
	v_lshrrev_b32_e32 v8, 16, v0
	v_lshrrev_b32_e32 v102, 16, v36
	;; [unrolled: 1-line block ×18, first 2 shown]
	v_accvgpr_write_b32 a115, v8
	v_perm_b32 v183, v15, v3, s26
	v_perm_b32 v126, v14, v2, s26
	;; [unrolled: 1-line block ×28, first 2 shown]
.LBB40_17:                              ;   in Loop: Header=BB40_10 Depth=2
	s_or_b64 exec, exec, s[18:19]
	s_waitcnt vmcnt(13)
	v_lshrrev_b32_e32 v123, 16, v40
	v_lshrrev_b32_e32 v121, 16, v41
	v_lshrrev_b32_e32 v206, 16, v42
	s_waitcnt vmcnt(12)
	v_lshrrev_b32_e32 v211, 16, v64
	v_lshrrev_b32_e32 v210, 16, v65
	s_waitcnt vmcnt(11)
	v_lshrrev_b32_e32 v255, 16, v56
	v_lshrrev_b32_e32 v254, 16, v57
	v_lshrrev_b32_e32 v251, 16, v58
	s_waitcnt vmcnt(10)
	v_lshrrev_b32_e32 v250, 16, v88
	v_lshrrev_b32_e32 v235, 16, v89
	;; [unrolled: 7-line block ×7, first 2 shown]
	v_perm_b32 v253, v171, v7, s26
	v_perm_b32 v33, v171, v7, s27
	v_perm_b32 v171, v155, v179, s26
	v_perm_b32 v179, v155, v179, s27
	v_perm_b32 v155, v135, v163, s26
	v_perm_b32 v163, v135, v163, s27
	v_perm_b32 v135, v111, v143, s26
	v_perm_b32 v143, v111, v143, s27
	v_perm_b32 v111, v79, v119, s26
	v_perm_b32 v119, v79, v119, s27
	v_perm_b32 v79, v59, v91, s26
	v_perm_b32 v59, v59, v91, s27
	v_perm_b32 v7, v43, v67, s26
	v_perm_b32 v43, v43, v67, s27
.LBB40_18:                              ;   in Loop: Header=BB40_10 Depth=2
	s_or_b64 exec, exec, s[16:17]
	s_and_saveexec_b64 s[4:5], vcc
	s_cbranch_execz .LBB40_9
; %bb.19:                               ;   in Loop: Header=BB40_10 Depth=2
	v_and_b32_e32 v3, 0xffff0000, v28
	v_lshlrev_b32_e32 v2, 16, v28
	v_and_b32_e32 v11, 0xffff0000, v96
	v_lshlrev_b32_e32 v10, 16, v96
	v_pk_mul_f32 v[10:11], v[10:11], v[2:3]
	v_and_b32_e32 v15, 0xffff0000, v97
	v_lshlrev_b32_e32 v14, 16, v97
	v_and_b32_e32 v35, 0xffff0000, v29
	v_lshlrev_b32_e32 v34, 16, v29
	v_pk_fma_f32 v[10:11], v[14:15], v[34:35], v[10:11]
	v_and_b32_e32 v17, 0xffff0000, v98
	v_lshlrev_b32_e32 v16, 16, v98
	v_and_b32_e32 v15, 0xffff0000, v30
	v_lshlrev_b32_e32 v14, 16, v30
	v_pk_fma_f32 v[16:17], v[16:17], v[14:15], v[10:11]
	;; [unrolled: 5-line block ×3, first 2 shown]
	v_lshlrev_b32_e32 v19, 16, v123
	v_add_f32_e32 v8, v16, v17
	v_lshlrev_b32_e32 v17, 16, v40
	v_lshlrev_b32_e32 v16, 16, v64
	v_lshlrev_b32_e32 v18, 16, v211
	v_pk_mul_f32 v[16:17], v[2:3], v[16:17] op_sel_hi:[0,1]
	v_mov_b32_e32 v38, v3
	v_lshlrev_b32_e32 v21, 16, v41
	v_lshlrev_b32_e32 v20, 16, v65
	v_pk_mul_f32 v[18:19], v[38:39], v[18:19] op_sel_hi:[0,1]
	v_pk_fma_f32 v[16:17], v[20:21], v[34:35], v[16:17] op_sel_hi:[1,0,1]
	v_lshlrev_b32_e32 v21, 16, v121
	v_lshlrev_b32_e32 v20, 16, v210
	v_mov_b32_e32 v46, v35
	v_pk_fma_f32 v[18:19], v[20:21], v[46:47], v[18:19] op_sel_hi:[1,0,1]
	v_lshlrev_b32_e32 v21, 16, v42
	v_lshlrev_b32_e32 v20, 16, v66
	v_add_f32_e32 v213, v8, v213
	v_pk_fma_f32 v[16:17], v[20:21], v[14:15], v[16:17] op_sel_hi:[1,0,1]
	v_and_b32_e32 v20, 0xffff0000, v66
	v_lshlrev_b32_e32 v21, 16, v206
	v_mov_b32_e32 v8, v15
	v_pk_fma_f32 v[18:19], v[20:21], v[8:9], v[18:19] op_sel_hi:[1,0,1]
	v_and_b32_e32 v21, 0xffff0000, v7
	v_lshlrev_b32_e32 v20, 16, v7
	v_pk_fma_f32 v[16:17], v[20:21], v[10:11], v[16:17] op_sel_hi:[1,0,1]
	v_and_b32_e32 v21, 0xffff0000, v43
	v_lshlrev_b32_e32 v20, 16, v43
	v_mov_b32_e32 v22, v11
	v_pk_fma_f32 v[18:19], v[20:21], v[22:23], v[18:19] op_sel_hi:[1,0,1]
	v_lshlrev_b32_e32 v21, 16, v57
	v_pk_add_f32 v[16:17], v[16:17], v[18:19]
	v_lshlrev_b32_e32 v19, 16, v255
	v_pk_add_f32 v[248:249], v[16:17], v[248:249]
	v_lshlrev_b32_e32 v17, 16, v56
	v_lshlrev_b32_e32 v16, 16, v88
	v_lshlrev_b32_e32 v18, 16, v250
	v_pk_mul_f32 v[16:17], v[2:3], v[16:17] op_sel_hi:[0,1]
	v_lshlrev_b32_e32 v20, 16, v89
	v_pk_mul_f32 v[18:19], v[38:39], v[18:19] op_sel_hi:[0,1]
	v_pk_fma_f32 v[16:17], v[20:21], v[34:35], v[16:17] op_sel_hi:[1,0,1]
	v_lshlrev_b32_e32 v21, 16, v254
	v_lshlrev_b32_e32 v20, 16, v235
	v_pk_fma_f32 v[18:19], v[20:21], v[46:47], v[18:19] op_sel_hi:[1,0,1]
	v_lshlrev_b32_e32 v21, 16, v58
	v_lshlrev_b32_e32 v20, 16, v90
	v_pk_fma_f32 v[16:17], v[20:21], v[14:15], v[16:17] op_sel_hi:[1,0,1]
	v_and_b32_e32 v20, 0xffff0000, v90
	v_lshlrev_b32_e32 v21, 16, v251
	v_pk_fma_f32 v[18:19], v[20:21], v[8:9], v[18:19] op_sel_hi:[1,0,1]
	v_and_b32_e32 v21, 0xffff0000, v79
	v_lshlrev_b32_e32 v20, 16, v79
	v_pk_fma_f32 v[16:17], v[20:21], v[10:11], v[16:17] op_sel_hi:[1,0,1]
	v_and_b32_e32 v21, 0xffff0000, v59
	v_lshlrev_b32_e32 v20, 16, v59
	v_pk_fma_f32 v[18:19], v[20:21], v[22:23], v[18:19] op_sel_hi:[1,0,1]
	v_lshlrev_b32_e32 v21, 16, v77
	v_pk_add_f32 v[16:17], v[16:17], v[18:19]
	v_lshlrev_b32_e32 v19, 16, v234
	v_pk_add_f32 v[246:247], v[16:17], v[246:247]
	v_lshlrev_b32_e32 v17, 16, v76
	v_lshlrev_b32_e32 v16, 16, v116
	v_lshlrev_b32_e32 v18, 16, v228
	v_pk_mul_f32 v[16:17], v[2:3], v[16:17] op_sel_hi:[0,1]
	v_lshlrev_b32_e32 v20, 16, v117
	v_pk_mul_f32 v[18:19], v[38:39], v[18:19] op_sel_hi:[0,1]
	v_pk_fma_f32 v[16:17], v[20:21], v[34:35], v[16:17] op_sel_hi:[1,0,1]
	v_lshlrev_b32_e32 v21, 16, v233
	v_lshlrev_b32_e32 v20, 16, v227
	v_pk_fma_f32 v[18:19], v[20:21], v[46:47], v[18:19] op_sel_hi:[1,0,1]
	v_lshlrev_b32_e32 v21, 16, v78
	v_lshlrev_b32_e32 v20, 16, v118
	v_pk_fma_f32 v[16:17], v[20:21], v[14:15], v[16:17] op_sel_hi:[1,0,1]
	v_and_b32_e32 v20, 0xffff0000, v118
	v_lshlrev_b32_e32 v21, 16, v229
	v_pk_fma_f32 v[18:19], v[20:21], v[8:9], v[18:19] op_sel_hi:[1,0,1]
	v_and_b32_e32 v21, 0xffff0000, v111
	v_lshlrev_b32_e32 v20, 16, v111
	v_pk_fma_f32 v[16:17], v[20:21], v[10:11], v[16:17] op_sel_hi:[1,0,1]
	v_and_b32_e32 v21, 0xffff0000, v119
	v_lshlrev_b32_e32 v20, 16, v119
	;; [unrolled: 26-line block ×5, first 2 shown]
	v_pk_fma_f32 v[18:19], v[20:21], v[22:23], v[18:19] op_sel_hi:[1,0,1]
	v_cmp_gt_u32_e32 vcc, s6, v252
	v_pk_add_f32 v[16:17], v[16:17], v[18:19]
	v_lshlrev_b32_e32 v19, 16, v205
	v_pk_add_f32 v[238:239], v[16:17], v[238:239]
	v_lshlrev_b32_e32 v17, 16, v168
	v_lshlrev_b32_e32 v16, 16, v4
	;; [unrolled: 1-line block ×3, first 2 shown]
	v_pk_mul_f32 v[2:3], v[2:3], v[16:17] op_sel_hi:[0,1]
	v_pk_mul_f32 v[16:17], v[38:39], v[18:19] op_sel_hi:[0,1]
	v_lshlrev_b32_e32 v19, 16, v169
	v_lshlrev_b32_e32 v18, 16, v5
	v_pk_fma_f32 v[2:3], v[18:19], v[34:35], v[2:3] op_sel_hi:[1,0,1]
	v_lshlrev_b32_e32 v19, 16, v204
	v_lshlrev_b32_e32 v18, 16, v62
	v_pk_fma_f32 v[16:17], v[18:19], v[46:47], v[16:17] op_sel_hi:[1,0,1]
	;; [unrolled: 3-line block ×3, first 2 shown]
	v_and_b32_e32 v14, 0xffff0000, v6
	v_lshlrev_b32_e32 v15, 16, v201
	v_pk_fma_f32 v[14:15], v[14:15], v[8:9], v[16:17] op_sel_hi:[1,0,1]
	v_and_b32_e32 v17, 0xffff0000, v253
	v_lshlrev_b32_e32 v16, 16, v253
	v_pk_fma_f32 v[2:3], v[16:17], v[10:11], v[2:3] op_sel_hi:[1,0,1]
	;; [unrolled: 3-line block ×3, first 2 shown]
	s_nop 0
	v_pk_add_f32 v[2:3], v[2:3], v[10:11]
	s_nop 0
	v_pk_add_f32 v[236:237], v[2:3], v[236:237]
	s_and_saveexec_b64 s[16:17], vcc
	s_cbranch_execz .LBB40_8
; %bb.20:                               ;   in Loop: Header=BB40_10 Depth=2
	v_and_b32_e32 v3, 0xffff0000, v24
	v_lshlrev_b32_e32 v2, 16, v24
	v_and_b32_e32 v11, 0xffff0000, v92
	v_lshlrev_b32_e32 v10, 16, v92
	v_pk_mul_f32 v[10:11], v[10:11], v[2:3]
	v_and_b32_e32 v15, 0xffff0000, v93
	v_lshlrev_b32_e32 v14, 16, v93
	v_and_b32_e32 v35, 0xffff0000, v25
	v_lshlrev_b32_e32 v34, 16, v25
	v_pk_fma_f32 v[10:11], v[14:15], v[34:35], v[10:11]
	v_and_b32_e32 v17, 0xffff0000, v94
	v_lshlrev_b32_e32 v16, 16, v94
	v_and_b32_e32 v15, 0xffff0000, v26
	v_lshlrev_b32_e32 v14, 16, v26
	v_pk_fma_f32 v[16:17], v[16:17], v[14:15], v[10:11]
	;; [unrolled: 5-line block ×3, first 2 shown]
	v_lshlrev_b32_e32 v19, 16, v102
	v_add_f32_e32 v8, v16, v17
	v_lshlrev_b32_e32 v17, 16, v36
	v_lshlrev_b32_e32 v16, 16, v60
	v_pk_mul_f32 v[16:17], v[2:3], v[16:17] op_sel_hi:[0,1]
	v_lshlrev_b32_e32 v18, 16, v197
	v_mov_b32_e32 v38, v3
	v_lshlrev_b32_e32 v21, 16, v37
	v_lshlrev_b32_e32 v20, 16, v61
	v_pk_mul_f32 v[18:19], v[38:39], v[18:19] op_sel_hi:[0,1]
	v_pk_fma_f32 v[16:17], v[20:21], v[34:35], v[16:17] op_sel_hi:[1,0,1]
	v_and_b32_e32 v20, 0xffff0000, v61
	v_lshlrev_b32_e32 v21, 16, v202
	v_mov_b32_e32 v46, v35
	v_pk_fma_f32 v[18:19], v[20:21], v[46:47], v[18:19] op_sel_hi:[1,0,1]
	v_and_b32_e32 v21, 0xffff0000, v50
	v_lshlrev_b32_e32 v20, 16, v50
	v_add_f32_e32 v213, v8, v213
	v_pk_fma_f32 v[16:17], v[20:21], v[14:15], v[16:17] op_sel_hi:[1,0,1]
	v_and_b32_e32 v21, 0xffff0000, v39
	v_lshlrev_b32_e32 v20, 16, v39
	v_mov_b32_e32 v8, v15
	v_pk_fma_f32 v[18:19], v[20:21], v[8:9], v[18:19] op_sel_hi:[1,0,1]
	v_and_b32_e32 v21, 0xffff0000, v82
	v_lshlrev_b32_e32 v20, 16, v82
	v_pk_fma_f32 v[16:17], v[20:21], v[10:11], v[16:17] op_sel_hi:[1,0,1]
	v_and_b32_e32 v21, 0xffff0000, v63
	v_lshlrev_b32_e32 v20, 16, v63
	v_mov_b32_e32 v22, v11
	v_pk_fma_f32 v[18:19], v[20:21], v[22:23], v[18:19] op_sel_hi:[1,0,1]
	v_lshlrev_b32_e32 v21, 16, v49
	v_pk_add_f32 v[16:17], v[16:17], v[18:19]
	v_lshlrev_b32_e32 v19, 16, v195
	v_pk_add_f32 v[248:249], v[16:17], v[248:249]
	v_lshlrev_b32_e32 v17, 16, v48
	v_lshlrev_b32_e32 v16, 16, v80
	v_pk_mul_f32 v[16:17], v[2:3], v[16:17] op_sel_hi:[0,1]
	v_lshlrev_b32_e32 v18, 16, v186
	v_lshlrev_b32_e32 v20, 16, v81
	v_pk_mul_f32 v[18:19], v[38:39], v[18:19] op_sel_hi:[0,1]
	v_pk_fma_f32 v[16:17], v[20:21], v[34:35], v[16:17] op_sel_hi:[1,0,1]
	v_and_b32_e32 v20, 0xffff0000, v81
	v_lshlrev_b32_e32 v21, 16, v191
	v_pk_fma_f32 v[18:19], v[20:21], v[46:47], v[18:19] op_sel_hi:[1,0,1]
	v_and_b32_e32 v21, 0xffff0000, v74
	v_lshlrev_b32_e32 v20, 16, v74
	v_pk_fma_f32 v[16:17], v[20:21], v[14:15], v[16:17] op_sel_hi:[1,0,1]
	v_and_b32_e32 v21, 0xffff0000, v51
	v_lshlrev_b32_e32 v20, 16, v51
	v_pk_fma_f32 v[18:19], v[20:21], v[8:9], v[18:19] op_sel_hi:[1,0,1]
	v_and_b32_e32 v21, 0xffff0000, v114
	v_lshlrev_b32_e32 v20, 16, v114
	v_pk_fma_f32 v[16:17], v[20:21], v[10:11], v[16:17] op_sel_hi:[1,0,1]
	v_and_b32_e32 v21, 0xffff0000, v83
	v_lshlrev_b32_e32 v20, 16, v83
	v_pk_fma_f32 v[18:19], v[20:21], v[22:23], v[18:19] op_sel_hi:[1,0,1]
	v_lshlrev_b32_e32 v21, 16, v73
	v_pk_add_f32 v[16:17], v[16:17], v[18:19]
	v_lshlrev_b32_e32 v19, 16, v182
	v_pk_add_f32 v[246:247], v[16:17], v[246:247]
	v_lshlrev_b32_e32 v17, 16, v72
	v_lshlrev_b32_e32 v16, 16, v112
	v_pk_mul_f32 v[16:17], v[2:3], v[16:17] op_sel_hi:[0,1]
	v_lshlrev_b32_e32 v18, 16, v198
	v_lshlrev_b32_e32 v20, 16, v113
	v_pk_mul_f32 v[18:19], v[38:39], v[18:19] op_sel_hi:[0,1]
	v_pk_fma_f32 v[16:17], v[20:21], v[34:35], v[16:17] op_sel_hi:[1,0,1]
	v_and_b32_e32 v20, 0xffff0000, v113
	v_lshlrev_b32_e32 v21, 16, v166
	v_pk_fma_f32 v[18:19], v[20:21], v[46:47], v[18:19] op_sel_hi:[1,0,1]
	v_and_b32_e32 v21, 0xffff0000, v106
	v_lshlrev_b32_e32 v20, 16, v106
	v_pk_fma_f32 v[16:17], v[20:21], v[14:15], v[16:17] op_sel_hi:[1,0,1]
	v_and_b32_e32 v21, 0xffff0000, v75
	v_lshlrev_b32_e32 v20, 16, v75
	v_pk_fma_f32 v[18:19], v[20:21], v[8:9], v[18:19] op_sel_hi:[1,0,1]
	v_and_b32_e32 v21, 0xffff0000, v138
	v_lshlrev_b32_e32 v20, 16, v138
	v_pk_fma_f32 v[16:17], v[20:21], v[10:11], v[16:17] op_sel_hi:[1,0,1]
	v_and_b32_e32 v21, 0xffff0000, v115
	v_lshlrev_b32_e32 v20, 16, v115
	;; [unrolled: 26-line block ×4, first 2 shown]
	v_pk_fma_f32 v[18:19], v[20:21], v[22:23], v[18:19] op_sel_hi:[1,0,1]
	v_lshlrev_b32_e32 v21, 16, v149
	v_pk_add_f32 v[16:17], v[16:17], v[18:19]
	v_lshlrev_b32_e32 v19, 16, v187
	v_pk_add_f32 v[240:241], v[16:17], v[240:241]
	v_lshlrev_b32_e32 v17, 16, v148
	v_lshlrev_b32_e32 v16, 16, v172
	v_pk_mul_f32 v[16:17], v[2:3], v[16:17] op_sel_hi:[0,1]
	v_accvgpr_read_b32 v3, a118
	v_lshlrev_b32_e32 v18, 16, v3
	v_lshlrev_b32_e32 v20, 16, v173
	v_pk_mul_f32 v[18:19], v[38:39], v[18:19] op_sel_hi:[0,1]
	v_pk_fma_f32 v[16:17], v[20:21], v[34:35], v[16:17] op_sel_hi:[1,0,1]
	v_and_b32_e32 v20, 0xffff0000, v173
	v_lshlrev_b32_e32 v21, 16, v165
	v_pk_fma_f32 v[18:19], v[20:21], v[46:47], v[18:19] op_sel_hi:[1,0,1]
	v_and_b32_e32 v21, 0xffff0000, v122
	v_lshlrev_b32_e32 v20, 16, v122
	;; [unrolled: 3-line block ×5, first 2 shown]
	v_pk_fma_f32 v[18:19], v[20:21], v[22:23], v[18:19] op_sel_hi:[1,0,1]
	v_accvgpr_read_b32 v11, a117
	v_pk_add_f32 v[16:17], v[16:17], v[18:19]
	v_lshlrev_b32_e32 v19, 16, v13
	v_pk_add_f32 v[238:239], v[16:17], v[238:239]
	v_lshlrev_b32_e32 v17, 16, v12
	v_lshlrev_b32_e32 v16, 16, v0
	v_pk_mul_f32 v[2:3], v[2:3], v[16:17] op_sel_hi:[0,1]
	v_lshlrev_b32_e32 v17, 16, v11
	v_accvgpr_read_b32 v11, a115
	v_lshlrev_b32_e32 v16, 16, v11
	v_lshlrev_b32_e32 v18, 16, v1
	v_accvgpr_read_b32 v11, a116
	v_pk_mul_f32 v[16:17], v[38:39], v[16:17] op_sel_hi:[0,1]
	v_pk_fma_f32 v[2:3], v[18:19], v[34:35], v[2:3] op_sel_hi:[1,0,1]
	v_and_b32_e32 v18, 0xffff0000, v1
	v_lshlrev_b32_e32 v19, 16, v11
	v_pk_fma_f32 v[16:17], v[18:19], v[46:47], v[16:17] op_sel_hi:[1,0,1]
	v_and_b32_e32 v19, 0xffff0000, v126
	v_lshlrev_b32_e32 v18, 16, v126
	;; [unrolled: 3-line block ×5, first 2 shown]
	v_pk_fma_f32 v[10:11], v[10:11], v[22:23], v[14:15] op_sel_hi:[1,0,1]
	s_nop 0
	v_pk_add_f32 v[2:3], v[2:3], v[10:11]
	s_nop 0
	v_pk_add_f32 v[236:237], v[2:3], v[236:237]
	v_add_u32_e32 v2, 0x400, v232
	v_cmp_gt_u32_e32 vcc, s6, v2
	s_and_saveexec_b64 s[18:19], vcc
	s_cbranch_execz .LBB40_7
; %bb.21:                               ;   in Loop: Header=BB40_10 Depth=2
	v_accvgpr_read_b32 v18, a42
	v_accvgpr_read_b32 v19, a43
	v_and_b32_e32 v3, 0xffff0000, v18
	v_lshlrev_b32_e32 v2, 16, v18
	v_and_b32_e32 v11, 0xffff0000, v84
	v_lshlrev_b32_e32 v10, 16, v84
	v_accvgpr_read_b32 v20, a44
	v_pk_mul_f32 v[10:11], v[10:11], v[2:3]
	v_and_b32_e32 v15, 0xffff0000, v85
	v_lshlrev_b32_e32 v14, 16, v85
	v_and_b32_e32 v35, 0xffff0000, v19
	v_lshlrev_b32_e32 v34, 16, v19
	v_accvgpr_read_b32 v21, a45
	v_pk_fma_f32 v[10:11], v[14:15], v[34:35], v[10:11]
	v_and_b32_e32 v17, 0xffff0000, v86
	v_lshlrev_b32_e32 v16, 16, v86
	v_and_b32_e32 v15, 0xffff0000, v20
	v_lshlrev_b32_e32 v14, 16, v20
	v_pk_fma_f32 v[16:17], v[16:17], v[14:15], v[10:11]
	v_and_b32_e32 v19, 0xffff0000, v87
	v_lshlrev_b32_e32 v18, 16, v87
	v_and_b32_e32 v11, 0xffff0000, v21
	v_lshlrev_b32_e32 v10, 16, v21
	v_pk_fma_f32 v[16:17], v[18:19], v[10:11], v[16:17]
	v_and_b32_e32 v18, 0xffff0000, v120
	v_add_f32_e32 v8, v16, v17
	v_add_f32_e32 v213, v8, v213
	v_accvgpr_read_b32 v8, a46
	v_lshlrev_b32_e32 v17, 16, v8
	v_lshlrev_b32_e32 v16, 16, v120
	v_accvgpr_read_b32 v8, a92
	v_pk_mul_f32 v[16:17], v[2:3], v[16:17] op_sel_hi:[0,1]
	v_lshlrev_b32_e32 v19, 16, v8
	v_mov_b32_e32 v38, v3
	v_and_b32_e32 v21, 0xffff0000, v53
	v_lshlrev_b32_e32 v20, 16, v53
	v_pk_mul_f32 v[18:19], v[38:39], v[18:19] op_sel_hi:[0,1]
	v_pk_fma_f32 v[16:17], v[20:21], v[34:35], v[16:17] op_sel_hi:[1,0,1]
	v_and_b32_e32 v21, 0xffff0000, v55
	v_lshlrev_b32_e32 v20, 16, v55
	v_mov_b32_e32 v46, v35
	v_accvgpr_read_b32 v3, a107
	v_pk_fma_f32 v[18:19], v[20:21], v[46:47], v[18:19] op_sel_hi:[1,0,1]
	v_and_b32_e32 v21, 0xffff0000, v3
	v_lshlrev_b32_e32 v20, 16, v3
	v_accvgpr_read_b32 v3, a114
	v_pk_fma_f32 v[16:17], v[20:21], v[14:15], v[16:17] op_sel_hi:[1,0,1]
	v_and_b32_e32 v21, 0xffff0000, v3
	v_lshlrev_b32_e32 v20, 16, v3
	v_mov_b32_e32 v8, v15
	v_pk_fma_f32 v[18:19], v[20:21], v[8:9], v[18:19] op_sel_hi:[1,0,1]
	v_and_b32_e32 v21, 0xffff0000, v45
	v_lshlrev_b32_e32 v20, 16, v45
	v_pk_fma_f32 v[16:17], v[20:21], v[10:11], v[16:17] op_sel_hi:[1,0,1]
	v_and_b32_e32 v21, 0xffff0000, v70
	v_lshlrev_b32_e32 v20, 16, v70
	v_mov_b32_e32 v22, v11
	v_pk_fma_f32 v[18:19], v[20:21], v[22:23], v[18:19] op_sel_hi:[1,0,1]
	v_and_b32_e32 v21, 0xffff0000, v54
	v_pk_add_f32 v[16:17], v[16:17], v[18:19]
	v_and_b32_e32 v18, 0xffff0000, v164
	v_pk_add_f32 v[248:249], v[16:17], v[248:249]
	v_accvgpr_read_b32 v16, a50
	v_lshlrev_b32_e32 v17, 16, v16
	v_lshlrev_b32_e32 v16, 16, v164
	v_pk_mul_f32 v[16:17], v[2:3], v[16:17] op_sel_hi:[0,1]
	v_accvgpr_read_b32 v3, a52
	v_lshlrev_b32_e32 v19, 16, v3
	v_lshlrev_b32_e32 v20, 16, v54
	v_accvgpr_read_b32 v3, a25
	v_pk_mul_f32 v[18:19], v[38:39], v[18:19] op_sel_hi:[0,1]
	v_pk_fma_f32 v[16:17], v[20:21], v[34:35], v[16:17] op_sel_hi:[1,0,1]
	v_and_b32_e32 v21, 0xffff0000, v3
	v_lshlrev_b32_e32 v20, 16, v3
	v_accvgpr_read_b32 v3, a106
	v_pk_fma_f32 v[18:19], v[20:21], v[46:47], v[18:19] op_sel_hi:[1,0,1]
	v_and_b32_e32 v21, 0xffff0000, v3
	v_lshlrev_b32_e32 v20, 16, v3
	v_accvgpr_read_b32 v3, a113
	v_pk_fma_f32 v[16:17], v[20:21], v[14:15], v[16:17] op_sel_hi:[1,0,1]
	v_and_b32_e32 v21, 0xffff0000, v3
	v_lshlrev_b32_e32 v20, 16, v3
	v_pk_fma_f32 v[18:19], v[20:21], v[8:9], v[18:19] op_sel_hi:[1,0,1]
	v_and_b32_e32 v21, 0xffff0000, v69
	v_lshlrev_b32_e32 v20, 16, v69
	v_pk_fma_f32 v[16:17], v[20:21], v[10:11], v[16:17] op_sel_hi:[1,0,1]
	v_and_b32_e32 v21, 0xffff0000, v47
	v_lshlrev_b32_e32 v20, 16, v47
	v_pk_fma_f32 v[18:19], v[20:21], v[22:23], v[18:19] op_sel_hi:[1,0,1]
	s_nop 0
	v_pk_add_f32 v[16:17], v[16:17], v[18:19]
	v_and_b32_e32 v18, 0xffff0000, v180
	v_pk_add_f32 v[246:247], v[16:17], v[246:247]
	v_lshlrev_b32_e32 v17, 16, v52
	v_lshlrev_b32_e32 v16, 16, v180
	v_pk_mul_f32 v[16:17], v[2:3], v[16:17] op_sel_hi:[0,1]
	v_accvgpr_read_b32 v3, a51
	v_lshlrev_b32_e32 v19, 16, v3
	v_accvgpr_read_b32 v3, a24
	v_and_b32_e32 v21, 0xffff0000, v3
	v_lshlrev_b32_e32 v20, 16, v3
	v_accvgpr_read_b32 v3, a93
	v_pk_mul_f32 v[18:19], v[38:39], v[18:19] op_sel_hi:[0,1]
	v_pk_fma_f32 v[16:17], v[20:21], v[34:35], v[16:17] op_sel_hi:[1,0,1]
	v_and_b32_e32 v21, 0xffff0000, v3
	v_lshlrev_b32_e32 v20, 16, v3
	v_accvgpr_read_b32 v3, a105
	v_pk_fma_f32 v[18:19], v[20:21], v[46:47], v[18:19] op_sel_hi:[1,0,1]
	v_and_b32_e32 v21, 0xffff0000, v3
	v_lshlrev_b32_e32 v20, 16, v3
	v_accvgpr_read_b32 v3, a112
	v_pk_fma_f32 v[16:17], v[20:21], v[14:15], v[16:17] op_sel_hi:[1,0,1]
	v_and_b32_e32 v21, 0xffff0000, v3
	v_lshlrev_b32_e32 v20, 16, v3
	v_pk_fma_f32 v[18:19], v[20:21], v[8:9], v[18:19] op_sel_hi:[1,0,1]
	v_and_b32_e32 v21, 0xffff0000, v101
	v_lshlrev_b32_e32 v20, 16, v101
	v_pk_fma_f32 v[16:17], v[20:21], v[10:11], v[16:17] op_sel_hi:[1,0,1]
	v_and_b32_e32 v21, 0xffff0000, v71
	v_lshlrev_b32_e32 v20, 16, v71
	v_pk_fma_f32 v[18:19], v[20:21], v[22:23], v[18:19] op_sel_hi:[1,0,1]
	s_nop 0
	v_pk_add_f32 v[16:17], v[16:17], v[18:19]
	v_and_b32_e32 v18, 0xffff0000, v184
	v_pk_add_f32 v[244:245], v[16:17], v[244:245]
	v_lshlrev_b32_e32 v17, 16, v100
	v_lshlrev_b32_e32 v16, 16, v184
	v_pk_mul_f32 v[16:17], v[2:3], v[16:17] op_sel_hi:[0,1]
	v_accvgpr_read_b32 v3, a49
	v_lshlrev_b32_e32 v19, 16, v3
	v_accvgpr_read_b32 v3, a53
	v_and_b32_e32 v21, 0xffff0000, v3
	;; [unrolled: 32-line block ×4, first 2 shown]
	v_lshlrev_b32_e32 v20, 16, v3
	v_accvgpr_read_b32 v3, a99
	v_pk_mul_f32 v[18:19], v[38:39], v[18:19] op_sel_hi:[0,1]
	v_pk_fma_f32 v[16:17], v[20:21], v[34:35], v[16:17] op_sel_hi:[1,0,1]
	v_and_b32_e32 v21, 0xffff0000, v3
	v_lshlrev_b32_e32 v20, 16, v3
	v_accvgpr_read_b32 v3, a102
	v_pk_fma_f32 v[18:19], v[20:21], v[46:47], v[18:19] op_sel_hi:[1,0,1]
	v_and_b32_e32 v21, 0xffff0000, v3
	v_lshlrev_b32_e32 v20, 16, v3
	v_accvgpr_read_b32 v3, a109
	v_pk_fma_f32 v[16:17], v[20:21], v[14:15], v[16:17] op_sel_hi:[1,0,1]
	v_and_b32_e32 v21, 0xffff0000, v3
	v_lshlrev_b32_e32 v20, 16, v3
	v_pk_fma_f32 v[18:19], v[20:21], v[8:9], v[18:19] op_sel_hi:[1,0,1]
	v_and_b32_e32 v21, 0xffff0000, v9
	v_lshlrev_b32_e32 v20, 16, v9
	v_pk_fma_f32 v[16:17], v[20:21], v[10:11], v[16:17] op_sel_hi:[1,0,1]
	v_and_b32_e32 v21, 0xffff0000, v147
	v_lshlrev_b32_e32 v20, 16, v147
	v_pk_fma_f32 v[18:19], v[20:21], v[22:23], v[18:19] op_sel_hi:[1,0,1]
	v_accvgpr_read_b32 v11, a23
	v_pk_add_f32 v[16:17], v[16:17], v[18:19]
	s_nop 0
	v_pk_add_f32 v[238:239], v[16:17], v[238:239]
	v_accvgpr_read_b32 v16, a22
	v_lshlrev_b32_e32 v17, 16, v16
	v_lshlrev_b32_e32 v16, 16, v196
	v_pk_mul_f32 v[2:3], v[2:3], v[16:17] op_sel_hi:[0,1]
	v_lshlrev_b32_e32 v17, 16, v11
	v_accvgpr_read_b32 v11, a98
	v_and_b32_e32 v16, 0xffff0000, v196
	v_and_b32_e32 v19, 0xffff0000, v11
	v_lshlrev_b32_e32 v18, 16, v11
	v_accvgpr_read_b32 v11, a100
	v_pk_mul_f32 v[16:17], v[38:39], v[16:17] op_sel_hi:[0,1]
	v_pk_fma_f32 v[2:3], v[18:19], v[34:35], v[2:3] op_sel_hi:[1,0,1]
	v_and_b32_e32 v19, 0xffff0000, v11
	v_lshlrev_b32_e32 v18, 16, v11
	v_accvgpr_read_b32 v11, a101
	v_pk_fma_f32 v[16:17], v[18:19], v[46:47], v[16:17] op_sel_hi:[1,0,1]
	v_and_b32_e32 v19, 0xffff0000, v11
	v_lshlrev_b32_e32 v18, 16, v11
	v_accvgpr_read_b32 v11, a108
	v_pk_fma_f32 v[2:3], v[18:19], v[14:15], v[2:3] op_sel_hi:[1,0,1]
	v_and_b32_e32 v15, 0xffff0000, v11
	v_lshlrev_b32_e32 v14, 16, v11
	v_pk_fma_f32 v[14:15], v[14:15], v[8:9], v[16:17] op_sel_hi:[1,0,1]
	v_and_b32_e32 v17, 0xffff0000, v203
	v_lshlrev_b32_e32 v16, 16, v203
	;; [unrolled: 3-line block ×3, first 2 shown]
	v_pk_fma_f32 v[10:11], v[10:11], v[22:23], v[14:15] op_sel_hi:[1,0,1]
	s_nop 0
	v_pk_add_f32 v[2:3], v[2:3], v[10:11]
	s_nop 0
	v_pk_add_f32 v[236:237], v[2:3], v[236:237]
	v_add_u32_e32 v2, 0x600, v232
	v_cmp_gt_u32_e32 vcc, s6, v2
	s_and_saveexec_b64 s[20:21], vcc
	s_cbranch_execz .LBB40_6
; %bb.22:                               ;   in Loop: Header=BB40_10 Depth=2
	v_accvgpr_read_b32 v18, a38
	v_and_b32_e32 v3, 0xffff0000, v18
	v_lshlrev_b32_e32 v2, 16, v18
	v_mov_b32_e32 v8, v52
	v_mov_b32_e32 v16, v53
	;; [unrolled: 1-line block ×4, first 2 shown]
	v_accvgpr_read_b32 v52, a54
	v_accvgpr_read_b32 v19, a39
	v_accvgpr_read_b32 v53, a55
	v_and_b32_e32 v11, 0xffff0000, v52
	v_lshlrev_b32_e32 v10, 16, v52
	v_accvgpr_read_b32 v20, a40
	v_accvgpr_read_b32 v54, a56
	v_pk_mul_f32 v[10:11], v[10:11], v[2:3]
	v_and_b32_e32 v15, 0xffff0000, v53
	v_lshlrev_b32_e32 v14, 16, v53
	v_and_b32_e32 v35, 0xffff0000, v19
	v_lshlrev_b32_e32 v34, 16, v19
	v_accvgpr_read_b32 v21, a41
	v_accvgpr_read_b32 v55, a57
	v_mov_b32_e32 v53, v16
	v_pk_fma_f32 v[10:11], v[14:15], v[34:35], v[10:11]
	v_and_b32_e32 v17, 0xffff0000, v54
	v_lshlrev_b32_e32 v16, 16, v54
	v_and_b32_e32 v15, 0xffff0000, v20
	v_lshlrev_b32_e32 v14, 16, v20
	v_mov_b32_e32 v54, v18
	v_pk_fma_f32 v[16:17], v[16:17], v[14:15], v[10:11]
	v_and_b32_e32 v19, 0xffff0000, v55
	v_lshlrev_b32_e32 v18, 16, v55
	v_and_b32_e32 v11, 0xffff0000, v21
	v_lshlrev_b32_e32 v10, 16, v21
	v_pk_fma_f32 v[16:17], v[18:19], v[10:11], v[16:17]
	v_mov_b32_e32 v52, v8
	v_add_f32_e32 v8, v16, v17
	v_add_f32_e32 v213, v8, v213
	v_accvgpr_read_b32 v8, a88
	v_and_b32_e32 v17, 0xffff0000, v8
	v_lshlrev_b32_e32 v16, 16, v8
	v_pk_mul_f32 v[16:17], v[2:3], v[16:17] op_sel_hi:[0,1]
	v_accvgpr_read_b32 v8, a89
	v_mov_b32_e32 v38, v3
	v_accvgpr_read_b32 v3, a90
	v_and_b32_e32 v19, 0xffff0000, v8
	v_lshlrev_b32_e32 v18, 16, v8
	v_and_b32_e32 v21, 0xffff0000, v3
	v_lshlrev_b32_e32 v20, 16, v3
	v_accvgpr_read_b32 v3, a91
	v_pk_mul_f32 v[18:19], v[38:39], v[18:19] op_sel_hi:[0,1]
	v_pk_fma_f32 v[16:17], v[20:21], v[34:35], v[16:17] op_sel_hi:[1,0,1]
	v_and_b32_e32 v21, 0xffff0000, v3
	v_lshlrev_b32_e32 v20, 16, v3
	v_mov_b32_e32 v46, v35
	v_accvgpr_read_b32 v3, a85
	v_pk_fma_f32 v[18:19], v[20:21], v[46:47], v[18:19] op_sel_hi:[1,0,1]
	v_and_b32_e32 v21, 0xffff0000, v3
	v_lshlrev_b32_e32 v20, 16, v3
	v_accvgpr_read_b32 v3, a87
	v_pk_fma_f32 v[16:17], v[20:21], v[14:15], v[16:17] op_sel_hi:[1,0,1]
	v_and_b32_e32 v21, 0xffff0000, v3
	v_lshlrev_b32_e32 v20, 16, v3
	v_mov_b32_e32 v8, v15
	v_accvgpr_read_b32 v3, a84
	v_pk_fma_f32 v[18:19], v[20:21], v[8:9], v[18:19] op_sel_hi:[1,0,1]
	v_and_b32_e32 v21, 0xffff0000, v3
	v_lshlrev_b32_e32 v20, 16, v3
	v_accvgpr_read_b32 v3, a86
	v_mov_b32_e32 v55, v22
	v_pk_fma_f32 v[16:17], v[20:21], v[10:11], v[16:17] op_sel_hi:[1,0,1]
	v_and_b32_e32 v21, 0xffff0000, v3
	v_lshlrev_b32_e32 v20, 16, v3
	v_mov_b32_e32 v22, v11
	v_pk_fma_f32 v[18:19], v[20:21], v[22:23], v[18:19] op_sel_hi:[1,0,1]
	v_accvgpr_read_b32 v3, a60
	v_pk_add_f32 v[16:17], v[16:17], v[18:19]
	s_nop 0
	v_pk_add_f32 v[248:249], v[16:17], v[248:249]
	v_and_b32_e32 v17, 0xffff0000, v3
	v_lshlrev_b32_e32 v16, 16, v3
	v_pk_mul_f32 v[16:17], v[2:3], v[16:17] op_sel_hi:[0,1]
	v_accvgpr_read_b32 v3, a61
	v_and_b32_e32 v19, 0xffff0000, v3
	v_lshlrev_b32_e32 v18, 16, v3
	v_accvgpr_read_b32 v3, a62
	v_and_b32_e32 v21, 0xffff0000, v3
	v_lshlrev_b32_e32 v20, 16, v3
	v_accvgpr_read_b32 v3, a63
	v_pk_mul_f32 v[18:19], v[38:39], v[18:19] op_sel_hi:[0,1]
	v_pk_fma_f32 v[16:17], v[20:21], v[34:35], v[16:17] op_sel_hi:[1,0,1]
	v_and_b32_e32 v21, 0xffff0000, v3
	v_lshlrev_b32_e32 v20, 16, v3
	v_accvgpr_read_b32 v3, a2
	v_pk_fma_f32 v[18:19], v[20:21], v[46:47], v[18:19] op_sel_hi:[1,0,1]
	v_and_b32_e32 v21, 0xffff0000, v3
	v_lshlrev_b32_e32 v20, 16, v3
	v_accvgpr_read_b32 v3, a36
	v_pk_fma_f32 v[16:17], v[20:21], v[14:15], v[16:17] op_sel_hi:[1,0,1]
	v_and_b32_e32 v21, 0xffff0000, v3
	v_lshlrev_b32_e32 v20, 16, v3
	v_accvgpr_read_b32 v3, a0
	v_pk_fma_f32 v[18:19], v[20:21], v[8:9], v[18:19] op_sel_hi:[1,0,1]
	v_and_b32_e32 v21, 0xffff0000, v3
	v_lshlrev_b32_e32 v20, 16, v3
	v_accvgpr_read_b32 v3, a35
	v_pk_fma_f32 v[16:17], v[20:21], v[10:11], v[16:17] op_sel_hi:[1,0,1]
	v_and_b32_e32 v21, 0xffff0000, v3
	v_lshlrev_b32_e32 v20, 16, v3
	v_pk_fma_f32 v[18:19], v[20:21], v[22:23], v[18:19] op_sel_hi:[1,0,1]
	v_accvgpr_read_b32 v3, a68
	v_pk_add_f32 v[16:17], v[16:17], v[18:19]
	s_nop 0
	v_pk_add_f32 v[246:247], v[16:17], v[246:247]
	v_and_b32_e32 v17, 0xffff0000, v3
	v_lshlrev_b32_e32 v16, 16, v3
	v_pk_mul_f32 v[16:17], v[2:3], v[16:17] op_sel_hi:[0,1]
	v_accvgpr_read_b32 v3, a73
	v_and_b32_e32 v19, 0xffff0000, v3
	v_lshlrev_b32_e32 v18, 16, v3
	v_accvgpr_read_b32 v3, a81
	v_and_b32_e32 v21, 0xffff0000, v3
	v_lshlrev_b32_e32 v20, 16, v3
	v_accvgpr_read_b32 v3, a83
	v_pk_mul_f32 v[18:19], v[38:39], v[18:19] op_sel_hi:[0,1]
	v_pk_fma_f32 v[16:17], v[20:21], v[34:35], v[16:17] op_sel_hi:[1,0,1]
	v_and_b32_e32 v21, 0xffff0000, v3
	v_lshlrev_b32_e32 v20, 16, v3
	v_accvgpr_read_b32 v3, a32
	v_pk_fma_f32 v[18:19], v[20:21], v[46:47], v[18:19] op_sel_hi:[1,0,1]
	v_and_b32_e32 v21, 0xffff0000, v3
	v_lshlrev_b32_e32 v20, 16, v3
	v_accvgpr_read_b32 v3, a34
	v_pk_fma_f32 v[16:17], v[20:21], v[14:15], v[16:17] op_sel_hi:[1,0,1]
	v_and_b32_e32 v21, 0xffff0000, v3
	v_lshlrev_b32_e32 v20, 16, v3
	v_accvgpr_read_b32 v3, a31
	v_pk_fma_f32 v[18:19], v[20:21], v[8:9], v[18:19] op_sel_hi:[1,0,1]
	v_and_b32_e32 v21, 0xffff0000, v3
	v_lshlrev_b32_e32 v20, 16, v3
	v_accvgpr_read_b32 v3, a33
	v_pk_fma_f32 v[16:17], v[20:21], v[10:11], v[16:17] op_sel_hi:[1,0,1]
	v_and_b32_e32 v21, 0xffff0000, v3
	v_lshlrev_b32_e32 v20, 16, v3
	;; [unrolled: 35-line block ×5, first 2 shown]
	v_pk_fma_f32 v[18:19], v[20:21], v[22:23], v[18:19] op_sel_hi:[1,0,1]
	v_accvgpr_read_b32 v3, a64
	v_pk_add_f32 v[16:17], v[16:17], v[18:19]
	v_accvgpr_read_b32 v11, a69
	v_pk_add_f32 v[238:239], v[16:17], v[238:239]
	v_and_b32_e32 v17, 0xffff0000, v3
	v_lshlrev_b32_e32 v16, 16, v3
	v_pk_mul_f32 v[2:3], v[2:3], v[16:17] op_sel_hi:[0,1]
	v_and_b32_e32 v17, 0xffff0000, v11
	v_lshlrev_b32_e32 v16, 16, v11
	v_accvgpr_read_b32 v11, a74
	v_and_b32_e32 v19, 0xffff0000, v11
	v_lshlrev_b32_e32 v18, 16, v11
	v_accvgpr_read_b32 v11, a76
	v_pk_mul_f32 v[16:17], v[38:39], v[16:17] op_sel_hi:[0,1]
	v_pk_fma_f32 v[2:3], v[18:19], v[34:35], v[2:3] op_sel_hi:[1,0,1]
	v_and_b32_e32 v19, 0xffff0000, v11
	v_lshlrev_b32_e32 v18, 16, v11
	v_accvgpr_read_b32 v11, a3
	v_pk_fma_f32 v[16:17], v[18:19], v[46:47], v[16:17] op_sel_hi:[1,0,1]
	v_and_b32_e32 v19, 0xffff0000, v11
	v_lshlrev_b32_e32 v18, 16, v11
	v_accvgpr_read_b32 v11, a7
	v_pk_fma_f32 v[2:3], v[18:19], v[14:15], v[2:3] op_sel_hi:[1,0,1]
	v_and_b32_e32 v15, 0xffff0000, v11
	v_lshlrev_b32_e32 v14, 16, v11
	v_pk_fma_f32 v[14:15], v[14:15], v[8:9], v[16:17] op_sel_hi:[1,0,1]
	v_accvgpr_read_b32 v8, a1
	v_and_b32_e32 v17, 0xffff0000, v8
	v_lshlrev_b32_e32 v16, 16, v8
	v_accvgpr_read_b32 v8, a5
	v_pk_fma_f32 v[2:3], v[16:17], v[10:11], v[2:3] op_sel_hi:[1,0,1]
	v_and_b32_e32 v11, 0xffff0000, v8
	v_lshlrev_b32_e32 v10, 16, v8
	v_pk_fma_f32 v[10:11], v[10:11], v[22:23], v[14:15] op_sel_hi:[1,0,1]
	s_nop 0
	v_pk_add_f32 v[2:3], v[2:3], v[10:11]
	s_nop 0
	v_pk_add_f32 v[236:237], v[2:3], v[236:237]
	s_branch .LBB40_6
.LBB40_23:                              ;   in Loop: Header=BB40_4 Depth=1
	v_accvgpr_read_b32 v2, a87
	v_lshrrev_b32_e32 v20, 16, v2
	v_accvgpr_read_b32 v2, a85
	v_lshrrev_b32_e32 v21, 16, v2
	v_lshrrev_b32_e32 v2, 16, v69
	v_accvgpr_write_b32 a119, v2
	v_accvgpr_read_b32 v2, a36
	v_lshrrev_b32_e32 v2, 16, v2
	v_accvgpr_write_b32 a120, v2
	v_accvgpr_read_b32 v2, a2
	v_lshrrev_b32_e32 v2, 16, v2
	v_accvgpr_write_b32 a121, v2
	v_lshrrev_b32_e32 v2, 16, v71
	v_accvgpr_write_b32 a122, v2
	;; [unrolled: 2-line block ×3, first 2 shown]
	v_accvgpr_read_b32 v2, a34
	v_lshrrev_b32_e32 v2, 16, v2
	v_accvgpr_read_b32 v8, a26
	v_accvgpr_write_b32 a124, v2
	v_accvgpr_read_b32 v2, a32
	v_lshrrev_b32_e32 v14, 16, v8
	v_accvgpr_read_b32 v8, a19
	v_lshrrev_b32_e32 v2, 16, v2
	v_lshrrev_b32_e32 v15, 16, v8
	v_accvgpr_read_b32 v8, a15
	v_accvgpr_write_b32 a125, v2
	v_lshrrev_b32_e32 v2, 16, v103
	v_lshrrev_b32_e32 v38, 16, v8
	v_accvgpr_read_b32 v8, a11
	v_accvgpr_write_b32 a126, v2
	;; [unrolled: 4-line block ×3, first 2 shown]
	v_accvgpr_read_b32 v2, a30
	v_accvgpr_read_b32 v3, a28
	v_lshrrev_b32_e32 v232, 16, v8
	v_accvgpr_read_b32 v8, a3
	v_lshrrev_b32_e32 v18, 16, v70
	v_lshrrev_b32_e32 v19, 16, v45
	v_lshrrev_b32_e32 v22, 16, v47
	v_lshrrev_b32_e32 v2, 16, v2
	v_lshrrev_b32_e32 v3, 16, v3
	v_lshrrev_b32_e32 v10, 16, v127
	v_lshrrev_b32_e32 v11, 16, v145
	v_lshrrev_b32_e32 v34, 16, v147
	v_lshrrev_b32_e32 v35, 16, v9
	v_lshrrev_b32_e32 v67, 16, v199
	v_lshrrev_b32_e32 v91, 16, v203
	v_lshrrev_b32_e32 v252, 16, v8
	s_branch .LBB40_25
.LBB40_24:                              ;   in Loop: Header=BB40_4 Depth=1
	v_lshrrev_b32_e32 v8, 16, v125
	v_accvgpr_write_b32 a127, v8
	v_lshrrev_b32_e32 v8, 16, v103
	v_accvgpr_write_b32 a126, v8
	v_accvgpr_read_b32 v8, a32
	v_lshrrev_b32_e32 v8, 16, v8
	v_accvgpr_write_b32 a125, v8
	v_accvgpr_read_b32 v8, a34
	v_lshrrev_b32_e32 v8, 16, v8
	v_accvgpr_write_b32 a124, v8
	v_lshrrev_b32_e32 v8, 16, v101
	v_accvgpr_read_b32 v2, a3
	v_accvgpr_write_b32 a123, v8
	v_lshrrev_b32_e32 v8, 16, v71
	v_lshrrev_b32_e32 v252, 16, v2
	v_accvgpr_read_b32 v2, a7
	v_accvgpr_write_b32 a122, v8
	v_accvgpr_read_b32 v8, a2
	v_lshrrev_b32_e32 v232, 16, v2
	v_accvgpr_read_b32 v2, a11
	v_lshrrev_b32_e32 v8, 16, v8
	v_lshrrev_b32_e32 v46, 16, v2
	v_accvgpr_read_b32 v2, a15
	v_accvgpr_write_b32 a121, v8
	v_accvgpr_read_b32 v8, a36
	v_lshrrev_b32_e32 v38, 16, v2
	v_accvgpr_read_b32 v2, a19
	v_lshrrev_b32_e32 v8, 16, v8
	v_lshrrev_b32_e32 v15, 16, v2
	v_accvgpr_read_b32 v2, a26
	v_accvgpr_write_b32 a120, v8
	v_lshrrev_b32_e32 v8, 16, v69
	v_lshrrev_b32_e32 v14, 16, v2
	v_accvgpr_read_b32 v2, a28
	v_accvgpr_write_b32 a119, v8
	v_accvgpr_read_b32 v8, a85
	v_lshrrev_b32_e32 v3, 16, v2
	v_accvgpr_read_b32 v2, a30
	v_lshrrev_b32_e32 v21, 16, v8
	;; [unrolled: 2-line block ×3, first 2 shown]
	v_lshrrev_b32_e32 v67, 16, v199
	v_lshrrev_b32_e32 v35, 16, v9
	v_lshrrev_b32_e32 v34, 16, v147
	v_lshrrev_b32_e32 v11, 16, v145
	v_lshrrev_b32_e32 v10, 16, v127
	v_lshrrev_b32_e32 v2, 16, v2
	v_lshrrev_b32_e32 v22, 16, v47
	v_lshrrev_b32_e32 v20, 16, v8
	v_lshrrev_b32_e32 v19, 16, v45
	v_lshrrev_b32_e32 v18, 16, v70
	v_mov_b32_e32 v249, v231
	v_mov_b32_e32 v248, v231
	;; [unrolled: 1-line block ×15, first 2 shown]
.LBB40_25:                              ;   in Loop: Header=BB40_4 Depth=1
	;;#ASMSTART
	s_nop 0
	v_add_f32 v213, v213, v213 row_shr:8 bound_ctrl:0 
	;;#ASMEND
	;;#ASMSTART
	s_nop 0
	v_add_f32 v249, v249, v249 row_shr:8 bound_ctrl:0 
	;;#ASMEND
	;;#ASMSTART
	s_nop 0
	v_add_f32 v248, v248, v248 row_shr:8 bound_ctrl:0 
	;;#ASMEND
	;;#ASMSTART
	s_nop 0
	v_add_f32 v247, v247, v247 row_shr:8 bound_ctrl:0 
	;;#ASMEND
	;;#ASMSTART
	s_nop 0
	v_add_f32 v246, v246, v246 row_shr:8 bound_ctrl:0 
	;;#ASMEND
	;;#ASMSTART
	s_nop 0
	v_add_f32 v245, v245, v245 row_shr:8 bound_ctrl:0 
	;;#ASMEND
	;;#ASMSTART
	s_nop 0
	v_add_f32 v244, v244, v244 row_shr:8 bound_ctrl:0 
	;;#ASMEND
	;;#ASMSTART
	s_nop 0
	v_add_f32 v243, v243, v243 row_shr:8 bound_ctrl:0 
	;;#ASMEND
	;;#ASMSTART
	s_nop 0
	v_add_f32 v242, v242, v242 row_shr:8 bound_ctrl:0 
	;;#ASMEND
	;;#ASMSTART
	s_nop 0
	v_add_f32 v241, v241, v241 row_shr:8 bound_ctrl:0 
	;;#ASMEND
	;;#ASMSTART
	s_nop 0
	v_add_f32 v240, v240, v240 row_shr:8 bound_ctrl:0 
	;;#ASMEND
	;;#ASMSTART
	s_nop 0
	v_add_f32 v239, v239, v239 row_shr:8 bound_ctrl:0 
	;;#ASMEND
	;;#ASMSTART
	s_nop 0
	v_add_f32 v238, v238, v238 row_shr:8 bound_ctrl:0 
	;;#ASMEND
	;;#ASMSTART
	s_nop 0
	v_add_f32 v237, v237, v237 row_shr:8 bound_ctrl:0 
	;;#ASMEND
	;;#ASMSTART
	s_nop 0
	v_add_f32 v236, v236, v236 row_shr:8 bound_ctrl:0 
	;;#ASMEND
	s_nop 0
	;;#ASMSTART
	s_nop 0
	v_add_f32 v213, v213, v213 row_shr:4 bound_ctrl:0 
	;;#ASMEND
	;;#ASMSTART
	s_nop 0
	v_add_f32 v249, v249, v249 row_shr:4 bound_ctrl:0 
	;;#ASMEND
	;;#ASMSTART
	s_nop 0
	v_add_f32 v248, v248, v248 row_shr:4 bound_ctrl:0 
	;;#ASMEND
	;;#ASMSTART
	s_nop 0
	v_add_f32 v247, v247, v247 row_shr:4 bound_ctrl:0 
	;;#ASMEND
	;;#ASMSTART
	s_nop 0
	v_add_f32 v246, v246, v246 row_shr:4 bound_ctrl:0 
	;;#ASMEND
	;;#ASMSTART
	s_nop 0
	v_add_f32 v245, v245, v245 row_shr:4 bound_ctrl:0 
	;;#ASMEND
	;;#ASMSTART
	s_nop 0
	v_add_f32 v244, v244, v244 row_shr:4 bound_ctrl:0 
	;;#ASMEND
	;;#ASMSTART
	s_nop 0
	v_add_f32 v243, v243, v243 row_shr:4 bound_ctrl:0 
	;;#ASMEND
	;;#ASMSTART
	s_nop 0
	v_add_f32 v242, v242, v242 row_shr:4 bound_ctrl:0 
	;;#ASMEND
	;;#ASMSTART
	s_nop 0
	v_add_f32 v241, v241, v241 row_shr:4 bound_ctrl:0 
	;;#ASMEND
	;;#ASMSTART
	s_nop 0
	v_add_f32 v240, v240, v240 row_shr:4 bound_ctrl:0 
	;;#ASMEND
	;;#ASMSTART
	s_nop 0
	v_add_f32 v239, v239, v239 row_shr:4 bound_ctrl:0 
	;;#ASMEND
	;;#ASMSTART
	s_nop 0
	v_add_f32 v238, v238, v238 row_shr:4 bound_ctrl:0 
	;;#ASMEND
	;;#ASMSTART
	s_nop 0
	v_add_f32 v237, v237, v237 row_shr:4 bound_ctrl:0 
	;;#ASMEND
	;;#ASMSTART
	s_nop 0
	v_add_f32 v236, v236, v236 row_shr:4 bound_ctrl:0 
	;;#ASMEND
	s_nop 0
	;; [unrolled: 61-line block ×3, first 2 shown]
	;;#ASMSTART
	s_nop 0
	v_add_f32 v213, v213, v213 wave_shr:1 bound_ctrl:0
	;;#ASMEND
	;;#ASMSTART
	s_nop 0
	v_add_f32 v249, v249, v249 wave_shr:1 bound_ctrl:0
	;;#ASMEND
	;; [unrolled: 4-line block ×15, first 2 shown]
	s_nop 0
	;;#ASMSTART
	s_nop 0
	v_add_f32 v213, v213, v213 row_bcast:15 bound_ctrl:0
	;;#ASMEND
	;;#ASMSTART
	s_nop 0
	v_add_f32 v249, v249, v249 row_bcast:15 bound_ctrl:0
	;;#ASMEND
	;; [unrolled: 4-line block ×15, first 2 shown]
	s_nop 0
	;;#ASMSTART
	s_nop 0
	v_add_f32 v213, v213, v213 row_bcast:31 bound_ctrl:0
	;;#ASMEND
	;;#ASMSTART
	s_nop 0
	v_add_f32 v249, v249, v249 row_bcast:31 bound_ctrl:0
	;;#ASMEND
	;; [unrolled: 4-line block ×15, first 2 shown]
	s_and_saveexec_b64 s[4:5], s[0:1]
	s_cbranch_execz .LBB40_3
; %bb.26:                               ;   in Loop: Header=BB40_4 Depth=1
	v_and_b32_e32 v8, 0x7f800000, v213
	v_cmp_ne_u32_e32 vcc, s28, v8
                                        ; implicit-def: $vgpr230
	s_and_saveexec_b64 s[16:17], vcc
	s_xor_b64 s[16:17], exec, s[16:17]
; %bb.27:                               ;   in Loop: Header=BB40_4 Depth=1
	v_bfe_u32 v8, v213, 16, 1
	v_add3_u32 v230, v213, v8, s29
                                        ; implicit-def: $vgpr213
; %bb.28:                               ;   in Loop: Header=BB40_4 Depth=1
	s_andn2_saveexec_b64 s[16:17], s[16:17]
; %bb.29:                               ;   in Loop: Header=BB40_4 Depth=1
	v_or_b32_e32 v8, 0x10000, v213
	v_cmp_eq_u32_sdwa vcc, v213, v231 src0_sel:WORD_0 src1_sel:DWORD
	s_nop 1
	v_cndmask_b32_e32 v230, v8, v213, vcc
; %bb.30:                               ;   in Loop: Header=BB40_4 Depth=1
	s_or_b64 exec, exec, s[16:17]
	v_accvgpr_read_b32 v16, a58
	v_mov_b32_e32 v17, v231
	v_and_b32_e32 v8, 0x7f800000, v249
	s_waitcnt lgkmcnt(0)
	v_lshl_add_u64 v[16:17], v[16:17], 1, s[12:13]
	v_cmp_ne_u32_e32 vcc, s28, v8
	global_store_short_d16_hi v[16:17], v230, off
                                        ; implicit-def: $vgpr213
	s_and_saveexec_b64 s[16:17], vcc
	s_xor_b64 s[16:17], exec, s[16:17]
; %bb.31:                               ;   in Loop: Header=BB40_4 Depth=1
	v_bfe_u32 v8, v249, 16, 1
	v_add3_u32 v213, v249, v8, s29
; %bb.32:                               ;   in Loop: Header=BB40_4 Depth=1
	s_andn2_saveexec_b64 s[16:17], s[16:17]
; %bb.33:                               ;   in Loop: Header=BB40_4 Depth=1
	v_or_b32_e32 v8, 0x10000, v249
	v_cmp_eq_u32_sdwa vcc, v249, v231 src0_sel:WORD_0 src1_sel:DWORD
	s_nop 1
	v_cndmask_b32_e32 v213, v8, v249, vcc
; %bb.34:                               ;   in Loop: Header=BB40_4 Depth=1
	s_or_b64 exec, exec, s[16:17]
	v_accvgpr_read_b32 v8, a58
	v_add_u32_e32 v230, s7, v8
	v_and_b32_e32 v8, 0x7f800000, v248
	v_lshl_add_u64 v[16:17], v[230:231], 1, s[12:13]
	v_cmp_ne_u32_e32 vcc, s28, v8
	global_store_short_d16_hi v[16:17], v213, off
                                        ; implicit-def: $vgpr213
	s_and_saveexec_b64 s[16:17], vcc
	s_xor_b64 s[16:17], exec, s[16:17]
; %bb.35:                               ;   in Loop: Header=BB40_4 Depth=1
	v_bfe_u32 v8, v248, 16, 1
	v_add3_u32 v213, v248, v8, s29
                                        ; implicit-def: $vgpr248
; %bb.36:                               ;   in Loop: Header=BB40_4 Depth=1
	s_andn2_saveexec_b64 s[16:17], s[16:17]
; %bb.37:                               ;   in Loop: Header=BB40_4 Depth=1
	v_or_b32_e32 v8, 0x10000, v248
	v_cmp_eq_u32_sdwa vcc, v248, v231 src0_sel:WORD_0 src1_sel:DWORD
	s_nop 1
	v_cndmask_b32_e32 v213, v8, v248, vcc
; %bb.38:                               ;   in Loop: Header=BB40_4 Depth=1
	s_or_b64 exec, exec, s[16:17]
	v_add_u32_e32 v230, s7, v230
	v_and_b32_e32 v8, 0x7f800000, v247
	v_lshl_add_u64 v[16:17], v[230:231], 1, s[12:13]
	v_cmp_ne_u32_e32 vcc, s28, v8
	global_store_short_d16_hi v[16:17], v213, off
                                        ; implicit-def: $vgpr213
	s_and_saveexec_b64 s[16:17], vcc
	s_xor_b64 s[16:17], exec, s[16:17]
; %bb.39:                               ;   in Loop: Header=BB40_4 Depth=1
	v_bfe_u32 v8, v247, 16, 1
	v_add3_u32 v213, v247, v8, s29
; %bb.40:                               ;   in Loop: Header=BB40_4 Depth=1
	s_andn2_saveexec_b64 s[16:17], s[16:17]
; %bb.41:                               ;   in Loop: Header=BB40_4 Depth=1
	v_or_b32_e32 v8, 0x10000, v247
	v_cmp_eq_u32_sdwa vcc, v247, v231 src0_sel:WORD_0 src1_sel:DWORD
	s_nop 1
	v_cndmask_b32_e32 v213, v8, v247, vcc
; %bb.42:                               ;   in Loop: Header=BB40_4 Depth=1
	s_or_b64 exec, exec, s[16:17]
	v_add_u32_e32 v230, s7, v230
	v_and_b32_e32 v8, 0x7f800000, v246
	v_lshl_add_u64 v[16:17], v[230:231], 1, s[12:13]
	v_cmp_ne_u32_e32 vcc, s28, v8
	global_store_short_d16_hi v[16:17], v213, off
                                        ; implicit-def: $vgpr213
	s_and_saveexec_b64 s[16:17], vcc
	s_xor_b64 s[16:17], exec, s[16:17]
; %bb.43:                               ;   in Loop: Header=BB40_4 Depth=1
	v_bfe_u32 v8, v246, 16, 1
	v_add3_u32 v213, v246, v8, s29
                                        ; implicit-def: $vgpr246
; %bb.44:                               ;   in Loop: Header=BB40_4 Depth=1
	s_andn2_saveexec_b64 s[16:17], s[16:17]
; %bb.45:                               ;   in Loop: Header=BB40_4 Depth=1
	v_or_b32_e32 v8, 0x10000, v246
	v_cmp_eq_u32_sdwa vcc, v246, v231 src0_sel:WORD_0 src1_sel:DWORD
	s_nop 1
	v_cndmask_b32_e32 v213, v8, v246, vcc
; %bb.46:                               ;   in Loop: Header=BB40_4 Depth=1
	s_or_b64 exec, exec, s[16:17]
	v_add_u32_e32 v230, s7, v230
	v_and_b32_e32 v8, 0x7f800000, v245
	v_lshl_add_u64 v[16:17], v[230:231], 1, s[12:13]
	v_cmp_ne_u32_e32 vcc, s28, v8
	global_store_short_d16_hi v[16:17], v213, off
                                        ; implicit-def: $vgpr213
	s_and_saveexec_b64 s[16:17], vcc
	s_xor_b64 s[16:17], exec, s[16:17]
; %bb.47:                               ;   in Loop: Header=BB40_4 Depth=1
	v_bfe_u32 v8, v245, 16, 1
	v_add3_u32 v213, v245, v8, s29
; %bb.48:                               ;   in Loop: Header=BB40_4 Depth=1
	s_andn2_saveexec_b64 s[16:17], s[16:17]
; %bb.49:                               ;   in Loop: Header=BB40_4 Depth=1
	v_or_b32_e32 v8, 0x10000, v245
	v_cmp_eq_u32_sdwa vcc, v245, v231 src0_sel:WORD_0 src1_sel:DWORD
	s_nop 1
	v_cndmask_b32_e32 v213, v8, v245, vcc
; %bb.50:                               ;   in Loop: Header=BB40_4 Depth=1
	s_or_b64 exec, exec, s[16:17]
	v_add_u32_e32 v230, s7, v230
	v_and_b32_e32 v8, 0x7f800000, v244
	v_lshl_add_u64 v[16:17], v[230:231], 1, s[12:13]
	v_cmp_ne_u32_e32 vcc, s28, v8
	global_store_short_d16_hi v[16:17], v213, off
                                        ; implicit-def: $vgpr213
	s_and_saveexec_b64 s[16:17], vcc
	s_xor_b64 s[16:17], exec, s[16:17]
; %bb.51:                               ;   in Loop: Header=BB40_4 Depth=1
	v_bfe_u32 v8, v244, 16, 1
	v_add3_u32 v213, v244, v8, s29
                                        ; implicit-def: $vgpr244
; %bb.52:                               ;   in Loop: Header=BB40_4 Depth=1
	s_andn2_saveexec_b64 s[16:17], s[16:17]
; %bb.53:                               ;   in Loop: Header=BB40_4 Depth=1
	v_or_b32_e32 v8, 0x10000, v244
	v_cmp_eq_u32_sdwa vcc, v244, v231 src0_sel:WORD_0 src1_sel:DWORD
	s_nop 1
	v_cndmask_b32_e32 v213, v8, v244, vcc
; %bb.54:                               ;   in Loop: Header=BB40_4 Depth=1
	s_or_b64 exec, exec, s[16:17]
	v_add_u32_e32 v230, s7, v230
	v_and_b32_e32 v8, 0x7f800000, v243
	v_lshl_add_u64 v[16:17], v[230:231], 1, s[12:13]
	v_cmp_ne_u32_e32 vcc, s28, v8
	global_store_short_d16_hi v[16:17], v213, off
                                        ; implicit-def: $vgpr213
	s_and_saveexec_b64 s[16:17], vcc
	s_xor_b64 s[16:17], exec, s[16:17]
; %bb.55:                               ;   in Loop: Header=BB40_4 Depth=1
	v_bfe_u32 v8, v243, 16, 1
	v_add3_u32 v213, v243, v8, s29
; %bb.56:                               ;   in Loop: Header=BB40_4 Depth=1
	s_andn2_saveexec_b64 s[16:17], s[16:17]
; %bb.57:                               ;   in Loop: Header=BB40_4 Depth=1
	v_or_b32_e32 v8, 0x10000, v243
	v_cmp_eq_u32_sdwa vcc, v243, v231 src0_sel:WORD_0 src1_sel:DWORD
	s_nop 1
	v_cndmask_b32_e32 v213, v8, v243, vcc
; %bb.58:                               ;   in Loop: Header=BB40_4 Depth=1
	s_or_b64 exec, exec, s[16:17]
	v_add_u32_e32 v230, s7, v230
	v_and_b32_e32 v8, 0x7f800000, v242
	v_lshl_add_u64 v[16:17], v[230:231], 1, s[12:13]
	v_cmp_ne_u32_e32 vcc, s28, v8
	global_store_short_d16_hi v[16:17], v213, off
                                        ; implicit-def: $vgpr213
	s_and_saveexec_b64 s[16:17], vcc
	s_xor_b64 s[16:17], exec, s[16:17]
; %bb.59:                               ;   in Loop: Header=BB40_4 Depth=1
	v_bfe_u32 v8, v242, 16, 1
	v_add3_u32 v213, v242, v8, s29
                                        ; implicit-def: $vgpr242
; %bb.60:                               ;   in Loop: Header=BB40_4 Depth=1
	s_andn2_saveexec_b64 s[16:17], s[16:17]
; %bb.61:                               ;   in Loop: Header=BB40_4 Depth=1
	v_or_b32_e32 v8, 0x10000, v242
	v_cmp_eq_u32_sdwa vcc, v242, v231 src0_sel:WORD_0 src1_sel:DWORD
	s_nop 1
	v_cndmask_b32_e32 v213, v8, v242, vcc
; %bb.62:                               ;   in Loop: Header=BB40_4 Depth=1
	s_or_b64 exec, exec, s[16:17]
	v_add_u32_e32 v230, s7, v230
	v_and_b32_e32 v8, 0x7f800000, v241
	v_lshl_add_u64 v[16:17], v[230:231], 1, s[12:13]
	v_cmp_ne_u32_e32 vcc, s28, v8
	global_store_short_d16_hi v[16:17], v213, off
                                        ; implicit-def: $vgpr213
	s_and_saveexec_b64 s[16:17], vcc
	s_xor_b64 s[16:17], exec, s[16:17]
; %bb.63:                               ;   in Loop: Header=BB40_4 Depth=1
	v_bfe_u32 v8, v241, 16, 1
	v_add3_u32 v213, v241, v8, s29
; %bb.64:                               ;   in Loop: Header=BB40_4 Depth=1
	s_andn2_saveexec_b64 s[16:17], s[16:17]
; %bb.65:                               ;   in Loop: Header=BB40_4 Depth=1
	v_or_b32_e32 v8, 0x10000, v241
	v_cmp_eq_u32_sdwa vcc, v241, v231 src0_sel:WORD_0 src1_sel:DWORD
	s_nop 1
	v_cndmask_b32_e32 v213, v8, v241, vcc
; %bb.66:                               ;   in Loop: Header=BB40_4 Depth=1
	s_or_b64 exec, exec, s[16:17]
	v_add_u32_e32 v230, s7, v230
	v_and_b32_e32 v8, 0x7f800000, v240
	v_lshl_add_u64 v[16:17], v[230:231], 1, s[12:13]
	v_cmp_ne_u32_e32 vcc, s28, v8
	global_store_short_d16_hi v[16:17], v213, off
                                        ; implicit-def: $vgpr213
	s_and_saveexec_b64 s[16:17], vcc
	s_xor_b64 s[16:17], exec, s[16:17]
; %bb.67:                               ;   in Loop: Header=BB40_4 Depth=1
	v_bfe_u32 v8, v240, 16, 1
	v_add3_u32 v213, v240, v8, s29
                                        ; implicit-def: $vgpr240
; %bb.68:                               ;   in Loop: Header=BB40_4 Depth=1
	s_andn2_saveexec_b64 s[16:17], s[16:17]
; %bb.69:                               ;   in Loop: Header=BB40_4 Depth=1
	v_or_b32_e32 v8, 0x10000, v240
	v_cmp_eq_u32_sdwa vcc, v240, v231 src0_sel:WORD_0 src1_sel:DWORD
	s_nop 1
	v_cndmask_b32_e32 v213, v8, v240, vcc
; %bb.70:                               ;   in Loop: Header=BB40_4 Depth=1
	s_or_b64 exec, exec, s[16:17]
	v_add_u32_e32 v230, s7, v230
	v_and_b32_e32 v8, 0x7f800000, v239
	v_lshl_add_u64 v[16:17], v[230:231], 1, s[12:13]
	v_cmp_ne_u32_e32 vcc, s28, v8
	global_store_short_d16_hi v[16:17], v213, off
                                        ; implicit-def: $vgpr213
	s_and_saveexec_b64 s[16:17], vcc
	s_xor_b64 s[16:17], exec, s[16:17]
; %bb.71:                               ;   in Loop: Header=BB40_4 Depth=1
	v_bfe_u32 v8, v239, 16, 1
	v_add3_u32 v213, v239, v8, s29
; %bb.72:                               ;   in Loop: Header=BB40_4 Depth=1
	s_andn2_saveexec_b64 s[16:17], s[16:17]
; %bb.73:                               ;   in Loop: Header=BB40_4 Depth=1
	v_or_b32_e32 v8, 0x10000, v239
	v_cmp_eq_u32_sdwa vcc, v239, v231 src0_sel:WORD_0 src1_sel:DWORD
	s_nop 1
	v_cndmask_b32_e32 v213, v8, v239, vcc
; %bb.74:                               ;   in Loop: Header=BB40_4 Depth=1
	s_or_b64 exec, exec, s[16:17]
	v_add_u32_e32 v230, s7, v230
	v_and_b32_e32 v8, 0x7f800000, v238
	v_lshl_add_u64 v[16:17], v[230:231], 1, s[12:13]
	v_cmp_ne_u32_e32 vcc, s28, v8
	global_store_short_d16_hi v[16:17], v213, off
                                        ; implicit-def: $vgpr213
	s_and_saveexec_b64 s[16:17], vcc
	s_xor_b64 s[16:17], exec, s[16:17]
; %bb.75:                               ;   in Loop: Header=BB40_4 Depth=1
	v_bfe_u32 v8, v238, 16, 1
	v_add3_u32 v213, v238, v8, s29
                                        ; implicit-def: $vgpr238
; %bb.76:                               ;   in Loop: Header=BB40_4 Depth=1
	s_andn2_saveexec_b64 s[16:17], s[16:17]
; %bb.77:                               ;   in Loop: Header=BB40_4 Depth=1
	v_or_b32_e32 v8, 0x10000, v238
	v_cmp_eq_u32_sdwa vcc, v238, v231 src0_sel:WORD_0 src1_sel:DWORD
	s_nop 1
	v_cndmask_b32_e32 v213, v8, v238, vcc
; %bb.78:                               ;   in Loop: Header=BB40_4 Depth=1
	s_or_b64 exec, exec, s[16:17]
	v_add_u32_e32 v230, s7, v230
	v_and_b32_e32 v8, 0x7f800000, v237
	v_lshl_add_u64 v[16:17], v[230:231], 1, s[12:13]
	v_cmp_ne_u32_e32 vcc, s28, v8
	global_store_short_d16_hi v[16:17], v213, off
                                        ; implicit-def: $vgpr213
	s_and_saveexec_b64 s[16:17], vcc
	s_xor_b64 s[16:17], exec, s[16:17]
; %bb.79:                               ;   in Loop: Header=BB40_4 Depth=1
	v_bfe_u32 v8, v237, 16, 1
	v_add3_u32 v213, v237, v8, s29
; %bb.80:                               ;   in Loop: Header=BB40_4 Depth=1
	s_andn2_saveexec_b64 s[16:17], s[16:17]
; %bb.81:                               ;   in Loop: Header=BB40_4 Depth=1
	v_or_b32_e32 v8, 0x10000, v237
	v_cmp_eq_u32_sdwa vcc, v237, v231 src0_sel:WORD_0 src1_sel:DWORD
	s_nop 1
	v_cndmask_b32_e32 v213, v8, v237, vcc
; %bb.82:                               ;   in Loop: Header=BB40_4 Depth=1
	s_or_b64 exec, exec, s[16:17]
	v_add_u32_e32 v230, s7, v230
	v_and_b32_e32 v8, 0x7f800000, v236
	v_lshl_add_u64 v[16:17], v[230:231], 1, s[12:13]
	v_cmp_ne_u32_e32 vcc, s28, v8
	global_store_short_d16_hi v[16:17], v213, off
                                        ; implicit-def: $vgpr213
	s_and_saveexec_b64 s[16:17], vcc
	s_xor_b64 s[16:17], exec, s[16:17]
; %bb.83:                               ;   in Loop: Header=BB40_4 Depth=1
	v_bfe_u32 v8, v236, 16, 1
	v_add3_u32 v213, v236, v8, s29
                                        ; implicit-def: $vgpr236
; %bb.84:                               ;   in Loop: Header=BB40_4 Depth=1
	s_andn2_saveexec_b64 s[16:17], s[16:17]
	s_cbranch_execz .LBB40_2
; %bb.85:                               ;   in Loop: Header=BB40_4 Depth=1
	v_or_b32_e32 v8, 0x10000, v236
	v_cmp_eq_u32_sdwa vcc, v236, v231 src0_sel:WORD_0 src1_sel:DWORD
	s_nop 1
	v_cndmask_b32_e32 v213, v8, v236, vcc
	s_branch .LBB40_2
.LBB40_86:
	s_endpgm
	.section	.rodata,"a",@progbits
	.p2align	6, 0x0
	.amdhsa_kernel _ZN5aiter32wv_splitk_small_fp16_bf16_kernelI14__hip_bfloat16Li64ELi1ELi1ELi8ELi4ELi15EEEviiPKT_S4_PS2_ii
		.amdhsa_group_segment_fixed_size 0
		.amdhsa_private_segment_fixed_size 0
		.amdhsa_kernarg_size 40
		.amdhsa_user_sgpr_count 2
		.amdhsa_user_sgpr_dispatch_ptr 0
		.amdhsa_user_sgpr_queue_ptr 0
		.amdhsa_user_sgpr_kernarg_segment_ptr 1
		.amdhsa_user_sgpr_dispatch_id 0
		.amdhsa_user_sgpr_kernarg_preload_length 0
		.amdhsa_user_sgpr_kernarg_preload_offset 0
		.amdhsa_user_sgpr_private_segment_size 0
		.amdhsa_uses_dynamic_stack 0
		.amdhsa_enable_private_segment 0
		.amdhsa_system_sgpr_workgroup_id_x 1
		.amdhsa_system_sgpr_workgroup_id_y 0
		.amdhsa_system_sgpr_workgroup_id_z 0
		.amdhsa_system_sgpr_workgroup_info 0
		.amdhsa_system_vgpr_workitem_id 1
		.amdhsa_next_free_vgpr 384
		.amdhsa_next_free_sgpr 31
		.amdhsa_accum_offset 256
		.amdhsa_reserve_vcc 1
		.amdhsa_float_round_mode_32 0
		.amdhsa_float_round_mode_16_64 0
		.amdhsa_float_denorm_mode_32 3
		.amdhsa_float_denorm_mode_16_64 3
		.amdhsa_dx10_clamp 1
		.amdhsa_ieee_mode 1
		.amdhsa_fp16_overflow 0
		.amdhsa_tg_split 0
		.amdhsa_exception_fp_ieee_invalid_op 0
		.amdhsa_exception_fp_denorm_src 0
		.amdhsa_exception_fp_ieee_div_zero 0
		.amdhsa_exception_fp_ieee_overflow 0
		.amdhsa_exception_fp_ieee_underflow 0
		.amdhsa_exception_fp_ieee_inexact 0
		.amdhsa_exception_int_div_zero 0
	.end_amdhsa_kernel
	.section	.text._ZN5aiter32wv_splitk_small_fp16_bf16_kernelI14__hip_bfloat16Li64ELi1ELi1ELi8ELi4ELi15EEEviiPKT_S4_PS2_ii,"axG",@progbits,_ZN5aiter32wv_splitk_small_fp16_bf16_kernelI14__hip_bfloat16Li64ELi1ELi1ELi8ELi4ELi15EEEviiPKT_S4_PS2_ii,comdat
.Lfunc_end40:
	.size	_ZN5aiter32wv_splitk_small_fp16_bf16_kernelI14__hip_bfloat16Li64ELi1ELi1ELi8ELi4ELi15EEEviiPKT_S4_PS2_ii, .Lfunc_end40-_ZN5aiter32wv_splitk_small_fp16_bf16_kernelI14__hip_bfloat16Li64ELi1ELi1ELi8ELi4ELi15EEEviiPKT_S4_PS2_ii
                                        ; -- End function
	.section	.AMDGPU.csdata,"",@progbits
; Kernel info:
; codeLenInByte = 15092
; NumSgprs: 37
; NumVgprs: 256
; NumAgprs: 128
; TotalNumVgprs: 384
; ScratchSize: 0
; MemoryBound: 0
; FloatMode: 240
; IeeeMode: 1
; LDSByteSize: 0 bytes/workgroup (compile time only)
; SGPRBlocks: 4
; VGPRBlocks: 47
; NumSGPRsForWavesPerEU: 37
; NumVGPRsForWavesPerEU: 384
; AccumOffset: 256
; Occupancy: 1
; WaveLimiterHint : 0
; COMPUTE_PGM_RSRC2:SCRATCH_EN: 0
; COMPUTE_PGM_RSRC2:USER_SGPR: 2
; COMPUTE_PGM_RSRC2:TRAP_HANDLER: 0
; COMPUTE_PGM_RSRC2:TGID_X_EN: 1
; COMPUTE_PGM_RSRC2:TGID_Y_EN: 0
; COMPUTE_PGM_RSRC2:TGID_Z_EN: 0
; COMPUTE_PGM_RSRC2:TIDIG_COMP_CNT: 1
; COMPUTE_PGM_RSRC3_GFX90A:ACCUM_OFFSET: 63
; COMPUTE_PGM_RSRC3_GFX90A:TG_SPLIT: 0
	.section	.text._ZN5aiter32wv_splitk_small_fp16_bf16_kernelI14__hip_bfloat16Li64ELi1ELi1ELi8ELi4ELi16EEEviiPKT_S4_PS2_ii,"axG",@progbits,_ZN5aiter32wv_splitk_small_fp16_bf16_kernelI14__hip_bfloat16Li64ELi1ELi1ELi8ELi4ELi16EEEviiPKT_S4_PS2_ii,comdat
	.protected	_ZN5aiter32wv_splitk_small_fp16_bf16_kernelI14__hip_bfloat16Li64ELi1ELi1ELi8ELi4ELi16EEEviiPKT_S4_PS2_ii ; -- Begin function _ZN5aiter32wv_splitk_small_fp16_bf16_kernelI14__hip_bfloat16Li64ELi1ELi1ELi8ELi4ELi16EEEviiPKT_S4_PS2_ii
	.globl	_ZN5aiter32wv_splitk_small_fp16_bf16_kernelI14__hip_bfloat16Li64ELi1ELi1ELi8ELi4ELi16EEEviiPKT_S4_PS2_ii
	.p2align	8
	.type	_ZN5aiter32wv_splitk_small_fp16_bf16_kernelI14__hip_bfloat16Li64ELi1ELi1ELi8ELi4ELi16EEEviiPKT_S4_PS2_ii,@function
_ZN5aiter32wv_splitk_small_fp16_bf16_kernelI14__hip_bfloat16Li64ELi1ELi1ELi8ELi4ELi16EEEviiPKT_S4_PS2_ii: ; @_ZN5aiter32wv_splitk_small_fp16_bf16_kernelI14__hip_bfloat16Li64ELi1ELi1ELi8ELi4ELi16EEEviiPKT_S4_PS2_ii
; %bb.0:
	s_load_dwordx2 s[4:5], s[0:1], 0x20
	s_load_dwordx2 s[6:7], s[0:1], 0x0
	v_bfe_u32 v1, v0, 10, 10
	s_waitcnt lgkmcnt(0)
	s_mul_i32 s2, s2, s4
	v_add_u32_e32 v2, s2, v1
	v_accvgpr_write_b32 a0, v2
	v_cmp_gt_u32_e32 vcc, s7, v2
	s_and_saveexec_b64 s[2:3], vcc
	s_cbranch_execz .LBB41_90
; %bb.1:
	v_and_b32_e32 v0, 0x3ff, v0
	s_load_dwordx4 s[8:11], s[0:1], 0x8
	s_load_dwordx2 s[12:13], s[0:1], 0x18
	v_lshlrev_b32_e32 v2, 3, v0
	v_cmp_eq_u32_e64 s[0:1], 63, v0
	v_accvgpr_read_b32 v0, a0
	v_mad_u64_u32 v[0:1], s[2:3], s6, v0, v[2:3]
	v_accvgpr_write_b32 a4, v0
	v_lshl_add_u32 v0, s6, 1, v2
	v_accvgpr_write_b32 a1, v0
	v_mad_u64_u32 v[0:1], s[2:3], s6, 3, v[2:3]
	v_accvgpr_write_b32 a6, v0
	v_lshl_add_u32 v0, s6, 2, v2
	v_accvgpr_write_b32 a3, v0
	v_mad_u64_u32 v[0:1], s[2:3], s6, 5, v[2:3]
	v_accvgpr_write_b32 a8, v0
	v_mad_u64_u32 v[0:1], s[2:3], s6, 6, v[2:3]
	;; [unrolled: 2-line block ×3, first 2 shown]
	v_accvgpr_write_b32 a12, v0
	v_lshl_add_u32 v0, s6, 3, v2
	v_accvgpr_write_b32 a5, v0
	v_mad_u64_u32 v[0:1], s[2:3], s6, 9, v[2:3]
	v_accvgpr_write_b32 a14, v0
	v_mad_u64_u32 v[0:1], s[2:3], s6, 10, v[2:3]
	;; [unrolled: 2-line block ×6, first 2 shown]
	s_cmp_lg_u32 s6, 0
	v_accvgpr_write_b32 a24, v0
	v_mad_u64_u32 v[0:1], s[2:3], s6, 15, v[2:3]
	v_accvgpr_write_b32 a26, v0
	v_add_u32_e32 v0, s6, v2
	s_mul_i32 s24, s5, s4
	v_accvgpr_write_b32 a7, v0
	s_mul_i32 s25, s24, s6
	v_accvgpr_write_b32 a2, v2
	s_cselect_b64 s[2:3], -1, 0
	v_cndmask_b32_e64 v0, 0, 1, s[2:3]
	s_mov_b64 s[14:15], 0
	s_mov_b32 s26, 0x5040100
	s_mov_b32 s27, 0x7060302
	;; [unrolled: 1-line block ×3, first 2 shown]
	s_movk_i32 s29, 0x7fff
	v_mov_b32_e32 v45, 0
	v_cmp_ne_u32_e64 s[2:3], 1, v0
                                        ; implicit-def: $vgpr104
                                        ; implicit-def: $vgpr0
                                        ; implicit-def: $vgpr17
                                        ; implicit-def: $vgpr5
                                        ; implicit-def: $vgpr19
                                        ; implicit-def: $agpr29
                                        ; implicit-def: $vgpr105
                                        ; implicit-def: $vgpr106
                                        ; implicit-def: $vgpr29
                                        ; implicit-def: $vgpr31
                                        ; implicit-def: $vgpr40
                                        ; implicit-def: $vgpr107
                                        ; implicit-def: $vgpr41
                                        ; implicit-def: $vgpr42
                                        ; implicit-def: $agpr30
                                        ; implicit-def: $agpr69
                                        ; implicit-def: $agpr81
                                        ; implicit-def: $vgpr43
                                        ; implicit-def: $vgpr46
                                        ; implicit-def: $vgpr47
                                        ; implicit-def: $agpr32
                                        ; implicit-def: $vgpr33
                                        ; implicit-def: $vgpr38
                                        ; implicit-def: $vgpr8
                                        ; implicit-def: $vgpr13
                                        ; implicit-def: $agpr28
                                        ; implicit-def: $vgpr21
                                        ; implicit-def: $vgpr26
                                        ; implicit-def: $agpr141
                                        ; implicit-def: $vgpr58
                                        ; implicit-def: $vgpr65
                                        ; implicit-def: $agpr55
                                        ; implicit-def: $agpr142
                                        ; implicit-def: $agpr143
                                        ; implicit-def: $vgpr66
                                        ; implicit-def: $vgpr67
                                        ; implicit-def: $vgpr70
                                        ; implicit-def: $agpr144
                                        ; implicit-def: $vgpr71
                                        ; implicit-def: $vgpr90
                                        ; implicit-def: $agpr56
                                        ; implicit-def: $vgpr189
                                        ; implicit-def: $vgpr197
                                        ; implicit-def: $vgpr91
                                        ; implicit-def: $vgpr110
                                        ; implicit-def: $vgpr212
                                        ; implicit-def: $vgpr193
                                        ; implicit-def: $vgpr213
                                        ; implicit-def: $vgpr216
                                        ; implicit-def: $agpr57
                                        ; implicit-def: $vgpr202
                                        ; implicit-def: $vgpr128
                                        ; implicit-def: $vgpr217
                                        ; implicit-def: $vgpr220
                                        ; implicit-def: $vgpr221
                                        ; implicit-def: $vgpr206
                                        ; implicit-def: $vgpr224
                                        ; implicit-def: $vgpr225
                                        ; implicit-def: $agpr59
                                        ; implicit-def: $vgpr214
                                        ; implicit-def: $vgpr219
                                        ; implicit-def: $vgpr236
                                        ; implicit-def: $vgpr237
                                        ; implicit-def: $vgpr238
                                        ; implicit-def: $vgpr208
                                        ; implicit-def: $vgpr239
                                        ; implicit-def: $vgpr240
                                        ; implicit-def: $agpr60
                                        ; implicit-def: $vgpr158
                                        ; implicit-def: $vgpr186
                                        ; implicit-def: $vgpr241
                                        ; implicit-def: $vgpr229
                                        ; implicit-def: $vgpr226
                                        ; implicit-def: $vgpr190
                                        ; implicit-def: $vgpr230
                                        ; implicit-def: $vgpr218
                                        ; implicit-def: $agpr126
                                        ; implicit-def: $vgpr116
                                        ; implicit-def: $vgpr148
                                        ; implicit-def: $vgpr223
                                        ; implicit-def: $vgpr210
                                        ; implicit-def: $vgpr86
                                        ; implicit-def: $agpr9
                                        ; implicit-def: $agpr11
                                        ; implicit-def: $agpr13
                                        ; implicit-def: $agpr15
                                        ; implicit-def: $vgpr222
                                        ; implicit-def: $vgpr207
                                        ; implicit-def: $agpr17
                                        ; implicit-def: $agpr19
                                        ; implicit-def: $agpr21
                                        ; implicit-def: $agpr23
                                        ; implicit-def: $vgpr205
                                        ; implicit-def: $vgpr203
                                        ; implicit-def: $agpr25
                                        ; implicit-def: $agpr27
                                        ; implicit-def: $agpr36
                                        ; implicit-def: $agpr37
                                        ; implicit-def: $vgpr201
                                        ; implicit-def: $vgpr175
                                        ; implicit-def: $agpr38
                                        ; implicit-def: $agpr39
                                        ; implicit-def: $agpr40
                                        ; implicit-def: $agpr41
                                        ; implicit-def: $vgpr173
                                        ; implicit-def: $vgpr151
                                        ; implicit-def: $agpr42
                                        ; implicit-def: $agpr43
                                        ; implicit-def: $agpr44
                                        ; implicit-def: $agpr45
                                        ; implicit-def: $vgpr149
                                        ; implicit-def: $vgpr131
                                        ; implicit-def: $agpr102
                                        ; implicit-def: $agpr103
                                        ; implicit-def: $agpr104
                                        ; implicit-def: $agpr105
                                        ; implicit-def: $vgpr129
                                        ; implicit-def: $vgpr84
                                        ; implicit-def: $agpr109
                                        ; implicit-def: $agpr110
                                        ; implicit-def: $agpr111
                                        ; implicit-def: $agpr112
                                        ; implicit-def: $vgpr174
                                        ; implicit-def: $vgpr87
                                        ; implicit-def: $agpr113
                                        ; implicit-def: $agpr114
                                        ; implicit-def: $agpr115
                                        ; implicit-def: $agpr116
                                        ; implicit-def: $vgpr85
                                        ; implicit-def: $vgpr185
                                        ; implicit-def: $vgpr15
                                        ; implicit-def: $vgpr7
                                        ; implicit-def: $vgpr11
                                        ; implicit-def: $vgpr3
                                        ; implicit-def: $agpr34
                                        ; implicit-def: $agpr31
                                        ; implicit-def: $agpr121
                                        ; implicit-def: $agpr118
                                        ; implicit-def: $vgpr39
                                        ; implicit-def: $vgpr27
                                        ; implicit-def: $vgpr35
                                        ; implicit-def: $vgpr23
                                        ; implicit-def: $agpr61
                                        ; implicit-def: $agpr33
                                        ; implicit-def: $agpr120
                                        ; implicit-def: $agpr117
                                        ; implicit-def: $vgpr103
                                        ; implicit-def: $vgpr127
                                        ; implicit-def: $vgpr98
                                        ; implicit-def: $vgpr122
                                        ; implicit-def: $agpr64
                                        ; implicit-def: $agpr35
                                        ; implicit-def: $agpr119
                                        ; implicit-def: $agpr106
                                        ; implicit-def: $vgpr139
                                        ; implicit-def: $vgpr147
                                        ; implicit-def: $vgpr123
                                        ; implicit-def: $vgpr142
                                        ; implicit-def: $agpr71
                                        ; implicit-def: $agpr63
                                        ; implicit-def: $agpr91
                                        ; implicit-def: $agpr86
                                        ; implicit-def: $vgpr163
                                        ; implicit-def: $vgpr171
                                        ; implicit-def: $vgpr143
                                        ; implicit-def: $vgpr166
                                        ; implicit-def: $agpr73
                                        ; implicit-def: $agpr65
                                        ; implicit-def: $agpr90
                                        ; implicit-def: $agpr85
                                        ; implicit-def: $vgpr183
                                        ; implicit-def: $vgpr119
                                        ; implicit-def: $vgpr167
                                        ; implicit-def: $vgpr211
                                        ; implicit-def: $agpr76
                                        ; implicit-def: $agpr72
                                        ; implicit-def: $agpr89
                                        ; implicit-def: $agpr84
                                        ; implicit-def: $vgpr130
                                        ; implicit-def: $vgpr235
                                        ; implicit-def: $vgpr231
                                        ; implicit-def: $vgpr215
                                        ; implicit-def: $agpr127
                                        ; implicit-def: $agpr75
                                        ; implicit-def: $agpr88
                                        ; implicit-def: $agpr83
                                        ; implicit-def: $vgpr150
                                        ; implicit-def: $vgpr117
                                        ; implicit-def: $vgpr159
                                        ; implicit-def: $vgpr118
                                        ; implicit-def: $agpr128
                                        ; implicit-def: $agpr77
                                        ; implicit-def: $agpr87
                                        ; implicit-def: $agpr82
                                        ; implicit-def: $vgpr59
                                        ; implicit-def: $vgpr78
                                        ; implicit-def: $agpr68
                                        ; implicit-def: $agpr67
                                        ; implicit-def: $agpr125
                                        ; implicit-def: $agpr123
                                        ; implicit-def: $vgpr79
                                        ; implicit-def: $vgpr99
                                        ; implicit-def: $agpr80
                                        ; implicit-def: $agpr79
                                        ; implicit-def: $agpr124
                                        ; implicit-def: $agpr122
                                        ; implicit-def: $vgpr111
                                        ; implicit-def: $vgpr134
                                        ; implicit-def: $agpr140
                                        ; implicit-def: $agpr134
                                        ; implicit-def: $agpr108
                                        ; implicit-def: $agpr107
                                        ; implicit-def: $vgpr135
                                        ; implicit-def: $vgpr154
                                        ; implicit-def: $agpr139
                                        ; implicit-def: $agpr133
                                        ; implicit-def: $agpr101
                                        ; implicit-def: $agpr99
                                        ; implicit-def: $vgpr155
                                        ; implicit-def: $vgpr178
                                        ; implicit-def: $agpr138
                                        ; implicit-def: $agpr132
                                        ; implicit-def: $agpr100
                                        ; implicit-def: $agpr97
                                        ; implicit-def: $vgpr179
                                        ; implicit-def: $vgpr187
                                        ; implicit-def: $agpr137
                                        ; implicit-def: $agpr131
                                        ; implicit-def: $agpr98
                                        ; implicit-def: $agpr95
                                        ; implicit-def: $vgpr209
                                        ; implicit-def: $vgpr191
                                        ; implicit-def: $agpr136
                                        ; implicit-def: $agpr130
                                        ; implicit-def: $agpr96
                                        ; implicit-def: $agpr93
                                        ; implicit-def: $vgpr228
                                        ; implicit-def: $vgpr227
                                        ; implicit-def: $agpr135
                                        ; implicit-def: $agpr129
                                        ; implicit-def: $agpr94
                                        ; implicit-def: $agpr92
                                        ; implicit-def: $vgpr164
                                        ; implicit-def: $vgpr169
                                        ; implicit-def: $vgpr172
                                        ; implicit-def: $vgpr177
                                        ; implicit-def: $vgpr182
                                        ; implicit-def: $vgpr140
                                        ; implicit-def: $vgpr145
                                        ; implicit-def: $agpr74
                                        ; implicit-def: $vgpr153
                                        ; implicit-def: $vgpr162
                                        ; implicit-def: $vgpr120
                                        ; implicit-def: $vgpr125
                                        ; implicit-def: $agpr70
                                        ; implicit-def: $vgpr133
                                        ; implicit-def: $vgpr138
                                        ; implicit-def: $vgpr96
                                        ; implicit-def: $vgpr101
                                        ; implicit-def: $agpr62
                                        ; implicit-def: $vgpr109
                                        ; implicit-def: $vgpr114
                                        ; implicit-def: $vgpr76
                                        ; implicit-def: $vgpr81
                                        ; implicit-def: $agpr58
                                        ; implicit-def: $vgpr89
                                        ; implicit-def: $vgpr94
                                        ; implicit-def: $vgpr56
                                        ; implicit-def: $vgpr61
                                        ; implicit-def: $agpr54
                                        ; implicit-def: $vgpr69
                                        ; implicit-def: $vgpr74
                                        ; implicit-def: $agpr46_agpr47_agpr48_agpr49
                                        ; implicit-def: $agpr50_agpr51_agpr52_agpr53
                                        ; implicit-def: $vgpr48_vgpr49_vgpr50_vgpr51
                                        ; implicit-def: $vgpr52_vgpr53_vgpr54_vgpr55
                                        ; implicit-def: $vgpr204
                                        ; implicit-def: $vgpr200
                                        ; implicit-def: $vgpr196
                                        ; implicit-def: $vgpr192
                                        ; implicit-def: $vgpr188
                                        ; implicit-def: $vgpr184
                                        ; implicit-def: $agpr78
                                        ; implicit-def: $agpr66
	s_branch .LBB41_4
.LBB41_2:                               ;   in Loop: Header=BB41_4 Depth=1
	s_or_b64 exec, exec, s[16:17]
	v_add_u32_e32 v44, s7, v44
	v_lshl_add_u64 v[156:157], v[44:45], 1, s[12:13]
	global_store_short_d16_hi v[156:157], v232, off
.LBB41_3:                               ;   in Loop: Header=BB41_4 Depth=1
	s_or_b64 exec, exec, s[4:5]
	v_accvgpr_read_b32 v156, a11
	v_perm_b32 v156, v10, v156, s26
	v_accvgpr_read_b32 v10, a15
	v_perm_b32 v10, v2, v10, s26
	;; [unrolled: 2-line block ×3, first 2 shown]
	v_accvgpr_write_b32 a19, v2
	v_accvgpr_read_b32 v2, a23
	v_perm_b32 v2, v83, v2, s26
	v_accvgpr_write_b32 a23, v2
	v_accvgpr_read_b32 v2, a27
	v_perm_b32 v2, v63, v2, s26
	;; [unrolled: 3-line block ×5, first 2 shown]
	v_accvgpr_write_b32 a41, v2
	v_accvgpr_read_b32 v2, a157
	v_accvgpr_write_b32 a15, v10
	v_perm_b32 v151, v2, v151, s26
	v_accvgpr_read_b32 v2, a43
	v_accvgpr_read_b32 v10, a156
	v_perm_b32 v2, v10, v2, s26
	v_accvgpr_write_b32 a43, v2
	v_accvgpr_read_b32 v2, a45
	v_accvgpr_read_b32 v10, a155
	v_perm_b32 v2, v10, v2, s26
	v_accvgpr_write_b32 a45, v2
	v_accvgpr_read_b32 v2, a154
	v_perm_b32 v149, v2, v149, s26
	v_accvgpr_read_b32 v2, a153
	v_perm_b32 v131, v2, v131, s26
	v_accvgpr_read_b32 v2, a103
	v_accvgpr_read_b32 v10, a152
	v_perm_b32 v2, v10, v2, s26
	v_accvgpr_write_b32 a103, v2
	v_accvgpr_read_b32 v2, a105
	v_accvgpr_read_b32 v10, a151
	v_perm_b32 v2, v10, v2, s26
	v_accvgpr_write_b32 a105, v2
	v_accvgpr_read_b32 v2, a150
	v_perm_b32 v129, v2, v129, s26
	v_accvgpr_read_b32 v2, a149
	;; [unrolled: 12-line block ×3, first 2 shown]
	v_perm_b32 v87, v2, v87, s26
	v_accvgpr_read_b32 v2, a114
	v_perm_b32 v2, v199, v2, s26
	v_accvgpr_write_b32 a114, v2
	v_accvgpr_read_b32 v2, a116
	v_accvgpr_read_b32 v44, a0
	v_perm_b32 v2, v198, v2, s26
	v_add_u32_e32 v44, s24, v44
	v_accvgpr_write_b32 a116, v2
	v_accvgpr_read_b32 v2, a4
	v_cmp_le_u32_e32 vcc, s7, v44
	v_add_u32_e32 v2, s25, v2
	v_accvgpr_write_b32 a11, v156
	v_perm_b32 v222, v234, v222, s26
	v_perm_b32 v207, v115, v207, s26
	;; [unrolled: 1-line block ×9, first 2 shown]
	v_accvgpr_write_b32 a0, v44
	s_or_b64 s[14:15], vcc, s[14:15]
	v_accvgpr_write_b32 a4, v2
	s_andn2_b64 exec, exec, s[14:15]
	s_cbranch_execz .LBB41_90
.LBB41_4:                               ; =>This Loop Header: Depth=1
                                        ;     Child Loop BB41_10 Depth 2
	s_and_b64 vcc, exec, s[2:3]
	s_cbranch_vccnz .LBB41_24
; %bb.5:                                ;   in Loop: Header=BB41_4 Depth=1
	v_mov_b32_e32 v242, 0
	s_mov_b32 s30, 0
	v_mov_b32_e32 v243, v242
	v_mov_b32_e32 v244, v242
	;; [unrolled: 1-line block ×15, first 2 shown]
	s_branch .LBB41_10
.LBB41_6:                               ;   in Loop: Header=BB41_10 Depth=2
	s_or_b64 exec, exec, s[20:21]
	v_mov_b32_e32 v104, v63
	v_mov_b32_e32 v105, v75
	;; [unrolled: 1-line block ×4, first 2 shown]
.LBB41_7:                               ;   in Loop: Header=BB41_10 Depth=2
	s_or_b64 exec, exec, s[18:19]
.LBB41_8:                               ;   in Loop: Header=BB41_10 Depth=2
	s_or_b64 exec, exec, s[16:17]
.LBB41_9:                               ;   in Loop: Header=BB41_10 Depth=2
	s_or_b64 exec, exec, s[4:5]
	s_addk_i32 s30, 0x800
	s_cmp_ge_u32 s30, s6
	s_cbranch_scc1 .LBB41_23
.LBB41_10:                              ;   Parent Loop BB41_4 Depth=1
                                        ; =>  This Inner Loop Header: Depth=2
	v_accvgpr_read_b32 v2, a2
	v_add_u32_e32 v64, s30, v2
	v_cmp_gt_u32_e32 vcc, s6, v64
	v_add_u32_e32 v234, 0x200, v64
	s_and_saveexec_b64 s[16:17], vcc
	s_cbranch_execz .LBB41_18
; %bb.11:                               ;   in Loop: Header=BB41_10 Depth=2
	v_accvgpr_read_b32 v2, a4
	v_add_u32_e32 v44, s30, v2
	v_accvgpr_read_b32 v2, a7
	v_add_u32_e32 v212, s30, v2
	;; [unrolled: 2-line block ×8, first 2 shown]
	v_accvgpr_read_b32 v2, a5
	s_waitcnt lgkmcnt(0)
	v_lshl_add_u64 v[4:5], v[44:45], 1, s[8:9]
	v_mov_b32_e32 v65, v45
	v_mov_b32_e32 v213, v45
	v_add_u32_e32 v16, s30, v2
	v_accvgpr_read_b32 v2, a14
	global_load_dwordx4 v[52:55], v[4:5], off nt
	v_lshl_add_u64 v[4:5], v[64:65], 1, s[10:11]
	v_lshl_add_u64 v[6:7], v[212:213], 1, s[10:11]
	v_mov_b32_e32 v217, v45
	v_mov_b32_e32 v221, v45
	v_add_u32_e32 v30, s30, v2
	v_accvgpr_read_b32 v2, a16
	global_load_dwordx4 v[72:75], v[4:5], off
	global_load_dwordx4 v[60:63], v[6:7], off
	v_lshl_add_u64 v[4:5], v[216:217], 1, s[10:11]
	v_lshl_add_u64 v[6:7], v[220:221], 1, s[10:11]
	v_mov_b32_e32 v225, v45
	v_mov_b32_e32 v67, v45
	v_add_u32_e32 v236, s30, v2
	v_accvgpr_read_b32 v2, a18
	global_load_dwordx4 v[92:95], v[4:5], off
	global_load_dwordx4 v[80:83], v[6:7], off
	;; [unrolled: 8-line block ×6, first 2 shown]
	v_lshl_add_u64 v[4:5], v[40:41], 1, s[10:11]
	v_lshl_add_u64 v[6:7], v[238:239], 1, s[10:11]
	v_mov_b32_e32 v43, v45
	v_add_u32_e32 v240, s30, v2
	v_mov_b32_e32 v241, v45
	global_load_dwordx4 v[24:27], v[4:5], off
	global_load_dwordx4 v[12:15], v[6:7], off
	v_lshl_add_u64 v[4:5], v[42:43], 1, s[10:11]
	v_lshl_add_u64 v[6:7], v[240:241], 1, s[10:11]
	global_load_dwordx4 v[36:39], v[4:5], off
	s_nop 0
	global_load_dwordx4 v[4:7], v[6:7], off
	v_cmp_gt_u32_e64 s[4:5], s6, v234
	s_and_saveexec_b64 s[18:19], s[4:5]
	s_cbranch_execz .LBB41_17
; %bb.12:                               ;   in Loop: Header=BB41_10 Depth=2
	v_add_u32_e32 v0, 0x200, v44
	v_mov_b32_e32 v1, v45
	v_lshl_add_u64 v[0:1], v[0:1], 1, s[8:9]
	v_mov_b32_e32 v235, v45
	v_add_u32_e32 v2, 0x200, v212
	v_mov_b32_e32 v3, v45
	global_load_dwordx4 v[48:51], v[0:1], off nt
	v_lshl_add_u64 v[0:1], v[234:235], 1, s[10:11]
	v_lshl_add_u64 v[2:3], v[2:3], 1, s[10:11]
	global_load_dwordx4 v[68:71], v[0:1], off
	global_load_dwordx4 v[56:59], v[2:3], off
	v_add_u32_e32 v0, 0x200, v216
	v_mov_b32_e32 v1, v45
	v_add_u32_e32 v2, 0x200, v220
	v_mov_b32_e32 v3, v45
	v_lshl_add_u64 v[0:1], v[0:1], 1, s[10:11]
	v_lshl_add_u64 v[2:3], v[2:3], 1, s[10:11]
	global_load_dwordx4 v[88:91], v[0:1], off
	global_load_dwordx4 v[76:79], v[2:3], off
	v_add_u32_e32 v0, 0x200, v224
	v_mov_b32_e32 v1, v45
	v_add_u32_e32 v2, 0x200, v66
	v_mov_b32_e32 v3, v45
	;; [unrolled: 8-line block ×7, first 2 shown]
	v_lshl_add_u64 v[0:1], v[0:1], 1, s[10:11]
	v_lshl_add_u64 v[2:3], v[2:3], 1, s[10:11]
	global_load_dwordx4 v[32:35], v[0:1], off
	s_nop 0
	global_load_dwordx4 v[0:3], v[2:3], off
	v_add_u32_e32 v86, 0x400, v64
	v_cmp_gt_u32_e64 s[4:5], s6, v86
	s_and_saveexec_b64 s[20:21], s[4:5]
	s_cbranch_execz .LBB41_16
; %bb.13:                               ;   in Loop: Header=BB41_10 Depth=2
	v_add_u32_e32 v84, 0x400, v44
	v_mov_b32_e32 v85, v45
	v_lshl_add_u64 v[84:85], v[84:85], 1, s[8:9]
	v_mov_b32_e32 v87, v45
	global_load_dwordx4 a[50:53], v[84:85], off nt
	v_lshl_add_u64 v[84:85], v[86:87], 1, s[10:11]
	v_add_u32_e32 v86, 0x400, v212
	v_lshl_add_u64 v[86:87], v[86:87], 1, s[10:11]
	global_load_dwordx4 a[54:57], v[84:85], off
	global_load_dwordx4 a[66:69], v[86:87], off
	v_add_u32_e32 v84, 0x400, v216
	v_mov_b32_e32 v85, v45
	v_lshl_add_u64 v[84:85], v[84:85], 1, s[10:11]
	v_add_u32_e32 v86, 0x400, v220
	v_mov_b32_e32 v87, v45
	v_lshl_add_u64 v[86:87], v[86:87], 1, s[10:11]
	global_load_dwordx4 a[58:61], v[84:85], off
	global_load_dwordx4 a[78:81], v[86:87], off
	v_add_u32_e32 v84, 0x400, v224
	v_mov_b32_e32 v85, v45
	v_lshl_add_u64 v[84:85], v[84:85], 1, s[10:11]
	v_add_u32_e32 v86, 0x400, v66
	v_mov_b32_e32 v87, v45
	;; [unrolled: 8-line block ×7, first 2 shown]
	v_lshl_add_u64 v[86:87], v[86:87], 1, s[10:11]
	global_load_dwordx4 a[32:35], v[84:85], off
	global_load_dwordx4 v[204:207], v[86:87], off
	v_add_u32_e32 v208, 0x600, v64
	v_cmp_gt_u32_e64 s[4:5], s6, v208
	s_and_saveexec_b64 s[22:23], s[4:5]
	s_cbranch_execz .LBB41_15
; %bb.14:                               ;   in Loop: Header=BB41_10 Depth=2
	v_add_u32_e32 v44, 0x600, v44
	v_lshl_add_u64 v[84:85], v[44:45], 1, s[8:9]
	v_mov_b32_e32 v209, v45
	global_load_dwordx4 a[46:49], v[84:85], off nt
	v_lshl_add_u64 v[84:85], v[208:209], 1, s[10:11]
	v_add_u32_e32 v44, 0x600, v212
	global_load_dwordx4 v[208:211], v[84:85], off
	v_lshl_add_u64 v[84:85], v[44:45], 1, s[10:11]
	v_add_u32_e32 v44, 0x600, v216
	global_load_dwordx4 v[212:215], v[84:85], off
	;; [unrolled: 3-line block ×4, first 2 shown]
	v_lshl_add_u64 v[84:85], v[44:45], 1, s[10:11]
	v_add_u32_e32 v44, 0x600, v66
	v_lshl_add_u64 v[66:67], v[44:45], 1, s[10:11]
	v_add_u32_e32 v44, 0x600, v28
	;; [unrolled: 2-line block ×3, first 2 shown]
	global_load_dwordx4 v[224:227], v[84:85], off
	global_load_dwordx4 v[228:231], v[66:67], off
	s_nop 0
	global_load_dwordx4 v[84:87], v[28:29], off
	v_lshl_add_u64 v[28:29], v[44:45], 1, s[10:11]
	v_add_u32_e32 v44, 0x600, v16
	v_lshl_add_u64 v[16:17], v[44:45], 1, s[10:11]
	v_add_u32_e32 v44, 0x600, v30
	global_load_dwordx4 v[104:107], v[28:29], off
	global_load_dwordx4 v[116:119], v[16:17], off
	v_lshl_add_u64 v[16:17], v[44:45], 1, s[10:11]
	v_add_u32_e32 v44, 0x600, v236
	global_load_dwordx4 v[28:31], v[16:17], off
	v_lshl_add_u64 v[16:17], v[44:45], 1, s[10:11]
	v_add_u32_e32 v44, 0x600, v18
	;; [unrolled: 3-line block ×3, first 2 shown]
	v_lshl_add_u64 v[40:41], v[44:45], 1, s[10:11]
	v_add_u32_e32 v44, 0x600, v238
	global_load_dwordx4 v[16:19], v[16:17], off
	s_nop 0
	global_load_dwordx4 v[148:151], v[40:41], off
	v_lshl_add_u64 v[40:41], v[44:45], 1, s[10:11]
	v_add_u32_e32 v44, 0x600, v42
	global_load_dwordx4 v[236:239], v[40:41], off
	v_lshl_add_u64 v[40:41], v[44:45], 1, s[10:11]
	v_add_u32_e32 v44, 0x600, v240
	v_lshl_add_u64 v[46:47], v[44:45], 1, s[10:11]
	global_load_dwordx4 v[40:43], v[40:41], off
	s_nop 0
	global_load_dwordx4 v[156:159], v[46:47], off
	s_waitcnt vmcnt(0)
	v_perm_b32 v44, v43, v159, s26
	v_accvgpr_write_b32 a9, v44
	v_perm_b32 v44, v42, v158, s26
	v_accvgpr_write_b32 a11, v44
	;; [unrolled: 2-line block ×3, first 2 shown]
	v_perm_b32 v44, v40, v156, s26
	v_perm_b32 v40, v40, v156, s27
	v_accvgpr_write_b32 a87, v40
	v_perm_b32 v40, v151, v239, s26
	v_accvgpr_write_b32 a17, v40
	;; [unrolled: 2-line block ×12, first 2 shown]
	v_perm_b32 v40, v128, v16, s26
	v_perm_b32 v16, v128, v16, s27
	v_accvgpr_write_b32 a89, v16
	v_perm_b32 v16, v119, v31, s26
	v_accvgpr_write_b32 a38, v16
	;; [unrolled: 2-line block ×39, first 2 shown]
	v_perm_b32 v16, v209, v213, s27
	v_perm_b32 v43, v43, v159, s27
	;; [unrolled: 1-line block ×7, first 2 shown]
	v_accvgpr_write_b32 a125, v16
	v_perm_b32 v16, v208, v212, s27
	v_accvgpr_write_b32 a82, v44
	v_accvgpr_write_b32 a13, v43
	;; [unrolled: 1-line block ×9, first 2 shown]
.LBB41_15:                              ;   in Loop: Header=BB41_10 Depth=2
	s_or_b64 exec, exec, s[22:23]
	s_waitcnt vmcnt(15)
	v_accvgpr_read_b32 v40, a54
	s_waitcnt vmcnt(13)
	v_accvgpr_read_b32 v87, a61
	v_lshrrev_b32_e32 v16, 16, v40
	v_accvgpr_read_b32 v84, a58
	s_waitcnt vmcnt(11)
	v_accvgpr_read_b32 v107, a65
	v_accvgpr_write_b32 a126, v16
	v_lshrrev_b32_e32 v16, 16, v84
	v_accvgpr_read_b32 v104, a62
	s_waitcnt vmcnt(9)
	v_accvgpr_read_b32 v119, a73
	v_accvgpr_read_b32 v86, a60
	v_accvgpr_read_b32 v85, a59
	v_accvgpr_write_b32 a60, v16
	v_lshrrev_b32_e32 v16, 16, v104
	v_accvgpr_read_b32 v116, a70
	s_waitcnt vmcnt(7)
	v_accvgpr_read_b32 v131, a77
	v_accvgpr_write_b32 a59, v16
	v_lshrrev_b32_e32 v16, 16, v116
	v_accvgpr_read_b32 v128, a74
	v_accvgpr_read_b32 v41, a55
	;; [unrolled: 1-line block ×4, first 2 shown]
	v_accvgpr_write_b32 a57, v16
	v_lshrrev_b32_e32 v16, 16, v128
	v_accvgpr_write_b32 a56, v16
	s_waitcnt vmcnt(5)
	v_lshrrev_b32_e32 v16, 16, v172
	v_accvgpr_write_b32 a55, v16
	s_waitcnt vmcnt(3)
	v_accvgpr_read_b32 v16, a28
	v_lshrrev_b32_e32 v16, 16, v16
	s_waitcnt vmcnt(1)
	v_accvgpr_read_b32 v28, a32
	v_accvgpr_read_b32 v17, a29
	;; [unrolled: 1-line block ×4, first 2 shown]
	v_accvgpr_write_b32 a30, v16
	v_accvgpr_read_b32 v30, a34
	v_lshrrev_b32_e32 v16, 16, v28
	v_accvgpr_read_b32 v29, a33
	v_accvgpr_write_b32 a29, v16
	s_waitcnt vmcnt(0)
	v_perm_b32 v16, v30, v206, s26
	v_accvgpr_write_b32 a129, v16
	v_perm_b32 v16, v29, v205, s26
	v_accvgpr_read_b32 v130, a76
	v_accvgpr_read_b32 v129, a75
	v_accvgpr_write_b32 a77, v16
	v_perm_b32 v16, v30, v206, s27
	v_accvgpr_write_b32 a135, v16
	v_perm_b32 v16, v29, v205, s27
	;; [unrolled: 2-line block ×8, first 2 shown]
	v_accvgpr_read_b32 v118, a72
	v_accvgpr_read_b32 v117, a71
	v_accvgpr_write_b32 a72, v16
	v_perm_b32 v16, v174, v198, s27
	v_accvgpr_write_b32 a137, v16
	v_perm_b32 v16, v173, v197, s27
	;; [unrolled: 2-line block ×4, first 2 shown]
	v_accvgpr_read_b32 v106, a64
	v_accvgpr_read_b32 v105, a63
	v_accvgpr_write_b32 a65, v16
	v_perm_b32 v16, v130, v194, s27
	v_accvgpr_write_b32 a138, v16
	v_perm_b32 v16, v129, v193, s27
	;; [unrolled: 2-line block ×8, first 2 shown]
	v_accvgpr_read_b32 v31, a35
	v_accvgpr_write_b32 a35, v16
	v_perm_b32 v16, v106, v186, s27
	v_accvgpr_write_b32 a140, v16
	v_perm_b32 v16, v105, v185, s27
	v_perm_b32 v205, v19, v203, s26
	;; [unrolled: 1-line block ×3, first 2 shown]
	v_accvgpr_write_b32 a64, v16
	v_accvgpr_read_b32 v16, a78
	v_accvgpr_read_b32 v18, a80
	;; [unrolled: 1-line block ×3, first 2 shown]
	v_perm_b32 v16, v86, v18, s26
	v_accvgpr_read_b32 v19, a81
	v_accvgpr_write_b32 a79, v16
	v_perm_b32 v16, v85, v17, s26
	v_accvgpr_write_b32 a33, v16
	v_perm_b32 v16, v86, v18, s27
	;; [unrolled: 2-line block ×3, first 2 shown]
	v_perm_b32 v174, v87, v19, s26
	v_perm_b32 v87, v87, v19, s27
	v_accvgpr_write_b32 a61, v16
	v_accvgpr_read_b32 v16, a66
	v_accvgpr_read_b32 v18, a68
	v_accvgpr_read_b32 v17, a67
	v_perm_b32 v16, v42, v18, s26
	v_accvgpr_read_b32 v19, a69
	v_accvgpr_write_b32 a67, v16
	v_perm_b32 v16, v41, v17, s26
	v_accvgpr_write_b32 a31, v16
	v_perm_b32 v16, v42, v18, s27
	;; [unrolled: 2-line block ×3, first 2 shown]
	v_perm_b32 v222, v31, v207, s26
	v_perm_b32 v207, v31, v207, s27
	;; [unrolled: 1-line block ×12, first 2 shown]
	v_accvgpr_write_b32 a34, v16
.LBB41_16:                              ;   in Loop: Header=BB41_10 Depth=2
	s_or_b64 exec, exec, s[20:21]
	s_waitcnt vmcnt(6)
	v_lshrrev_b32_e32 v16, 16, v140
	v_accvgpr_write_b32 a144, v16
	s_waitcnt vmcnt(5)
	v_lshrrev_b32_e32 v16, 16, v176
	v_accvgpr_write_b32 a143, v16
	v_lshrrev_b32_e32 v16, 16, v177
	v_accvgpr_write_b32 a142, v16
	s_waitcnt vmcnt(4)
	v_lshrrev_b32_e32 v16, 16, v164
	v_accvgpr_write_b32 a141, v16
	s_waitcnt vmcnt(3)
	v_lshrrev_b32_e32 v16, 16, v20
	v_accvgpr_write_b32 a81, v16
	v_lshrrev_b32_e32 v16, 16, v21
	v_lshrrev_b32_e32 v148, 16, v68
	;; [unrolled: 1-line block ×15, first 2 shown]
	v_accvgpr_write_b32 a69, v16
	s_waitcnt vmcnt(2)
	v_lshrrev_b32_e32 v107, 16, v8
	s_waitcnt vmcnt(1)
	v_lshrrev_b32_e32 v106, 16, v32
	v_lshrrev_b32_e32 v105, 16, v33
	s_waitcnt vmcnt(0)
	v_lshrrev_b32_e32 v104, 16, v0
	v_perm_b32 v227, v35, v3, s26
	v_perm_b32 v118, v34, v2, s26
	;; [unrolled: 1-line block ×32, first 2 shown]
.LBB41_17:                              ;   in Loop: Header=BB41_10 Depth=2
	s_or_b64 exec, exec, s[18:19]
	s_waitcnt vmcnt(15)
	v_lshrrev_b32_e32 v86, 16, v72
	v_lshrrev_b32_e32 v210, 16, v73
	v_lshrrev_b32_e32 v223, 16, v74
	s_waitcnt vmcnt(14)
	v_lshrrev_b32_e32 v218, 16, v60
	v_lshrrev_b32_e32 v230, 16, v61
	s_waitcnt vmcnt(13)
	v_lshrrev_b32_e32 v226, 16, v92
	v_lshrrev_b32_e32 v229, 16, v93
	v_lshrrev_b32_e32 v241, 16, v94
	s_waitcnt vmcnt(12)
	v_lshrrev_b32_e32 v240, 16, v80
	v_lshrrev_b32_e32 v239, 16, v81
	;; [unrolled: 7-line block ×8, first 2 shown]
	v_perm_b32 v117, v39, v7, s26
	v_perm_b32 v150, v39, v7, s27
	;; [unrolled: 1-line block ×16, first 2 shown]
.LBB41_18:                              ;   in Loop: Header=BB41_10 Depth=2
	s_or_b64 exec, exec, s[16:17]
	s_and_saveexec_b64 s[4:5], vcc
	s_cbranch_execz .LBB41_9
; %bb.19:                               ;   in Loop: Header=BB41_10 Depth=2
	v_lshlrev_b32_e32 v34, 16, v52
	v_lshlrev_b32_e32 v157, 16, v72
	;; [unrolled: 1-line block ×3, first 2 shown]
	v_and_b32_e32 v30, 0xffff0000, v52
	v_lshlrev_b32_e32 v195, 16, v86
	v_lshlrev_b32_e32 v28, 16, v53
	;; [unrolled: 1-line block ×3, first 2 shown]
	v_pk_mul_f32 v[156:157], v[34:35], v[156:157] op_sel_hi:[0,1]
	v_lshlrev_b32_e32 v199, 16, v73
	v_lshlrev_b32_e32 v198, 16, v61
	v_and_b32_e32 v22, 0xffff0000, v53
	v_pk_mul_f32 v[194:195], v[30:31], v[194:195] op_sel_hi:[0,1]
	v_pk_fma_f32 v[156:157], v[198:199], v[28:29], v[156:157] op_sel_hi:[1,0,1]
	v_lshlrev_b32_e32 v199, 16, v210
	v_lshlrev_b32_e32 v198, 16, v230
	;; [unrolled: 1-line block ×3, first 2 shown]
	v_pk_fma_f32 v[194:195], v[198:199], v[22:23], v[194:195] op_sel_hi:[1,0,1]
	v_lshlrev_b32_e32 v199, 16, v74
	v_lshlrev_b32_e32 v198, 16, v62
	v_and_b32_e32 v16, 0xffff0000, v54
	v_pk_fma_f32 v[156:157], v[198:199], v[18:19], v[156:157] op_sel_hi:[1,0,1]
	v_and_b32_e32 v198, 0xffff0000, v62
	v_lshlrev_b32_e32 v199, 16, v223
	v_lshlrev_b32_e32 v10, 16, v55
	v_pk_fma_f32 v[194:195], v[198:199], v[16:17], v[194:195] op_sel_hi:[1,0,1]
	v_and_b32_e32 v199, 0xffff0000, v7
	v_lshlrev_b32_e32 v198, 16, v7
	v_and_b32_e32 v2, 0xffff0000, v55
	v_pk_fma_f32 v[156:157], v[198:199], v[10:11], v[156:157] op_sel_hi:[1,0,1]
	v_and_b32_e32 v199, 0xffff0000, v15
	v_lshlrev_b32_e32 v198, 16, v15
	v_pk_fma_f32 v[194:195], v[198:199], v[2:3], v[194:195] op_sel_hi:[1,0,1]
	v_lshlrev_b32_e32 v199, 16, v93
	v_pk_add_f32 v[156:157], v[156:157], v[194:195]
	v_lshlrev_b32_e32 v195, 16, v226
	v_pk_add_f32 v[232:233], v[156:157], v[232:233]
	v_lshlrev_b32_e32 v157, 16, v92
	v_lshlrev_b32_e32 v156, 16, v80
	v_lshlrev_b32_e32 v194, 16, v240
	v_pk_mul_f32 v[156:157], v[34:35], v[156:157] op_sel_hi:[0,1]
	v_lshlrev_b32_e32 v198, 16, v81
	v_pk_mul_f32 v[194:195], v[30:31], v[194:195] op_sel_hi:[0,1]
	v_pk_fma_f32 v[156:157], v[198:199], v[28:29], v[156:157] op_sel_hi:[1,0,1]
	v_lshlrev_b32_e32 v199, 16, v229
	v_lshlrev_b32_e32 v198, 16, v239
	v_pk_fma_f32 v[194:195], v[198:199], v[22:23], v[194:195] op_sel_hi:[1,0,1]
	v_lshlrev_b32_e32 v199, 16, v94
	v_lshlrev_b32_e32 v198, 16, v82
	v_pk_fma_f32 v[156:157], v[198:199], v[18:19], v[156:157] op_sel_hi:[1,0,1]
	v_and_b32_e32 v198, 0xffff0000, v82
	v_lshlrev_b32_e32 v199, 16, v241
	v_pk_fma_f32 v[194:195], v[198:199], v[16:17], v[194:195] op_sel_hi:[1,0,1]
	v_and_b32_e32 v199, 0xffff0000, v27
	v_lshlrev_b32_e32 v198, 16, v27
	v_pk_fma_f32 v[156:157], v[198:199], v[10:11], v[156:157] op_sel_hi:[1,0,1]
	v_and_b32_e32 v199, 0xffff0000, v39
	v_lshlrev_b32_e32 v198, 16, v39
	v_pk_fma_f32 v[194:195], v[198:199], v[2:3], v[194:195] op_sel_hi:[1,0,1]
	v_lshlrev_b32_e32 v199, 16, v113
	v_pk_add_f32 v[156:157], v[156:157], v[194:195]
	v_lshlrev_b32_e32 v195, 16, v238
	v_pk_add_f32 v[254:255], v[156:157], v[254:255]
	v_lshlrev_b32_e32 v157, 16, v112
	v_lshlrev_b32_e32 v156, 16, v100
	v_lshlrev_b32_e32 v194, 16, v225
	v_pk_mul_f32 v[156:157], v[34:35], v[156:157] op_sel_hi:[0,1]
	v_lshlrev_b32_e32 v198, 16, v101
	v_pk_mul_f32 v[194:195], v[30:31], v[194:195] op_sel_hi:[0,1]
	v_pk_fma_f32 v[156:157], v[198:199], v[28:29], v[156:157] op_sel_hi:[1,0,1]
	v_lshlrev_b32_e32 v199, 16, v237
	v_lshlrev_b32_e32 v198, 16, v224
	v_pk_fma_f32 v[194:195], v[198:199], v[22:23], v[194:195] op_sel_hi:[1,0,1]
	v_lshlrev_b32_e32 v199, 16, v114
	v_lshlrev_b32_e32 v198, 16, v102
	v_pk_fma_f32 v[156:157], v[198:199], v[18:19], v[156:157] op_sel_hi:[1,0,1]
	v_and_b32_e32 v198, 0xffff0000, v102
	v_lshlrev_b32_e32 v199, 16, v236
	v_pk_fma_f32 v[194:195], v[198:199], v[16:17], v[194:195] op_sel_hi:[1,0,1]
	v_and_b32_e32 v199, 0xffff0000, v127
	v_lshlrev_b32_e32 v198, 16, v127
	;; [unrolled: 26-line block ×7, first 2 shown]
	v_pk_fma_f32 v[156:157], v[198:199], v[10:11], v[156:157] op_sel_hi:[1,0,1]
	v_and_b32_e32 v199, 0xffff0000, v150
	v_lshlrev_b32_e32 v198, 16, v150
	v_pk_fma_f32 v[194:195], v[198:199], v[2:3], v[194:195] op_sel_hi:[1,0,1]
	v_cmp_gt_u32_e32 vcc, s6, v234
	v_pk_add_f32 v[156:157], v[156:157], v[194:195]
	s_nop 0
	v_pk_add_f32 v[242:243], v[156:157], v[242:243]
	s_and_saveexec_b64 s[16:17], vcc
	s_cbranch_execz .LBB41_8
; %bb.20:                               ;   in Loop: Header=BB41_10 Depth=2
	v_lshlrev_b32_e32 v34, 16, v48
	v_lshlrev_b32_e32 v157, 16, v68
	;; [unrolled: 1-line block ×3, first 2 shown]
	v_and_b32_e32 v30, 0xffff0000, v48
	v_lshlrev_b32_e32 v28, 16, v49
	v_pk_mul_f32 v[156:157], v[34:35], v[156:157] op_sel_hi:[0,1]
	v_lshlrev_b32_e32 v195, 16, v148
	v_lshlrev_b32_e32 v194, 16, v190
	;; [unrolled: 1-line block ×4, first 2 shown]
	v_and_b32_e32 v22, 0xffff0000, v49
	v_pk_mul_f32 v[194:195], v[30:31], v[194:195] op_sel_hi:[0,1]
	v_pk_fma_f32 v[156:157], v[198:199], v[28:29], v[156:157] op_sel_hi:[1,0,1]
	v_and_b32_e32 v198, 0xffff0000, v57
	v_lshlrev_b32_e32 v199, 16, v116
	v_lshlrev_b32_e32 v18, 16, v50
	v_pk_fma_f32 v[194:195], v[198:199], v[22:23], v[194:195] op_sel_hi:[1,0,1]
	v_and_b32_e32 v199, 0xffff0000, v3
	v_lshlrev_b32_e32 v198, 16, v3
	v_and_b32_e32 v16, 0xffff0000, v50
	v_pk_fma_f32 v[156:157], v[198:199], v[18:19], v[156:157] op_sel_hi:[1,0,1]
	v_and_b32_e32 v199, 0xffff0000, v11
	v_lshlrev_b32_e32 v198, 16, v11
	v_lshlrev_b32_e32 v10, 16, v51
	v_pk_fma_f32 v[194:195], v[198:199], v[16:17], v[194:195] op_sel_hi:[1,0,1]
	v_and_b32_e32 v199, 0xffff0000, v78
	v_lshlrev_b32_e32 v198, 16, v78
	v_and_b32_e32 v2, 0xffff0000, v51
	v_pk_fma_f32 v[156:157], v[198:199], v[10:11], v[156:157] op_sel_hi:[1,0,1]
	v_and_b32_e32 v199, 0xffff0000, v59
	v_lshlrev_b32_e32 v198, 16, v59
	v_pk_fma_f32 v[194:195], v[198:199], v[2:3], v[194:195] op_sel_hi:[1,0,1]
	v_lshlrev_b32_e32 v199, 16, v89
	v_pk_add_f32 v[156:157], v[156:157], v[194:195]
	v_lshlrev_b32_e32 v195, 16, v186
	v_pk_add_f32 v[232:233], v[156:157], v[232:233]
	v_lshlrev_b32_e32 v157, 16, v88
	v_lshlrev_b32_e32 v156, 16, v76
	v_pk_mul_f32 v[156:157], v[34:35], v[156:157] op_sel_hi:[0,1]
	v_lshlrev_b32_e32 v194, 16, v208
	v_lshlrev_b32_e32 v198, 16, v77
	v_pk_mul_f32 v[194:195], v[30:31], v[194:195] op_sel_hi:[0,1]
	v_pk_fma_f32 v[156:157], v[198:199], v[28:29], v[156:157] op_sel_hi:[1,0,1]
	v_and_b32_e32 v198, 0xffff0000, v77
	v_lshlrev_b32_e32 v199, 16, v158
	v_pk_fma_f32 v[194:195], v[198:199], v[22:23], v[194:195] op_sel_hi:[1,0,1]
	v_and_b32_e32 v199, 0xffff0000, v23
	v_lshlrev_b32_e32 v198, 16, v23
	v_pk_fma_f32 v[156:157], v[198:199], v[18:19], v[156:157] op_sel_hi:[1,0,1]
	v_and_b32_e32 v199, 0xffff0000, v35
	v_lshlrev_b32_e32 v198, 16, v35
	v_pk_fma_f32 v[194:195], v[198:199], v[16:17], v[194:195] op_sel_hi:[1,0,1]
	v_and_b32_e32 v199, 0xffff0000, v99
	v_lshlrev_b32_e32 v198, 16, v99
	v_pk_fma_f32 v[156:157], v[198:199], v[10:11], v[156:157] op_sel_hi:[1,0,1]
	v_and_b32_e32 v199, 0xffff0000, v79
	v_lshlrev_b32_e32 v198, 16, v79
	v_pk_fma_f32 v[194:195], v[198:199], v[2:3], v[194:195] op_sel_hi:[1,0,1]
	v_lshlrev_b32_e32 v199, 16, v109
	v_pk_add_f32 v[156:157], v[156:157], v[194:195]
	v_lshlrev_b32_e32 v195, 16, v219
	v_pk_add_f32 v[254:255], v[156:157], v[254:255]
	v_lshlrev_b32_e32 v157, 16, v108
	v_lshlrev_b32_e32 v156, 16, v96
	v_pk_mul_f32 v[156:157], v[34:35], v[156:157] op_sel_hi:[0,1]
	v_lshlrev_b32_e32 v194, 16, v206
	v_lshlrev_b32_e32 v198, 16, v97
	v_pk_mul_f32 v[194:195], v[30:31], v[194:195] op_sel_hi:[0,1]
	v_pk_fma_f32 v[156:157], v[198:199], v[28:29], v[156:157] op_sel_hi:[1,0,1]
	v_and_b32_e32 v198, 0xffff0000, v97
	v_lshlrev_b32_e32 v199, 16, v214
	v_pk_fma_f32 v[194:195], v[198:199], v[22:23], v[194:195] op_sel_hi:[1,0,1]
	v_and_b32_e32 v199, 0xffff0000, v122
	v_lshlrev_b32_e32 v198, 16, v122
	v_pk_fma_f32 v[156:157], v[198:199], v[18:19], v[156:157] op_sel_hi:[1,0,1]
	v_and_b32_e32 v199, 0xffff0000, v98
	v_lshlrev_b32_e32 v198, 16, v98
	v_pk_fma_f32 v[194:195], v[198:199], v[16:17], v[194:195] op_sel_hi:[1,0,1]
	v_and_b32_e32 v199, 0xffff0000, v134
	v_lshlrev_b32_e32 v198, 16, v134
	;; [unrolled: 26-line block ×3, first 2 shown]
	v_pk_fma_f32 v[156:157], v[198:199], v[10:11], v[156:157] op_sel_hi:[1,0,1]
	v_and_b32_e32 v199, 0xffff0000, v135
	v_lshlrev_b32_e32 v198, 16, v135
	v_pk_fma_f32 v[194:195], v[198:199], v[2:3], v[194:195] op_sel_hi:[1,0,1]
	v_accvgpr_read_b32 v44, a144
	v_pk_add_f32 v[156:157], v[156:157], v[194:195]
	v_lshlrev_b32_e32 v195, 16, v197
	v_pk_add_f32 v[250:251], v[156:157], v[250:251]
	v_lshlrev_b32_e32 v157, 16, v152
	v_lshlrev_b32_e32 v156, 16, v140
	v_pk_mul_f32 v[156:157], v[34:35], v[156:157] op_sel_hi:[0,1]
	v_lshlrev_b32_e32 v194, 16, v44
	v_lshlrev_b32_e32 v199, 16, v153
	v_lshlrev_b32_e32 v198, 16, v141
	v_pk_mul_f32 v[194:195], v[30:31], v[194:195] op_sel_hi:[0,1]
	v_pk_fma_f32 v[156:157], v[198:199], v[28:29], v[156:157] op_sel_hi:[1,0,1]
	v_and_b32_e32 v198, 0xffff0000, v141
	v_lshlrev_b32_e32 v199, 16, v189
	v_pk_fma_f32 v[194:195], v[198:199], v[22:23], v[194:195] op_sel_hi:[1,0,1]
	v_and_b32_e32 v199, 0xffff0000, v166
	v_lshlrev_b32_e32 v198, 16, v166
	;; [unrolled: 3-line block ×5, first 2 shown]
	v_pk_fma_f32 v[194:195], v[198:199], v[2:3], v[194:195] op_sel_hi:[1,0,1]
	v_accvgpr_read_b32 v44, a143
	v_pk_add_f32 v[156:157], v[156:157], v[194:195]
	v_lshlrev_b32_e32 v195, 16, v44
	v_pk_add_f32 v[248:249], v[156:157], v[248:249]
	v_lshlrev_b32_e32 v157, 16, v176
	v_lshlrev_b32_e32 v156, 16, v164
	v_accvgpr_read_b32 v44, a141
	v_pk_mul_f32 v[156:157], v[34:35], v[156:157] op_sel_hi:[0,1]
	v_lshlrev_b32_e32 v194, 16, v44
	v_lshlrev_b32_e32 v199, 16, v177
	;; [unrolled: 1-line block ×3, first 2 shown]
	v_accvgpr_read_b32 v44, a142
	v_pk_mul_f32 v[194:195], v[30:31], v[194:195] op_sel_hi:[0,1]
	v_pk_fma_f32 v[156:157], v[198:199], v[28:29], v[156:157] op_sel_hi:[1,0,1]
	v_and_b32_e32 v198, 0xffff0000, v165
	v_lshlrev_b32_e32 v199, 16, v44
	v_pk_fma_f32 v[194:195], v[198:199], v[22:23], v[194:195] op_sel_hi:[1,0,1]
	v_and_b32_e32 v199, 0xffff0000, v211
	v_lshlrev_b32_e32 v198, 16, v211
	;; [unrolled: 3-line block ×5, first 2 shown]
	v_pk_fma_f32 v[194:195], v[198:199], v[2:3], v[194:195] op_sel_hi:[1,0,1]
	v_accvgpr_read_b32 v44, a81
	v_pk_add_f32 v[156:157], v[156:157], v[194:195]
	v_lshlrev_b32_e32 v195, 16, v44
	v_pk_add_f32 v[246:247], v[156:157], v[246:247]
	v_lshlrev_b32_e32 v157, 16, v20
	v_lshlrev_b32_e32 v156, 16, v8
	v_pk_mul_f32 v[156:157], v[34:35], v[156:157] op_sel_hi:[0,1]
	v_lshlrev_b32_e32 v194, 16, v107
	v_lshlrev_b32_e32 v199, 16, v21
	;; [unrolled: 1-line block ×3, first 2 shown]
	v_accvgpr_read_b32 v44, a69
	v_pk_mul_f32 v[194:195], v[30:31], v[194:195] op_sel_hi:[0,1]
	v_pk_fma_f32 v[156:157], v[198:199], v[28:29], v[156:157] op_sel_hi:[1,0,1]
	v_and_b32_e32 v198, 0xffff0000, v9
	v_lshlrev_b32_e32 v199, 16, v44
	v_pk_fma_f32 v[194:195], v[198:199], v[22:23], v[194:195] op_sel_hi:[1,0,1]
	v_and_b32_e32 v199, 0xffff0000, v215
	v_lshlrev_b32_e32 v198, 16, v215
	;; [unrolled: 3-line block ×5, first 2 shown]
	v_pk_fma_f32 v[194:195], v[198:199], v[2:3], v[194:195] op_sel_hi:[1,0,1]
	v_lshlrev_b32_e32 v199, 16, v33
	v_pk_add_f32 v[156:157], v[156:157], v[194:195]
	v_lshlrev_b32_e32 v195, 16, v106
	v_pk_add_f32 v[244:245], v[156:157], v[244:245]
	v_lshlrev_b32_e32 v157, 16, v32
	v_lshlrev_b32_e32 v156, 16, v0
	v_pk_mul_f32 v[156:157], v[34:35], v[156:157] op_sel_hi:[0,1]
	v_lshlrev_b32_e32 v194, 16, v104
	v_lshlrev_b32_e32 v198, 16, v1
	v_pk_mul_f32 v[194:195], v[30:31], v[194:195] op_sel_hi:[0,1]
	v_pk_fma_f32 v[156:157], v[198:199], v[28:29], v[156:157] op_sel_hi:[1,0,1]
	v_and_b32_e32 v198, 0xffff0000, v1
	v_lshlrev_b32_e32 v199, 16, v105
	v_pk_fma_f32 v[194:195], v[198:199], v[22:23], v[194:195] op_sel_hi:[1,0,1]
	v_and_b32_e32 v199, 0xffff0000, v118
	v_lshlrev_b32_e32 v198, 16, v118
	;; [unrolled: 3-line block ×5, first 2 shown]
	v_pk_fma_f32 v[194:195], v[198:199], v[2:3], v[194:195] op_sel_hi:[1,0,1]
	v_add_u32_e32 v2, 0x400, v64
	v_pk_add_f32 v[156:157], v[156:157], v[194:195]
	v_cmp_gt_u32_e32 vcc, s6, v2
	v_pk_add_f32 v[242:243], v[156:157], v[242:243]
	s_and_saveexec_b64 s[18:19], vcc
	s_cbranch_execz .LBB41_7
; %bb.21:                               ;   in Loop: Header=BB41_10 Depth=2
	v_accvgpr_read_b32 v44, a54
	v_mov_b32_e32 v95, v107
	v_mov_b32_e32 v83, v106
	;; [unrolled: 1-line block ×4, first 2 shown]
	v_accvgpr_read_b32 v107, a53
	v_lshlrev_b32_e32 v157, 16, v44
	v_accvgpr_read_b32 v44, a66
	v_accvgpr_read_b32 v104, a50
	v_lshlrev_b32_e32 v156, 16, v44
	v_and_b32_e32 v194, 0xffff0000, v44
	v_accvgpr_read_b32 v44, a126
	v_accvgpr_read_b32 v105, a51
	v_lshlrev_b32_e32 v34, 16, v104
	v_lshlrev_b32_e32 v195, 16, v44
	v_accvgpr_read_b32 v44, a31
	v_and_b32_e32 v30, 0xffff0000, v104
	v_lshlrev_b32_e32 v28, 16, v105
	v_pk_mul_f32 v[156:157], v[34:35], v[156:157] op_sel_hi:[0,1]
	v_and_b32_e32 v199, 0xffff0000, v44
	v_lshlrev_b32_e32 v198, 16, v44
	v_accvgpr_read_b32 v44, a34
	v_accvgpr_read_b32 v106, a52
	v_and_b32_e32 v22, 0xffff0000, v105
	v_pk_mul_f32 v[194:195], v[30:31], v[194:195] op_sel_hi:[0,1]
	v_pk_fma_f32 v[156:157], v[198:199], v[28:29], v[156:157] op_sel_hi:[1,0,1]
	v_and_b32_e32 v199, 0xffff0000, v44
	v_lshlrev_b32_e32 v198, 16, v44
	v_accvgpr_read_b32 v44, a67
	v_lshlrev_b32_e32 v18, 16, v106
	v_pk_fma_f32 v[194:195], v[198:199], v[22:23], v[194:195] op_sel_hi:[1,0,1]
	v_and_b32_e32 v199, 0xffff0000, v44
	v_lshlrev_b32_e32 v198, 16, v44
	v_accvgpr_read_b32 v44, a68
	v_and_b32_e32 v16, 0xffff0000, v106
	v_pk_fma_f32 v[156:157], v[198:199], v[18:19], v[156:157] op_sel_hi:[1,0,1]
	v_and_b32_e32 v199, 0xffff0000, v44
	v_lshlrev_b32_e32 v198, 16, v44
	v_lshlrev_b32_e32 v10, 16, v107
	v_pk_fma_f32 v[194:195], v[198:199], v[16:17], v[194:195] op_sel_hi:[1,0,1]
	v_and_b32_e32 v199, 0xffff0000, v85
	v_lshlrev_b32_e32 v198, 16, v85
	v_and_b32_e32 v2, 0xffff0000, v107
	v_pk_fma_f32 v[156:157], v[198:199], v[10:11], v[156:157] op_sel_hi:[1,0,1]
	v_and_b32_e32 v199, 0xffff0000, v185
	v_lshlrev_b32_e32 v198, 16, v185
	v_pk_fma_f32 v[194:195], v[198:199], v[2:3], v[194:195] op_sel_hi:[1,0,1]
	v_accvgpr_read_b32 v44, a58
	v_pk_add_f32 v[156:157], v[156:157], v[194:195]
	s_nop 0
	v_pk_add_f32 v[232:233], v[156:157], v[232:233]
	v_lshlrev_b32_e32 v157, 16, v44
	v_accvgpr_read_b32 v44, a78
	v_lshlrev_b32_e32 v156, 16, v44
	v_and_b32_e32 v194, 0xffff0000, v44
	v_accvgpr_read_b32 v44, a60
	v_lshlrev_b32_e32 v195, 16, v44
	v_accvgpr_read_b32 v44, a33
	v_pk_mul_f32 v[156:157], v[34:35], v[156:157] op_sel_hi:[0,1]
	v_and_b32_e32 v199, 0xffff0000, v44
	v_lshlrev_b32_e32 v198, 16, v44
	v_accvgpr_read_b32 v44, a61
	v_pk_mul_f32 v[194:195], v[30:31], v[194:195] op_sel_hi:[0,1]
	v_pk_fma_f32 v[156:157], v[198:199], v[28:29], v[156:157] op_sel_hi:[1,0,1]
	v_and_b32_e32 v199, 0xffff0000, v44
	v_lshlrev_b32_e32 v198, 16, v44
	v_accvgpr_read_b32 v44, a79
	v_pk_fma_f32 v[194:195], v[198:199], v[22:23], v[194:195] op_sel_hi:[1,0,1]
	v_and_b32_e32 v199, 0xffff0000, v44
	v_lshlrev_b32_e32 v198, 16, v44
	v_accvgpr_read_b32 v44, a80
	v_pk_fma_f32 v[156:157], v[198:199], v[18:19], v[156:157] op_sel_hi:[1,0,1]
	v_and_b32_e32 v199, 0xffff0000, v44
	v_lshlrev_b32_e32 v198, 16, v44
	v_pk_fma_f32 v[194:195], v[198:199], v[16:17], v[194:195] op_sel_hi:[1,0,1]
	v_and_b32_e32 v199, 0xffff0000, v174
	v_lshlrev_b32_e32 v198, 16, v174
	v_pk_fma_f32 v[156:157], v[198:199], v[10:11], v[156:157] op_sel_hi:[1,0,1]
	v_and_b32_e32 v199, 0xffff0000, v87
	v_lshlrev_b32_e32 v198, 16, v87
	v_pk_fma_f32 v[194:195], v[198:199], v[2:3], v[194:195] op_sel_hi:[1,0,1]
	v_accvgpr_read_b32 v44, a62
	v_pk_add_f32 v[156:157], v[156:157], v[194:195]
	v_and_b32_e32 v194, 0xffff0000, v184
	v_pk_add_f32 v[254:255], v[156:157], v[254:255]
	v_lshlrev_b32_e32 v157, 16, v44
	v_accvgpr_read_b32 v44, a59
	v_lshlrev_b32_e32 v156, 16, v184
	v_lshlrev_b32_e32 v195, 16, v44
	v_accvgpr_read_b32 v44, a35
	v_pk_mul_f32 v[156:157], v[34:35], v[156:157] op_sel_hi:[0,1]
	v_and_b32_e32 v199, 0xffff0000, v44
	v_lshlrev_b32_e32 v198, 16, v44
	v_accvgpr_read_b32 v44, a64
	v_pk_mul_f32 v[194:195], v[30:31], v[194:195] op_sel_hi:[0,1]
	v_pk_fma_f32 v[156:157], v[198:199], v[28:29], v[156:157] op_sel_hi:[1,0,1]
	v_and_b32_e32 v199, 0xffff0000, v44
	v_lshlrev_b32_e32 v198, 16, v44
	v_accvgpr_read_b32 v44, a134
	v_pk_fma_f32 v[194:195], v[198:199], v[22:23], v[194:195] op_sel_hi:[1,0,1]
	v_and_b32_e32 v199, 0xffff0000, v44
	v_lshlrev_b32_e32 v198, 16, v44
	v_accvgpr_read_b32 v44, a140
	v_pk_fma_f32 v[156:157], v[198:199], v[18:19], v[156:157] op_sel_hi:[1,0,1]
	v_and_b32_e32 v199, 0xffff0000, v44
	v_lshlrev_b32_e32 v198, 16, v44
	v_pk_fma_f32 v[194:195], v[198:199], v[16:17], v[194:195] op_sel_hi:[1,0,1]
	v_and_b32_e32 v199, 0xffff0000, v129
	v_lshlrev_b32_e32 v198, 16, v129
	v_pk_fma_f32 v[156:157], v[198:199], v[10:11], v[156:157] op_sel_hi:[1,0,1]
	v_and_b32_e32 v199, 0xffff0000, v84
	v_lshlrev_b32_e32 v198, 16, v84
	v_pk_fma_f32 v[194:195], v[198:199], v[2:3], v[194:195] op_sel_hi:[1,0,1]
	v_accvgpr_read_b32 v44, a70
	v_pk_add_f32 v[156:157], v[156:157], v[194:195]
	v_and_b32_e32 v194, 0xffff0000, v188
	v_pk_add_f32 v[252:253], v[156:157], v[252:253]
	v_lshlrev_b32_e32 v157, 16, v44
	v_accvgpr_read_b32 v44, a57
	v_lshlrev_b32_e32 v156, 16, v188
	;; [unrolled: 32-line block ×3, first 2 shown]
	v_lshlrev_b32_e32 v195, 16, v44
	v_accvgpr_read_b32 v44, a65
	v_pk_mul_f32 v[156:157], v[34:35], v[156:157] op_sel_hi:[0,1]
	v_and_b32_e32 v199, 0xffff0000, v44
	v_lshlrev_b32_e32 v198, 16, v44
	v_accvgpr_read_b32 v44, a73
	v_pk_mul_f32 v[194:195], v[30:31], v[194:195] op_sel_hi:[0,1]
	v_pk_fma_f32 v[156:157], v[198:199], v[28:29], v[156:157] op_sel_hi:[1,0,1]
	v_and_b32_e32 v199, 0xffff0000, v44
	v_lshlrev_b32_e32 v198, 16, v44
	v_accvgpr_read_b32 v44, a132
	v_pk_fma_f32 v[194:195], v[198:199], v[22:23], v[194:195] op_sel_hi:[1,0,1]
	v_and_b32_e32 v199, 0xffff0000, v44
	v_lshlrev_b32_e32 v198, 16, v44
	v_accvgpr_read_b32 v44, a138
	v_pk_fma_f32 v[156:157], v[198:199], v[18:19], v[156:157] op_sel_hi:[1,0,1]
	v_and_b32_e32 v199, 0xffff0000, v44
	v_lshlrev_b32_e32 v198, 16, v44
	v_pk_fma_f32 v[194:195], v[198:199], v[16:17], v[194:195] op_sel_hi:[1,0,1]
	v_and_b32_e32 v199, 0xffff0000, v173
	v_lshlrev_b32_e32 v198, 16, v173
	;; [unrolled: 3-line block ×3, first 2 shown]
	v_pk_fma_f32 v[194:195], v[198:199], v[2:3], v[194:195] op_sel_hi:[1,0,1]
	v_accvgpr_read_b32 v44, a55
	v_pk_add_f32 v[156:157], v[156:157], v[194:195]
	v_lshlrev_b32_e32 v195, 16, v44
	v_pk_add_f32 v[248:249], v[156:157], v[248:249]
	v_lshlrev_b32_e32 v157, 16, v172
	v_lshlrev_b32_e32 v156, 16, v196
	v_accvgpr_read_b32 v44, a72
	v_pk_mul_f32 v[156:157], v[34:35], v[156:157] op_sel_hi:[0,1]
	v_and_b32_e32 v194, 0xffff0000, v196
	v_and_b32_e32 v199, 0xffff0000, v44
	v_lshlrev_b32_e32 v198, 16, v44
	v_accvgpr_read_b32 v44, a76
	v_pk_mul_f32 v[194:195], v[30:31], v[194:195] op_sel_hi:[0,1]
	v_pk_fma_f32 v[156:157], v[198:199], v[28:29], v[156:157] op_sel_hi:[1,0,1]
	v_and_b32_e32 v199, 0xffff0000, v44
	v_lshlrev_b32_e32 v198, 16, v44
	v_accvgpr_read_b32 v44, a131
	v_pk_fma_f32 v[194:195], v[198:199], v[22:23], v[194:195] op_sel_hi:[1,0,1]
	v_and_b32_e32 v199, 0xffff0000, v44
	v_lshlrev_b32_e32 v198, 16, v44
	v_accvgpr_read_b32 v44, a137
	v_pk_fma_f32 v[156:157], v[198:199], v[18:19], v[156:157] op_sel_hi:[1,0,1]
	v_and_b32_e32 v199, 0xffff0000, v44
	v_lshlrev_b32_e32 v198, 16, v44
	v_pk_fma_f32 v[194:195], v[198:199], v[16:17], v[194:195] op_sel_hi:[1,0,1]
	v_and_b32_e32 v199, 0xffff0000, v201
	v_lshlrev_b32_e32 v198, 16, v201
	;; [unrolled: 3-line block ×3, first 2 shown]
	v_pk_fma_f32 v[194:195], v[198:199], v[2:3], v[194:195] op_sel_hi:[1,0,1]
	v_accvgpr_read_b32 v44, a28
	v_pk_add_f32 v[156:157], v[156:157], v[194:195]
	v_and_b32_e32 v194, 0xffff0000, v200
	v_pk_add_f32 v[246:247], v[156:157], v[246:247]
	v_lshlrev_b32_e32 v157, 16, v44
	v_accvgpr_read_b32 v44, a30
	v_lshlrev_b32_e32 v156, 16, v200
	v_lshlrev_b32_e32 v195, 16, v44
	v_accvgpr_read_b32 v44, a75
	v_pk_mul_f32 v[156:157], v[34:35], v[156:157] op_sel_hi:[0,1]
	v_and_b32_e32 v199, 0xffff0000, v44
	v_lshlrev_b32_e32 v198, 16, v44
	v_accvgpr_read_b32 v44, a127
	v_pk_mul_f32 v[194:195], v[30:31], v[194:195] op_sel_hi:[0,1]
	v_pk_fma_f32 v[156:157], v[198:199], v[28:29], v[156:157] op_sel_hi:[1,0,1]
	v_and_b32_e32 v199, 0xffff0000, v44
	v_lshlrev_b32_e32 v198, 16, v44
	v_accvgpr_read_b32 v44, a130
	v_pk_fma_f32 v[194:195], v[198:199], v[22:23], v[194:195] op_sel_hi:[1,0,1]
	v_and_b32_e32 v199, 0xffff0000, v44
	v_lshlrev_b32_e32 v198, 16, v44
	v_accvgpr_read_b32 v44, a136
	v_pk_fma_f32 v[156:157], v[198:199], v[18:19], v[156:157] op_sel_hi:[1,0,1]
	v_and_b32_e32 v199, 0xffff0000, v44
	v_lshlrev_b32_e32 v198, 16, v44
	v_pk_fma_f32 v[194:195], v[198:199], v[16:17], v[194:195] op_sel_hi:[1,0,1]
	v_and_b32_e32 v199, 0xffff0000, v205
	v_lshlrev_b32_e32 v198, 16, v205
	;; [unrolled: 3-line block ×3, first 2 shown]
	v_pk_fma_f32 v[194:195], v[198:199], v[2:3], v[194:195] op_sel_hi:[1,0,1]
	v_accvgpr_read_b32 v44, a32
	v_pk_add_f32 v[156:157], v[156:157], v[194:195]
	v_and_b32_e32 v194, 0xffff0000, v204
	v_pk_add_f32 v[244:245], v[156:157], v[244:245]
	v_lshlrev_b32_e32 v157, 16, v44
	v_lshlrev_b32_e32 v156, 16, v204
	v_pk_mul_f32 v[156:157], v[34:35], v[156:157] op_sel_hi:[0,1]
	v_accvgpr_read_b32 v34, a29
	v_lshlrev_b32_e32 v195, 16, v34
	v_pk_mul_f32 v[194:195], v[30:31], v[194:195] op_sel_hi:[0,1]
	v_accvgpr_read_b32 v30, a77
	v_and_b32_e32 v199, 0xffff0000, v30
	v_lshlrev_b32_e32 v198, 16, v30
	v_pk_fma_f32 v[156:157], v[198:199], v[28:29], v[156:157] op_sel_hi:[1,0,1]
	v_accvgpr_read_b32 v28, a128
	v_and_b32_e32 v199, 0xffff0000, v28
	v_lshlrev_b32_e32 v198, 16, v28
	v_pk_fma_f32 v[194:195], v[198:199], v[22:23], v[194:195] op_sel_hi:[1,0,1]
	;; [unrolled: 4-line block ×4, first 2 shown]
	v_and_b32_e32 v199, 0xffff0000, v222
	v_lshlrev_b32_e32 v198, 16, v222
	v_pk_fma_f32 v[156:157], v[198:199], v[10:11], v[156:157] op_sel_hi:[1,0,1]
	v_and_b32_e32 v199, 0xffff0000, v207
	v_lshlrev_b32_e32 v198, 16, v207
	v_pk_fma_f32 v[194:195], v[198:199], v[2:3], v[194:195] op_sel_hi:[1,0,1]
	v_add_u32_e32 v2, 0x600, v64
	v_pk_add_f32 v[156:157], v[156:157], v[194:195]
	v_cmp_gt_u32_e32 vcc, s6, v2
	v_pk_add_f32 v[242:243], v[156:157], v[242:243]
	s_and_saveexec_b64 s[20:21], vcc
	s_cbranch_execz .LBB41_6
; %bb.22:                               ;   in Loop: Header=BB41_10 Depth=2
	v_accvgpr_read_b32 v107, a49
	v_accvgpr_read_b32 v44, a118
	;; [unrolled: 1-line block ×3, first 2 shown]
	v_and_b32_e32 v157, 0xffff0000, v44
	v_lshlrev_b32_e32 v156, 16, v44
	v_accvgpr_read_b32 v44, a121
	v_accvgpr_read_b32 v105, a47
	v_lshlrev_b32_e32 v34, 16, v104
	v_and_b32_e32 v195, 0xffff0000, v44
	v_lshlrev_b32_e32 v194, 16, v44
	v_accvgpr_read_b32 v44, a123
	v_and_b32_e32 v30, 0xffff0000, v104
	v_lshlrev_b32_e32 v28, 16, v105
	v_pk_mul_f32 v[156:157], v[34:35], v[156:157] op_sel_hi:[0,1]
	v_and_b32_e32 v199, 0xffff0000, v44
	v_lshlrev_b32_e32 v198, 16, v44
	v_accvgpr_read_b32 v44, a125
	v_accvgpr_read_b32 v106, a48
	v_and_b32_e32 v22, 0xffff0000, v105
	v_pk_mul_f32 v[194:195], v[30:31], v[194:195] op_sel_hi:[0,1]
	v_pk_fma_f32 v[156:157], v[198:199], v[28:29], v[156:157] op_sel_hi:[1,0,1]
	v_and_b32_e32 v199, 0xffff0000, v44
	v_lshlrev_b32_e32 v198, 16, v44
	v_accvgpr_read_b32 v44, a114
	v_lshlrev_b32_e32 v18, 16, v106
	v_pk_fma_f32 v[194:195], v[198:199], v[22:23], v[194:195] op_sel_hi:[1,0,1]
	v_and_b32_e32 v199, 0xffff0000, v44
	v_lshlrev_b32_e32 v198, 16, v44
	v_accvgpr_read_b32 v44, a116
	v_and_b32_e32 v16, 0xffff0000, v106
	v_pk_fma_f32 v[156:157], v[198:199], v[18:19], v[156:157] op_sel_hi:[1,0,1]
	v_and_b32_e32 v199, 0xffff0000, v44
	v_lshlrev_b32_e32 v198, 16, v44
	v_accvgpr_read_b32 v44, a113
	v_lshlrev_b32_e32 v10, 16, v107
	v_pk_fma_f32 v[194:195], v[198:199], v[16:17], v[194:195] op_sel_hi:[1,0,1]
	v_and_b32_e32 v199, 0xffff0000, v44
	v_lshlrev_b32_e32 v198, 16, v44
	v_accvgpr_read_b32 v44, a115
	v_and_b32_e32 v2, 0xffff0000, v107
	v_pk_fma_f32 v[156:157], v[198:199], v[10:11], v[156:157] op_sel_hi:[1,0,1]
	v_and_b32_e32 v199, 0xffff0000, v44
	v_lshlrev_b32_e32 v198, 16, v44
	v_pk_fma_f32 v[194:195], v[198:199], v[2:3], v[194:195] op_sel_hi:[1,0,1]
	v_accvgpr_read_b32 v44, a117
	v_pk_add_f32 v[156:157], v[156:157], v[194:195]
	s_nop 0
	v_pk_add_f32 v[232:233], v[156:157], v[232:233]
	v_and_b32_e32 v157, 0xffff0000, v44
	v_lshlrev_b32_e32 v156, 16, v44
	v_accvgpr_read_b32 v44, a120
	v_and_b32_e32 v195, 0xffff0000, v44
	v_lshlrev_b32_e32 v194, 16, v44
	v_accvgpr_read_b32 v44, a122
	v_pk_mul_f32 v[156:157], v[34:35], v[156:157] op_sel_hi:[0,1]
	v_and_b32_e32 v199, 0xffff0000, v44
	v_lshlrev_b32_e32 v198, 16, v44
	v_accvgpr_read_b32 v44, a124
	v_pk_mul_f32 v[194:195], v[30:31], v[194:195] op_sel_hi:[0,1]
	v_pk_fma_f32 v[156:157], v[198:199], v[28:29], v[156:157] op_sel_hi:[1,0,1]
	v_and_b32_e32 v199, 0xffff0000, v44
	v_lshlrev_b32_e32 v198, 16, v44
	v_accvgpr_read_b32 v44, a110
	v_pk_fma_f32 v[194:195], v[198:199], v[22:23], v[194:195] op_sel_hi:[1,0,1]
	v_and_b32_e32 v199, 0xffff0000, v44
	v_lshlrev_b32_e32 v198, 16, v44
	v_accvgpr_read_b32 v44, a112
	v_pk_fma_f32 v[156:157], v[198:199], v[18:19], v[156:157] op_sel_hi:[1,0,1]
	v_and_b32_e32 v199, 0xffff0000, v44
	v_lshlrev_b32_e32 v198, 16, v44
	v_accvgpr_read_b32 v44, a109
	v_pk_fma_f32 v[194:195], v[198:199], v[16:17], v[194:195] op_sel_hi:[1,0,1]
	v_and_b32_e32 v199, 0xffff0000, v44
	v_lshlrev_b32_e32 v198, 16, v44
	v_accvgpr_read_b32 v44, a111
	v_pk_fma_f32 v[156:157], v[198:199], v[10:11], v[156:157] op_sel_hi:[1,0,1]
	v_and_b32_e32 v199, 0xffff0000, v44
	v_lshlrev_b32_e32 v198, 16, v44
	v_pk_fma_f32 v[194:195], v[198:199], v[2:3], v[194:195] op_sel_hi:[1,0,1]
	v_accvgpr_read_b32 v44, a106
	v_pk_add_f32 v[156:157], v[156:157], v[194:195]
	s_nop 0
	v_pk_add_f32 v[254:255], v[156:157], v[254:255]
	v_and_b32_e32 v157, 0xffff0000, v44
	v_lshlrev_b32_e32 v156, 16, v44
	v_accvgpr_read_b32 v44, a119
	v_and_b32_e32 v195, 0xffff0000, v44
	v_lshlrev_b32_e32 v194, 16, v44
	v_accvgpr_read_b32 v44, a107
	v_pk_mul_f32 v[156:157], v[34:35], v[156:157] op_sel_hi:[0,1]
	v_and_b32_e32 v199, 0xffff0000, v44
	v_lshlrev_b32_e32 v198, 16, v44
	v_accvgpr_read_b32 v44, a108
	v_pk_mul_f32 v[194:195], v[30:31], v[194:195] op_sel_hi:[0,1]
	v_pk_fma_f32 v[156:157], v[198:199], v[28:29], v[156:157] op_sel_hi:[1,0,1]
	v_and_b32_e32 v199, 0xffff0000, v44
	v_lshlrev_b32_e32 v198, 16, v44
	v_accvgpr_read_b32 v44, a103
	v_pk_fma_f32 v[194:195], v[198:199], v[22:23], v[194:195] op_sel_hi:[1,0,1]
	v_and_b32_e32 v199, 0xffff0000, v44
	v_lshlrev_b32_e32 v198, 16, v44
	v_accvgpr_read_b32 v44, a105
	v_pk_fma_f32 v[156:157], v[198:199], v[18:19], v[156:157] op_sel_hi:[1,0,1]
	v_and_b32_e32 v199, 0xffff0000, v44
	v_lshlrev_b32_e32 v198, 16, v44
	v_accvgpr_read_b32 v44, a102
	v_pk_fma_f32 v[194:195], v[198:199], v[16:17], v[194:195] op_sel_hi:[1,0,1]
	v_and_b32_e32 v199, 0xffff0000, v44
	v_lshlrev_b32_e32 v198, 16, v44
	v_accvgpr_read_b32 v44, a104
	v_pk_fma_f32 v[156:157], v[198:199], v[10:11], v[156:157] op_sel_hi:[1,0,1]
	v_and_b32_e32 v199, 0xffff0000, v44
	v_lshlrev_b32_e32 v198, 16, v44
	v_pk_fma_f32 v[194:195], v[198:199], v[2:3], v[194:195] op_sel_hi:[1,0,1]
	v_accvgpr_read_b32 v44, a86
	v_pk_add_f32 v[156:157], v[156:157], v[194:195]
	s_nop 0
	v_pk_add_f32 v[252:253], v[156:157], v[252:253]
	v_and_b32_e32 v157, 0xffff0000, v44
	v_lshlrev_b32_e32 v156, 16, v44
	v_accvgpr_read_b32 v44, a91
	v_and_b32_e32 v195, 0xffff0000, v44
	v_lshlrev_b32_e32 v194, 16, v44
	v_accvgpr_read_b32 v44, a99
	v_pk_mul_f32 v[156:157], v[34:35], v[156:157] op_sel_hi:[0,1]
	v_and_b32_e32 v199, 0xffff0000, v44
	v_lshlrev_b32_e32 v198, 16, v44
	v_accvgpr_read_b32 v44, a101
	v_pk_mul_f32 v[194:195], v[30:31], v[194:195] op_sel_hi:[0,1]
	v_pk_fma_f32 v[156:157], v[198:199], v[28:29], v[156:157] op_sel_hi:[1,0,1]
	v_and_b32_e32 v199, 0xffff0000, v44
	v_lshlrev_b32_e32 v198, 16, v44
	v_accvgpr_read_b32 v44, a43
	v_pk_fma_f32 v[194:195], v[198:199], v[22:23], v[194:195] op_sel_hi:[1,0,1]
	v_and_b32_e32 v199, 0xffff0000, v44
	v_lshlrev_b32_e32 v198, 16, v44
	v_accvgpr_read_b32 v44, a45
	v_pk_fma_f32 v[156:157], v[198:199], v[18:19], v[156:157] op_sel_hi:[1,0,1]
	v_and_b32_e32 v199, 0xffff0000, v44
	v_lshlrev_b32_e32 v198, 16, v44
	v_accvgpr_read_b32 v44, a42
	v_pk_fma_f32 v[194:195], v[198:199], v[16:17], v[194:195] op_sel_hi:[1,0,1]
	v_and_b32_e32 v199, 0xffff0000, v44
	v_lshlrev_b32_e32 v198, 16, v44
	v_accvgpr_read_b32 v44, a44
	v_pk_fma_f32 v[156:157], v[198:199], v[10:11], v[156:157] op_sel_hi:[1,0,1]
	v_and_b32_e32 v199, 0xffff0000, v44
	v_lshlrev_b32_e32 v198, 16, v44
	v_pk_fma_f32 v[194:195], v[198:199], v[2:3], v[194:195] op_sel_hi:[1,0,1]
	v_accvgpr_read_b32 v44, a85
	v_pk_add_f32 v[156:157], v[156:157], v[194:195]
	s_nop 0
	v_pk_add_f32 v[250:251], v[156:157], v[250:251]
	v_and_b32_e32 v157, 0xffff0000, v44
	v_lshlrev_b32_e32 v156, 16, v44
	v_accvgpr_read_b32 v44, a90
	v_and_b32_e32 v195, 0xffff0000, v44
	v_lshlrev_b32_e32 v194, 16, v44
	v_accvgpr_read_b32 v44, a97
	v_pk_mul_f32 v[156:157], v[34:35], v[156:157] op_sel_hi:[0,1]
	v_and_b32_e32 v199, 0xffff0000, v44
	v_lshlrev_b32_e32 v198, 16, v44
	v_accvgpr_read_b32 v44, a100
	v_pk_mul_f32 v[194:195], v[30:31], v[194:195] op_sel_hi:[0,1]
	v_pk_fma_f32 v[156:157], v[198:199], v[28:29], v[156:157] op_sel_hi:[1,0,1]
	v_and_b32_e32 v199, 0xffff0000, v44
	v_lshlrev_b32_e32 v198, 16, v44
	v_accvgpr_read_b32 v44, a39
	v_pk_fma_f32 v[194:195], v[198:199], v[22:23], v[194:195] op_sel_hi:[1,0,1]
	v_and_b32_e32 v199, 0xffff0000, v44
	v_lshlrev_b32_e32 v198, 16, v44
	v_accvgpr_read_b32 v44, a41
	v_pk_fma_f32 v[156:157], v[198:199], v[18:19], v[156:157] op_sel_hi:[1,0,1]
	v_and_b32_e32 v199, 0xffff0000, v44
	v_lshlrev_b32_e32 v198, 16, v44
	v_accvgpr_read_b32 v44, a38
	v_pk_fma_f32 v[194:195], v[198:199], v[16:17], v[194:195] op_sel_hi:[1,0,1]
	v_and_b32_e32 v199, 0xffff0000, v44
	v_lshlrev_b32_e32 v198, 16, v44
	v_accvgpr_read_b32 v44, a40
	v_pk_fma_f32 v[156:157], v[198:199], v[10:11], v[156:157] op_sel_hi:[1,0,1]
	v_and_b32_e32 v199, 0xffff0000, v44
	v_lshlrev_b32_e32 v198, 16, v44
	v_pk_fma_f32 v[194:195], v[198:199], v[2:3], v[194:195] op_sel_hi:[1,0,1]
	v_accvgpr_read_b32 v44, a84
	v_pk_add_f32 v[156:157], v[156:157], v[194:195]
	s_nop 0
	v_pk_add_f32 v[248:249], v[156:157], v[248:249]
	v_and_b32_e32 v157, 0xffff0000, v44
	v_lshlrev_b32_e32 v156, 16, v44
	v_accvgpr_read_b32 v44, a89
	v_and_b32_e32 v195, 0xffff0000, v44
	v_lshlrev_b32_e32 v194, 16, v44
	v_accvgpr_read_b32 v44, a95
	v_pk_mul_f32 v[156:157], v[34:35], v[156:157] op_sel_hi:[0,1]
	v_and_b32_e32 v199, 0xffff0000, v44
	v_lshlrev_b32_e32 v198, 16, v44
	v_accvgpr_read_b32 v44, a98
	v_pk_mul_f32 v[194:195], v[30:31], v[194:195] op_sel_hi:[0,1]
	v_pk_fma_f32 v[156:157], v[198:199], v[28:29], v[156:157] op_sel_hi:[1,0,1]
	v_and_b32_e32 v199, 0xffff0000, v44
	v_lshlrev_b32_e32 v198, 16, v44
	v_accvgpr_read_b32 v44, a27
	v_pk_fma_f32 v[194:195], v[198:199], v[22:23], v[194:195] op_sel_hi:[1,0,1]
	v_and_b32_e32 v199, 0xffff0000, v44
	v_lshlrev_b32_e32 v198, 16, v44
	v_accvgpr_read_b32 v44, a37
	v_pk_fma_f32 v[156:157], v[198:199], v[18:19], v[156:157] op_sel_hi:[1,0,1]
	v_and_b32_e32 v199, 0xffff0000, v44
	v_lshlrev_b32_e32 v198, 16, v44
	v_accvgpr_read_b32 v44, a25
	v_pk_fma_f32 v[194:195], v[198:199], v[16:17], v[194:195] op_sel_hi:[1,0,1]
	v_and_b32_e32 v199, 0xffff0000, v44
	v_lshlrev_b32_e32 v198, 16, v44
	v_accvgpr_read_b32 v44, a36
	v_pk_fma_f32 v[156:157], v[198:199], v[10:11], v[156:157] op_sel_hi:[1,0,1]
	v_and_b32_e32 v199, 0xffff0000, v44
	v_lshlrev_b32_e32 v198, 16, v44
	v_pk_fma_f32 v[194:195], v[198:199], v[2:3], v[194:195] op_sel_hi:[1,0,1]
	v_accvgpr_read_b32 v44, a83
	v_pk_add_f32 v[156:157], v[156:157], v[194:195]
	s_nop 0
	v_pk_add_f32 v[246:247], v[156:157], v[246:247]
	v_and_b32_e32 v157, 0xffff0000, v44
	v_lshlrev_b32_e32 v156, 16, v44
	v_accvgpr_read_b32 v44, a88
	v_and_b32_e32 v195, 0xffff0000, v44
	v_lshlrev_b32_e32 v194, 16, v44
	v_accvgpr_read_b32 v44, a93
	v_pk_mul_f32 v[156:157], v[34:35], v[156:157] op_sel_hi:[0,1]
	v_and_b32_e32 v199, 0xffff0000, v44
	v_lshlrev_b32_e32 v198, 16, v44
	v_accvgpr_read_b32 v44, a96
	v_pk_mul_f32 v[194:195], v[30:31], v[194:195] op_sel_hi:[0,1]
	v_pk_fma_f32 v[156:157], v[198:199], v[28:29], v[156:157] op_sel_hi:[1,0,1]
	v_and_b32_e32 v199, 0xffff0000, v44
	v_lshlrev_b32_e32 v198, 16, v44
	v_accvgpr_read_b32 v44, a19
	v_pk_fma_f32 v[194:195], v[198:199], v[22:23], v[194:195] op_sel_hi:[1,0,1]
	v_and_b32_e32 v199, 0xffff0000, v44
	v_lshlrev_b32_e32 v198, 16, v44
	v_accvgpr_read_b32 v44, a23
	v_pk_fma_f32 v[156:157], v[198:199], v[18:19], v[156:157] op_sel_hi:[1,0,1]
	v_and_b32_e32 v199, 0xffff0000, v44
	v_lshlrev_b32_e32 v198, 16, v44
	v_accvgpr_read_b32 v44, a17
	v_pk_fma_f32 v[194:195], v[198:199], v[16:17], v[194:195] op_sel_hi:[1,0,1]
	v_and_b32_e32 v199, 0xffff0000, v44
	v_lshlrev_b32_e32 v198, 16, v44
	v_accvgpr_read_b32 v44, a21
	v_pk_fma_f32 v[156:157], v[198:199], v[10:11], v[156:157] op_sel_hi:[1,0,1]
	v_and_b32_e32 v199, 0xffff0000, v44
	v_lshlrev_b32_e32 v198, 16, v44
	v_pk_fma_f32 v[194:195], v[198:199], v[2:3], v[194:195] op_sel_hi:[1,0,1]
	v_accvgpr_read_b32 v44, a82
	v_pk_add_f32 v[156:157], v[156:157], v[194:195]
	s_nop 0
	v_pk_add_f32 v[244:245], v[156:157], v[244:245]
	v_and_b32_e32 v157, 0xffff0000, v44
	v_lshlrev_b32_e32 v156, 16, v44
	v_pk_mul_f32 v[156:157], v[34:35], v[156:157] op_sel_hi:[0,1]
	v_accvgpr_read_b32 v34, a87
	v_and_b32_e32 v195, 0xffff0000, v34
	v_lshlrev_b32_e32 v194, 16, v34
	v_pk_mul_f32 v[194:195], v[30:31], v[194:195] op_sel_hi:[0,1]
	v_accvgpr_read_b32 v30, a92
	v_and_b32_e32 v199, 0xffff0000, v30
	v_lshlrev_b32_e32 v198, 16, v30
	v_pk_fma_f32 v[156:157], v[198:199], v[28:29], v[156:157] op_sel_hi:[1,0,1]
	v_accvgpr_read_b32 v28, a94
	v_and_b32_e32 v199, 0xffff0000, v28
	v_lshlrev_b32_e32 v198, 16, v28
	v_pk_fma_f32 v[194:195], v[198:199], v[22:23], v[194:195] op_sel_hi:[1,0,1]
	;; [unrolled: 4-line block ×6, first 2 shown]
	s_nop 0
	v_pk_add_f32 v[156:157], v[156:157], v[194:195]
	s_nop 0
	v_pk_add_f32 v[242:243], v[156:157], v[242:243]
	s_branch .LBB41_6
.LBB41_23:                              ;   in Loop: Header=BB41_4 Depth=1
	v_accvgpr_read_b32 v2, a116
	v_lshrrev_b32_e32 v198, 16, v2
	v_accvgpr_read_b32 v2, a114
	v_lshrrev_b32_e32 v199, 16, v2
	v_lshrrev_b32_e32 v2, 16, v87
	v_accvgpr_write_b32 a145, v2
	v_lshrrev_b32_e32 v2, 16, v174
	v_accvgpr_write_b32 a146, v2
	v_accvgpr_read_b32 v2, a112
	v_lshrrev_b32_e32 v2, 16, v2
	v_accvgpr_write_b32 a147, v2
	v_accvgpr_read_b32 v2, a110
	v_lshrrev_b32_e32 v2, 16, v2
	v_accvgpr_write_b32 a148, v2
	v_lshrrev_b32_e32 v2, 16, v84
	v_accvgpr_write_b32 a149, v2
	v_lshrrev_b32_e32 v2, 16, v129
	v_accvgpr_write_b32 a150, v2
	v_accvgpr_read_b32 v2, a105
	v_lshrrev_b32_e32 v2, 16, v2
	v_accvgpr_write_b32 a151, v2
	v_accvgpr_read_b32 v2, a103
	v_lshrrev_b32_e32 v2, 16, v2
	v_accvgpr_write_b32 a152, v2
	v_lshrrev_b32_e32 v2, 16, v131
	v_accvgpr_write_b32 a153, v2
	v_lshrrev_b32_e32 v2, 16, v149
	v_accvgpr_write_b32 a154, v2
	v_accvgpr_read_b32 v2, a45
	v_lshrrev_b32_e32 v2, 16, v2
	v_accvgpr_write_b32 a155, v2
	v_accvgpr_read_b32 v2, a43
	v_lshrrev_b32_e32 v2, 16, v2
	v_accvgpr_write_b32 a156, v2
	v_lshrrev_b32_e32 v2, 16, v151
	v_accvgpr_write_b32 a157, v2
	v_accvgpr_read_b32 v2, a41
	v_lshrrev_b32_e32 v18, 16, v2
	v_accvgpr_read_b32 v2, a39
	v_lshrrev_b32_e32 v22, 16, v2
	v_accvgpr_read_b32 v2, a37
	v_lshrrev_b32_e32 v34, 16, v2
	v_accvgpr_read_b32 v2, a27
	v_lshrrev_b32_e32 v63, 16, v2
	v_accvgpr_read_b32 v2, a23
	v_lshrrev_b32_e32 v83, 16, v2
	v_accvgpr_read_b32 v2, a19
	v_lshrrev_b32_e32 v95, 16, v2
	v_accvgpr_read_b32 v2, a15
	v_accvgpr_read_b32 v10, a11
	v_lshrrev_b32_e32 v194, 16, v185
	v_lshrrev_b32_e32 v195, 16, v85
	;; [unrolled: 1-line block ×11, first 2 shown]
	s_branch .LBB41_25
.LBB41_24:                              ;   in Loop: Header=BB41_4 Depth=1
	v_lshrrev_b32_e32 v44, 16, v151
	v_accvgpr_write_b32 a157, v44
	v_accvgpr_read_b32 v44, a43
	v_lshrrev_b32_e32 v44, 16, v44
	v_accvgpr_write_b32 a156, v44
	v_accvgpr_read_b32 v44, a45
	v_lshrrev_b32_e32 v44, 16, v44
	v_accvgpr_write_b32 a155, v44
	v_lshrrev_b32_e32 v44, 16, v149
	v_accvgpr_write_b32 a154, v44
	v_lshrrev_b32_e32 v44, 16, v131
	v_accvgpr_write_b32 a153, v44
	v_accvgpr_read_b32 v44, a103
	v_lshrrev_b32_e32 v44, 16, v44
	v_accvgpr_write_b32 a152, v44
	v_accvgpr_read_b32 v44, a105
	v_lshrrev_b32_e32 v44, 16, v44
	v_accvgpr_write_b32 a151, v44
	v_lshrrev_b32_e32 v44, 16, v129
	v_accvgpr_write_b32 a150, v44
	;; [unrolled: 2-line block ×3, first 2 shown]
	v_accvgpr_read_b32 v44, a110
	v_lshrrev_b32_e32 v44, 16, v44
	v_accvgpr_read_b32 v16, a19
	v_accvgpr_write_b32 a148, v44
	v_accvgpr_read_b32 v44, a112
	v_lshrrev_b32_e32 v95, 16, v16
	v_accvgpr_read_b32 v16, a23
	v_lshrrev_b32_e32 v44, 16, v44
	v_lshrrev_b32_e32 v83, 16, v16
	v_accvgpr_read_b32 v16, a27
	v_accvgpr_write_b32 a147, v44
	v_lshrrev_b32_e32 v44, 16, v174
	v_lshrrev_b32_e32 v63, 16, v16
	v_accvgpr_read_b32 v16, a37
	v_accvgpr_write_b32 a146, v44
	v_lshrrev_b32_e32 v44, 16, v87
	v_accvgpr_read_b32 v2, a11
	v_lshrrev_b32_e32 v34, 16, v16
	v_accvgpr_read_b32 v16, a39
	v_accvgpr_write_b32 a145, v44
	v_accvgpr_read_b32 v44, a114
	v_lshrrev_b32_e32 v10, 16, v2
	v_accvgpr_read_b32 v2, a15
	v_lshrrev_b32_e32 v22, 16, v16
	;; [unrolled: 2-line block ×4, first 2 shown]
	v_lshrrev_b32_e32 v234, 16, v222
	v_lshrrev_b32_e32 v115, 16, v207
	;; [unrolled: 1-line block ×11, first 2 shown]
	v_mov_b32_e32 v233, v45
	v_mov_b32_e32 v232, v45
	;; [unrolled: 1-line block ×16, first 2 shown]
.LBB41_25:                              ;   in Loop: Header=BB41_4 Depth=1
	;;#ASMSTART
	s_nop 0
	v_add_f32 v233, v233, v233 row_shr:8 bound_ctrl:0 
	;;#ASMEND
	;;#ASMSTART
	s_nop 0
	v_add_f32 v232, v232, v232 row_shr:8 bound_ctrl:0 
	;;#ASMEND
	;;#ASMSTART
	s_nop 0
	v_add_f32 v255, v255, v255 row_shr:8 bound_ctrl:0 
	;;#ASMEND
	;;#ASMSTART
	s_nop 0
	v_add_f32 v254, v254, v254 row_shr:8 bound_ctrl:0 
	;;#ASMEND
	;;#ASMSTART
	s_nop 0
	v_add_f32 v253, v253, v253 row_shr:8 bound_ctrl:0 
	;;#ASMEND
	;;#ASMSTART
	s_nop 0
	v_add_f32 v252, v252, v252 row_shr:8 bound_ctrl:0 
	;;#ASMEND
	;;#ASMSTART
	s_nop 0
	v_add_f32 v251, v251, v251 row_shr:8 bound_ctrl:0 
	;;#ASMEND
	;;#ASMSTART
	s_nop 0
	v_add_f32 v250, v250, v250 row_shr:8 bound_ctrl:0 
	;;#ASMEND
	;;#ASMSTART
	s_nop 0
	v_add_f32 v249, v249, v249 row_shr:8 bound_ctrl:0 
	;;#ASMEND
	;;#ASMSTART
	s_nop 0
	v_add_f32 v248, v248, v248 row_shr:8 bound_ctrl:0 
	;;#ASMEND
	;;#ASMSTART
	s_nop 0
	v_add_f32 v247, v247, v247 row_shr:8 bound_ctrl:0 
	;;#ASMEND
	;;#ASMSTART
	s_nop 0
	v_add_f32 v246, v246, v246 row_shr:8 bound_ctrl:0 
	;;#ASMEND
	;;#ASMSTART
	s_nop 0
	v_add_f32 v245, v245, v245 row_shr:8 bound_ctrl:0 
	;;#ASMEND
	;;#ASMSTART
	s_nop 0
	v_add_f32 v244, v244, v244 row_shr:8 bound_ctrl:0 
	;;#ASMEND
	;;#ASMSTART
	s_nop 0
	v_add_f32 v243, v243, v243 row_shr:8 bound_ctrl:0 
	;;#ASMEND
	;;#ASMSTART
	s_nop 0
	v_add_f32 v242, v242, v242 row_shr:8 bound_ctrl:0 
	;;#ASMEND
	s_nop 0
	;;#ASMSTART
	s_nop 0
	v_add_f32 v233, v233, v233 row_shr:4 bound_ctrl:0 
	;;#ASMEND
	;;#ASMSTART
	s_nop 0
	v_add_f32 v232, v232, v232 row_shr:4 bound_ctrl:0 
	;;#ASMEND
	;; [unrolled: 4-line block ×16, first 2 shown]
	s_nop 0
	;;#ASMSTART
	s_nop 0
	v_add_f32 v233, v233, v233 row_shr:2 bound_ctrl:0 
	;;#ASMEND
	;;#ASMSTART
	s_nop 0
	v_add_f32 v232, v232, v232 row_shr:2 bound_ctrl:0 
	;;#ASMEND
	;; [unrolled: 4-line block ×16, first 2 shown]
	s_nop 0
	;;#ASMSTART
	s_nop 0
	v_add_f32 v233, v233, v233 wave_shr:1 bound_ctrl:0
	;;#ASMEND
	;;#ASMSTART
	s_nop 0
	v_add_f32 v232, v232, v232 wave_shr:1 bound_ctrl:0
	;;#ASMEND
	;; [unrolled: 4-line block ×16, first 2 shown]
	s_nop 0
	;;#ASMSTART
	s_nop 0
	v_add_f32 v233, v233, v233 row_bcast:15 bound_ctrl:0
	;;#ASMEND
	;;#ASMSTART
	s_nop 0
	v_add_f32 v232, v232, v232 row_bcast:15 bound_ctrl:0
	;;#ASMEND
	;; [unrolled: 4-line block ×16, first 2 shown]
	s_nop 0
	;;#ASMSTART
	s_nop 0
	v_add_f32 v233, v233, v233 row_bcast:31 bound_ctrl:0
	;;#ASMEND
	;;#ASMSTART
	s_nop 0
	v_add_f32 v232, v232, v232 row_bcast:31 bound_ctrl:0
	;;#ASMEND
	;; [unrolled: 4-line block ×16, first 2 shown]
	s_and_saveexec_b64 s[4:5], s[0:1]
	s_cbranch_execz .LBB41_3
; %bb.26:                               ;   in Loop: Header=BB41_4 Depth=1
	v_and_b32_e32 v44, 0x7f800000, v233
	v_cmp_ne_u32_e32 vcc, s28, v44
                                        ; implicit-def: $vgpr44
	s_and_saveexec_b64 s[16:17], vcc
	s_xor_b64 s[16:17], exec, s[16:17]
; %bb.27:                               ;   in Loop: Header=BB41_4 Depth=1
	v_bfe_u32 v44, v233, 16, 1
	v_add3_u32 v44, v233, v44, s29
; %bb.28:                               ;   in Loop: Header=BB41_4 Depth=1
	s_andn2_saveexec_b64 s[16:17], s[16:17]
; %bb.29:                               ;   in Loop: Header=BB41_4 Depth=1
	v_or_b32_e32 v44, 0x10000, v233
	v_cmp_eq_u32_sdwa vcc, v233, v45 src0_sel:WORD_0 src1_sel:DWORD
	s_nop 1
	v_cndmask_b32_e32 v44, v44, v233, vcc
; %bb.30:                               ;   in Loop: Header=BB41_4 Depth=1
	s_or_b64 exec, exec, s[16:17]
	v_accvgpr_read_b32 v156, a0
	v_mov_b32_e32 v157, v45
	s_waitcnt lgkmcnt(0)
	v_lshl_add_u64 v[156:157], v[156:157], 1, s[12:13]
	global_store_short_d16_hi v[156:157], v44, off
	v_and_b32_e32 v44, 0x7f800000, v232
	v_cmp_ne_u32_e32 vcc, s28, v44
                                        ; implicit-def: $vgpr233
	s_and_saveexec_b64 s[16:17], vcc
	s_xor_b64 s[16:17], exec, s[16:17]
; %bb.31:                               ;   in Loop: Header=BB41_4 Depth=1
	v_bfe_u32 v44, v232, 16, 1
	v_add3_u32 v233, v232, v44, s29
                                        ; implicit-def: $vgpr232
; %bb.32:                               ;   in Loop: Header=BB41_4 Depth=1
	s_andn2_saveexec_b64 s[16:17], s[16:17]
; %bb.33:                               ;   in Loop: Header=BB41_4 Depth=1
	v_or_b32_e32 v44, 0x10000, v232
	v_cmp_eq_u32_sdwa vcc, v232, v45 src0_sel:WORD_0 src1_sel:DWORD
	s_nop 1
	v_cndmask_b32_e32 v233, v44, v232, vcc
; %bb.34:                               ;   in Loop: Header=BB41_4 Depth=1
	s_or_b64 exec, exec, s[16:17]
	v_accvgpr_read_b32 v44, a0
	v_add_u32_e32 v44, s7, v44
	v_lshl_add_u64 v[156:157], v[44:45], 1, s[12:13]
	global_store_short_d16_hi v[156:157], v233, off
	v_and_b32_e32 v156, 0x7f800000, v255
	v_cmp_ne_u32_e32 vcc, s28, v156
                                        ; implicit-def: $vgpr232
	s_and_saveexec_b64 s[16:17], vcc
	s_xor_b64 s[16:17], exec, s[16:17]
; %bb.35:                               ;   in Loop: Header=BB41_4 Depth=1
	v_bfe_u32 v156, v255, 16, 1
	v_add3_u32 v232, v255, v156, s29
; %bb.36:                               ;   in Loop: Header=BB41_4 Depth=1
	s_andn2_saveexec_b64 s[16:17], s[16:17]
; %bb.37:                               ;   in Loop: Header=BB41_4 Depth=1
	v_or_b32_e32 v156, 0x10000, v255
	v_cmp_eq_u32_sdwa vcc, v255, v45 src0_sel:WORD_0 src1_sel:DWORD
	s_nop 1
	v_cndmask_b32_e32 v232, v156, v255, vcc
; %bb.38:                               ;   in Loop: Header=BB41_4 Depth=1
	s_or_b64 exec, exec, s[16:17]
	v_add_u32_e32 v44, s7, v44
	v_lshl_add_u64 v[156:157], v[44:45], 1, s[12:13]
	global_store_short_d16_hi v[156:157], v232, off
	v_and_b32_e32 v156, 0x7f800000, v254
	v_cmp_ne_u32_e32 vcc, s28, v156
                                        ; implicit-def: $vgpr232
	s_and_saveexec_b64 s[16:17], vcc
	s_xor_b64 s[16:17], exec, s[16:17]
; %bb.39:                               ;   in Loop: Header=BB41_4 Depth=1
	v_bfe_u32 v156, v254, 16, 1
	v_add3_u32 v232, v254, v156, s29
                                        ; implicit-def: $vgpr254
; %bb.40:                               ;   in Loop: Header=BB41_4 Depth=1
	s_andn2_saveexec_b64 s[16:17], s[16:17]
; %bb.41:                               ;   in Loop: Header=BB41_4 Depth=1
	v_or_b32_e32 v156, 0x10000, v254
	v_cmp_eq_u32_sdwa vcc, v254, v45 src0_sel:WORD_0 src1_sel:DWORD
	s_nop 1
	v_cndmask_b32_e32 v232, v156, v254, vcc
; %bb.42:                               ;   in Loop: Header=BB41_4 Depth=1
	s_or_b64 exec, exec, s[16:17]
	v_add_u32_e32 v44, s7, v44
	v_lshl_add_u64 v[156:157], v[44:45], 1, s[12:13]
	global_store_short_d16_hi v[156:157], v232, off
	v_and_b32_e32 v156, 0x7f800000, v253
	v_cmp_ne_u32_e32 vcc, s28, v156
                                        ; implicit-def: $vgpr232
	s_and_saveexec_b64 s[16:17], vcc
	s_xor_b64 s[16:17], exec, s[16:17]
; %bb.43:                               ;   in Loop: Header=BB41_4 Depth=1
	v_bfe_u32 v156, v253, 16, 1
	v_add3_u32 v232, v253, v156, s29
; %bb.44:                               ;   in Loop: Header=BB41_4 Depth=1
	s_andn2_saveexec_b64 s[16:17], s[16:17]
; %bb.45:                               ;   in Loop: Header=BB41_4 Depth=1
	v_or_b32_e32 v156, 0x10000, v253
	v_cmp_eq_u32_sdwa vcc, v253, v45 src0_sel:WORD_0 src1_sel:DWORD
	s_nop 1
	v_cndmask_b32_e32 v232, v156, v253, vcc
; %bb.46:                               ;   in Loop: Header=BB41_4 Depth=1
	s_or_b64 exec, exec, s[16:17]
	v_add_u32_e32 v44, s7, v44
	v_lshl_add_u64 v[156:157], v[44:45], 1, s[12:13]
	global_store_short_d16_hi v[156:157], v232, off
	v_and_b32_e32 v156, 0x7f800000, v252
	v_cmp_ne_u32_e32 vcc, s28, v156
                                        ; implicit-def: $vgpr232
	s_and_saveexec_b64 s[16:17], vcc
	s_xor_b64 s[16:17], exec, s[16:17]
; %bb.47:                               ;   in Loop: Header=BB41_4 Depth=1
	v_bfe_u32 v156, v252, 16, 1
	v_add3_u32 v232, v252, v156, s29
                                        ; implicit-def: $vgpr252
; %bb.48:                               ;   in Loop: Header=BB41_4 Depth=1
	s_andn2_saveexec_b64 s[16:17], s[16:17]
; %bb.49:                               ;   in Loop: Header=BB41_4 Depth=1
	v_or_b32_e32 v156, 0x10000, v252
	v_cmp_eq_u32_sdwa vcc, v252, v45 src0_sel:WORD_0 src1_sel:DWORD
	s_nop 1
	v_cndmask_b32_e32 v232, v156, v252, vcc
; %bb.50:                               ;   in Loop: Header=BB41_4 Depth=1
	s_or_b64 exec, exec, s[16:17]
	v_add_u32_e32 v44, s7, v44
	v_lshl_add_u64 v[156:157], v[44:45], 1, s[12:13]
	global_store_short_d16_hi v[156:157], v232, off
	v_and_b32_e32 v156, 0x7f800000, v251
	v_cmp_ne_u32_e32 vcc, s28, v156
                                        ; implicit-def: $vgpr232
	s_and_saveexec_b64 s[16:17], vcc
	s_xor_b64 s[16:17], exec, s[16:17]
; %bb.51:                               ;   in Loop: Header=BB41_4 Depth=1
	v_bfe_u32 v156, v251, 16, 1
	v_add3_u32 v232, v251, v156, s29
; %bb.52:                               ;   in Loop: Header=BB41_4 Depth=1
	s_andn2_saveexec_b64 s[16:17], s[16:17]
; %bb.53:                               ;   in Loop: Header=BB41_4 Depth=1
	v_or_b32_e32 v156, 0x10000, v251
	v_cmp_eq_u32_sdwa vcc, v251, v45 src0_sel:WORD_0 src1_sel:DWORD
	s_nop 1
	v_cndmask_b32_e32 v232, v156, v251, vcc
; %bb.54:                               ;   in Loop: Header=BB41_4 Depth=1
	s_or_b64 exec, exec, s[16:17]
	v_add_u32_e32 v44, s7, v44
	v_lshl_add_u64 v[156:157], v[44:45], 1, s[12:13]
	global_store_short_d16_hi v[156:157], v232, off
	v_and_b32_e32 v156, 0x7f800000, v250
	v_cmp_ne_u32_e32 vcc, s28, v156
                                        ; implicit-def: $vgpr232
	s_and_saveexec_b64 s[16:17], vcc
	s_xor_b64 s[16:17], exec, s[16:17]
; %bb.55:                               ;   in Loop: Header=BB41_4 Depth=1
	v_bfe_u32 v156, v250, 16, 1
	v_add3_u32 v232, v250, v156, s29
                                        ; implicit-def: $vgpr250
; %bb.56:                               ;   in Loop: Header=BB41_4 Depth=1
	s_andn2_saveexec_b64 s[16:17], s[16:17]
; %bb.57:                               ;   in Loop: Header=BB41_4 Depth=1
	v_or_b32_e32 v156, 0x10000, v250
	v_cmp_eq_u32_sdwa vcc, v250, v45 src0_sel:WORD_0 src1_sel:DWORD
	s_nop 1
	v_cndmask_b32_e32 v232, v156, v250, vcc
; %bb.58:                               ;   in Loop: Header=BB41_4 Depth=1
	s_or_b64 exec, exec, s[16:17]
	v_add_u32_e32 v44, s7, v44
	v_lshl_add_u64 v[156:157], v[44:45], 1, s[12:13]
	global_store_short_d16_hi v[156:157], v232, off
	v_and_b32_e32 v156, 0x7f800000, v249
	v_cmp_ne_u32_e32 vcc, s28, v156
                                        ; implicit-def: $vgpr232
	s_and_saveexec_b64 s[16:17], vcc
	s_xor_b64 s[16:17], exec, s[16:17]
; %bb.59:                               ;   in Loop: Header=BB41_4 Depth=1
	v_bfe_u32 v156, v249, 16, 1
	v_add3_u32 v232, v249, v156, s29
; %bb.60:                               ;   in Loop: Header=BB41_4 Depth=1
	s_andn2_saveexec_b64 s[16:17], s[16:17]
; %bb.61:                               ;   in Loop: Header=BB41_4 Depth=1
	v_or_b32_e32 v156, 0x10000, v249
	v_cmp_eq_u32_sdwa vcc, v249, v45 src0_sel:WORD_0 src1_sel:DWORD
	s_nop 1
	v_cndmask_b32_e32 v232, v156, v249, vcc
; %bb.62:                               ;   in Loop: Header=BB41_4 Depth=1
	s_or_b64 exec, exec, s[16:17]
	v_add_u32_e32 v44, s7, v44
	v_lshl_add_u64 v[156:157], v[44:45], 1, s[12:13]
	global_store_short_d16_hi v[156:157], v232, off
	v_and_b32_e32 v156, 0x7f800000, v248
	v_cmp_ne_u32_e32 vcc, s28, v156
                                        ; implicit-def: $vgpr232
	s_and_saveexec_b64 s[16:17], vcc
	s_xor_b64 s[16:17], exec, s[16:17]
; %bb.63:                               ;   in Loop: Header=BB41_4 Depth=1
	v_bfe_u32 v156, v248, 16, 1
	v_add3_u32 v232, v248, v156, s29
                                        ; implicit-def: $vgpr248
; %bb.64:                               ;   in Loop: Header=BB41_4 Depth=1
	s_andn2_saveexec_b64 s[16:17], s[16:17]
; %bb.65:                               ;   in Loop: Header=BB41_4 Depth=1
	v_or_b32_e32 v156, 0x10000, v248
	v_cmp_eq_u32_sdwa vcc, v248, v45 src0_sel:WORD_0 src1_sel:DWORD
	s_nop 1
	v_cndmask_b32_e32 v232, v156, v248, vcc
; %bb.66:                               ;   in Loop: Header=BB41_4 Depth=1
	s_or_b64 exec, exec, s[16:17]
	v_add_u32_e32 v44, s7, v44
	v_lshl_add_u64 v[156:157], v[44:45], 1, s[12:13]
	global_store_short_d16_hi v[156:157], v232, off
	v_and_b32_e32 v156, 0x7f800000, v247
	v_cmp_ne_u32_e32 vcc, s28, v156
                                        ; implicit-def: $vgpr232
	s_and_saveexec_b64 s[16:17], vcc
	s_xor_b64 s[16:17], exec, s[16:17]
; %bb.67:                               ;   in Loop: Header=BB41_4 Depth=1
	v_bfe_u32 v156, v247, 16, 1
	v_add3_u32 v232, v247, v156, s29
; %bb.68:                               ;   in Loop: Header=BB41_4 Depth=1
	s_andn2_saveexec_b64 s[16:17], s[16:17]
; %bb.69:                               ;   in Loop: Header=BB41_4 Depth=1
	v_or_b32_e32 v156, 0x10000, v247
	v_cmp_eq_u32_sdwa vcc, v247, v45 src0_sel:WORD_0 src1_sel:DWORD
	s_nop 1
	v_cndmask_b32_e32 v232, v156, v247, vcc
; %bb.70:                               ;   in Loop: Header=BB41_4 Depth=1
	s_or_b64 exec, exec, s[16:17]
	v_add_u32_e32 v44, s7, v44
	v_lshl_add_u64 v[156:157], v[44:45], 1, s[12:13]
	global_store_short_d16_hi v[156:157], v232, off
	v_and_b32_e32 v156, 0x7f800000, v246
	v_cmp_ne_u32_e32 vcc, s28, v156
                                        ; implicit-def: $vgpr232
	s_and_saveexec_b64 s[16:17], vcc
	s_xor_b64 s[16:17], exec, s[16:17]
; %bb.71:                               ;   in Loop: Header=BB41_4 Depth=1
	v_bfe_u32 v156, v246, 16, 1
	v_add3_u32 v232, v246, v156, s29
                                        ; implicit-def: $vgpr246
; %bb.72:                               ;   in Loop: Header=BB41_4 Depth=1
	s_andn2_saveexec_b64 s[16:17], s[16:17]
; %bb.73:                               ;   in Loop: Header=BB41_4 Depth=1
	v_or_b32_e32 v156, 0x10000, v246
	v_cmp_eq_u32_sdwa vcc, v246, v45 src0_sel:WORD_0 src1_sel:DWORD
	s_nop 1
	v_cndmask_b32_e32 v232, v156, v246, vcc
; %bb.74:                               ;   in Loop: Header=BB41_4 Depth=1
	s_or_b64 exec, exec, s[16:17]
	v_add_u32_e32 v44, s7, v44
	v_lshl_add_u64 v[156:157], v[44:45], 1, s[12:13]
	global_store_short_d16_hi v[156:157], v232, off
	v_and_b32_e32 v156, 0x7f800000, v245
	v_cmp_ne_u32_e32 vcc, s28, v156
                                        ; implicit-def: $vgpr232
	s_and_saveexec_b64 s[16:17], vcc
	s_xor_b64 s[16:17], exec, s[16:17]
; %bb.75:                               ;   in Loop: Header=BB41_4 Depth=1
	v_bfe_u32 v156, v245, 16, 1
	v_add3_u32 v232, v245, v156, s29
; %bb.76:                               ;   in Loop: Header=BB41_4 Depth=1
	s_andn2_saveexec_b64 s[16:17], s[16:17]
; %bb.77:                               ;   in Loop: Header=BB41_4 Depth=1
	v_or_b32_e32 v156, 0x10000, v245
	v_cmp_eq_u32_sdwa vcc, v245, v45 src0_sel:WORD_0 src1_sel:DWORD
	s_nop 1
	v_cndmask_b32_e32 v232, v156, v245, vcc
; %bb.78:                               ;   in Loop: Header=BB41_4 Depth=1
	s_or_b64 exec, exec, s[16:17]
	v_add_u32_e32 v44, s7, v44
	v_lshl_add_u64 v[156:157], v[44:45], 1, s[12:13]
	global_store_short_d16_hi v[156:157], v232, off
	v_and_b32_e32 v156, 0x7f800000, v244
	v_cmp_ne_u32_e32 vcc, s28, v156
                                        ; implicit-def: $vgpr232
	s_and_saveexec_b64 s[16:17], vcc
	s_xor_b64 s[16:17], exec, s[16:17]
; %bb.79:                               ;   in Loop: Header=BB41_4 Depth=1
	v_bfe_u32 v156, v244, 16, 1
	v_add3_u32 v232, v244, v156, s29
                                        ; implicit-def: $vgpr244
; %bb.80:                               ;   in Loop: Header=BB41_4 Depth=1
	s_andn2_saveexec_b64 s[16:17], s[16:17]
; %bb.81:                               ;   in Loop: Header=BB41_4 Depth=1
	v_or_b32_e32 v156, 0x10000, v244
	v_cmp_eq_u32_sdwa vcc, v244, v45 src0_sel:WORD_0 src1_sel:DWORD
	s_nop 1
	v_cndmask_b32_e32 v232, v156, v244, vcc
; %bb.82:                               ;   in Loop: Header=BB41_4 Depth=1
	s_or_b64 exec, exec, s[16:17]
	v_add_u32_e32 v44, s7, v44
	v_lshl_add_u64 v[156:157], v[44:45], 1, s[12:13]
	global_store_short_d16_hi v[156:157], v232, off
	v_and_b32_e32 v156, 0x7f800000, v243
	v_cmp_ne_u32_e32 vcc, s28, v156
                                        ; implicit-def: $vgpr232
	s_and_saveexec_b64 s[16:17], vcc
	s_xor_b64 s[16:17], exec, s[16:17]
; %bb.83:                               ;   in Loop: Header=BB41_4 Depth=1
	v_bfe_u32 v156, v243, 16, 1
	v_add3_u32 v232, v243, v156, s29
; %bb.84:                               ;   in Loop: Header=BB41_4 Depth=1
	s_andn2_saveexec_b64 s[16:17], s[16:17]
; %bb.85:                               ;   in Loop: Header=BB41_4 Depth=1
	v_or_b32_e32 v156, 0x10000, v243
	v_cmp_eq_u32_sdwa vcc, v243, v45 src0_sel:WORD_0 src1_sel:DWORD
	s_nop 1
	v_cndmask_b32_e32 v232, v156, v243, vcc
; %bb.86:                               ;   in Loop: Header=BB41_4 Depth=1
	s_or_b64 exec, exec, s[16:17]
	v_add_u32_e32 v44, s7, v44
	v_lshl_add_u64 v[156:157], v[44:45], 1, s[12:13]
	global_store_short_d16_hi v[156:157], v232, off
	v_and_b32_e32 v156, 0x7f800000, v242
	v_cmp_ne_u32_e32 vcc, s28, v156
                                        ; implicit-def: $vgpr232
	s_and_saveexec_b64 s[16:17], vcc
	s_xor_b64 s[16:17], exec, s[16:17]
; %bb.87:                               ;   in Loop: Header=BB41_4 Depth=1
	v_bfe_u32 v156, v242, 16, 1
	v_add3_u32 v232, v242, v156, s29
                                        ; implicit-def: $vgpr242
; %bb.88:                               ;   in Loop: Header=BB41_4 Depth=1
	s_andn2_saveexec_b64 s[16:17], s[16:17]
	s_cbranch_execz .LBB41_2
; %bb.89:                               ;   in Loop: Header=BB41_4 Depth=1
	v_or_b32_e32 v156, 0x10000, v242
	v_cmp_eq_u32_sdwa vcc, v242, v45 src0_sel:WORD_0 src1_sel:DWORD
	s_nop 1
	v_cndmask_b32_e32 v232, v156, v242, vcc
	s_branch .LBB41_2
.LBB41_90:
	s_endpgm
	.section	.rodata,"a",@progbits
	.p2align	6, 0x0
	.amdhsa_kernel _ZN5aiter32wv_splitk_small_fp16_bf16_kernelI14__hip_bfloat16Li64ELi1ELi1ELi8ELi4ELi16EEEviiPKT_S4_PS2_ii
		.amdhsa_group_segment_fixed_size 0
		.amdhsa_private_segment_fixed_size 0
		.amdhsa_kernarg_size 40
		.amdhsa_user_sgpr_count 2
		.amdhsa_user_sgpr_dispatch_ptr 0
		.amdhsa_user_sgpr_queue_ptr 0
		.amdhsa_user_sgpr_kernarg_segment_ptr 1
		.amdhsa_user_sgpr_dispatch_id 0
		.amdhsa_user_sgpr_kernarg_preload_length 0
		.amdhsa_user_sgpr_kernarg_preload_offset 0
		.amdhsa_user_sgpr_private_segment_size 0
		.amdhsa_uses_dynamic_stack 0
		.amdhsa_enable_private_segment 0
		.amdhsa_system_sgpr_workgroup_id_x 1
		.amdhsa_system_sgpr_workgroup_id_y 0
		.amdhsa_system_sgpr_workgroup_id_z 0
		.amdhsa_system_sgpr_workgroup_info 0
		.amdhsa_system_vgpr_workitem_id 1
		.amdhsa_next_free_vgpr 414
		.amdhsa_next_free_sgpr 31
		.amdhsa_accum_offset 256
		.amdhsa_reserve_vcc 1
		.amdhsa_float_round_mode_32 0
		.amdhsa_float_round_mode_16_64 0
		.amdhsa_float_denorm_mode_32 3
		.amdhsa_float_denorm_mode_16_64 3
		.amdhsa_dx10_clamp 1
		.amdhsa_ieee_mode 1
		.amdhsa_fp16_overflow 0
		.amdhsa_tg_split 0
		.amdhsa_exception_fp_ieee_invalid_op 0
		.amdhsa_exception_fp_denorm_src 0
		.amdhsa_exception_fp_ieee_div_zero 0
		.amdhsa_exception_fp_ieee_overflow 0
		.amdhsa_exception_fp_ieee_underflow 0
		.amdhsa_exception_fp_ieee_inexact 0
		.amdhsa_exception_int_div_zero 0
	.end_amdhsa_kernel
	.section	.text._ZN5aiter32wv_splitk_small_fp16_bf16_kernelI14__hip_bfloat16Li64ELi1ELi1ELi8ELi4ELi16EEEviiPKT_S4_PS2_ii,"axG",@progbits,_ZN5aiter32wv_splitk_small_fp16_bf16_kernelI14__hip_bfloat16Li64ELi1ELi1ELi8ELi4ELi16EEEviiPKT_S4_PS2_ii,comdat
.Lfunc_end41:
	.size	_ZN5aiter32wv_splitk_small_fp16_bf16_kernelI14__hip_bfloat16Li64ELi1ELi1ELi8ELi4ELi16EEEviiPKT_S4_PS2_ii, .Lfunc_end41-_ZN5aiter32wv_splitk_small_fp16_bf16_kernelI14__hip_bfloat16Li64ELi1ELi1ELi8ELi4ELi16EEEviiPKT_S4_PS2_ii
                                        ; -- End function
	.section	.AMDGPU.csdata,"",@progbits
; Kernel info:
; codeLenInByte = 16568
; NumSgprs: 37
; NumVgprs: 256
; NumAgprs: 158
; TotalNumVgprs: 414
; ScratchSize: 0
; MemoryBound: 0
; FloatMode: 240
; IeeeMode: 1
; LDSByteSize: 0 bytes/workgroup (compile time only)
; SGPRBlocks: 4
; VGPRBlocks: 51
; NumSGPRsForWavesPerEU: 37
; NumVGPRsForWavesPerEU: 414
; AccumOffset: 256
; Occupancy: 1
; WaveLimiterHint : 0
; COMPUTE_PGM_RSRC2:SCRATCH_EN: 0
; COMPUTE_PGM_RSRC2:USER_SGPR: 2
; COMPUTE_PGM_RSRC2:TRAP_HANDLER: 0
; COMPUTE_PGM_RSRC2:TGID_X_EN: 1
; COMPUTE_PGM_RSRC2:TGID_Y_EN: 0
; COMPUTE_PGM_RSRC2:TGID_Z_EN: 0
; COMPUTE_PGM_RSRC2:TIDIG_COMP_CNT: 1
; COMPUTE_PGM_RSRC3_GFX90A:ACCUM_OFFSET: 63
; COMPUTE_PGM_RSRC3_GFX90A:TG_SPLIT: 0
	.section	.text._ZN5aiter16wvSplitK_hf_sml_I6__halfLi64ELi2ELi16ELi8ELi2ELi1EEEviiPKT_S4_PS2_ii,"axG",@progbits,_ZN5aiter16wvSplitK_hf_sml_I6__halfLi64ELi2ELi16ELi8ELi2ELi1EEEviiPKT_S4_PS2_ii,comdat
	.protected	_ZN5aiter16wvSplitK_hf_sml_I6__halfLi64ELi2ELi16ELi8ELi2ELi1EEEviiPKT_S4_PS2_ii ; -- Begin function _ZN5aiter16wvSplitK_hf_sml_I6__halfLi64ELi2ELi16ELi8ELi2ELi1EEEviiPKT_S4_PS2_ii
	.globl	_ZN5aiter16wvSplitK_hf_sml_I6__halfLi64ELi2ELi16ELi8ELi2ELi1EEEviiPKT_S4_PS2_ii
	.p2align	8
	.type	_ZN5aiter16wvSplitK_hf_sml_I6__halfLi64ELi2ELi16ELi8ELi2ELi1EEEviiPKT_S4_PS2_ii,@function
_ZN5aiter16wvSplitK_hf_sml_I6__halfLi64ELi2ELi16ELi8ELi2ELi1EEEviiPKT_S4_PS2_ii: ; @_ZN5aiter16wvSplitK_hf_sml_I6__halfLi64ELi2ELi16ELi8ELi2ELi1EEEviiPKT_S4_PS2_ii
; %bb.0:
	s_load_dwordx2 s[6:7], s[0:1], 0x0
	v_and_b32_e32 v2, 0x3ff, v0
	v_bfe_u32 v3, v0, 10, 10
	v_lshlrev_b32_e32 v28, 3, v2
	s_mov_b32 s3, 0
	s_waitcnt lgkmcnt(0)
	s_cmp_lg_u32 s6, 0
	s_cselect_b64 s[4:5], -1, 0
	s_cmp_eq_u32 s6, 0
	s_cbranch_scc1 .LBB42_6
; %bb.1:
	s_load_dwordx2 s[8:9], s[0:1], 0x10
	v_lshlrev_b32_e32 v0, 4, v2
	s_min_i32 s16, s6, 0x8000
	v_lshl_add_u32 v4, v3, 10, v0
	v_lshl_add_u32 v5, v3, 9, v28
	s_mov_b64 s[10:11], 0
	v_mov_b32_e32 v1, 0
                                        ; implicit-def: $sgpr12_sgpr13
	s_branch .LBB42_3
.LBB42_2:                               ;   in Loop: Header=BB42_3 Depth=1
	s_or_b64 exec, exec, s[14:15]
	s_and_b64 s[14:15], exec, s[12:13]
	s_or_b64 s[10:11], s[14:15], s[10:11]
	s_andn2_b64 exec, exec, s[10:11]
	s_cbranch_execz .LBB42_5
.LBB42_3:                               ; =>This Inner Loop Header: Depth=1
	v_add_u32_e32 v0, s3, v5
	v_cmp_gt_u32_e32 vcc, s16, v0
	s_or_b64 s[12:13], s[12:13], exec
	s_and_saveexec_b64 s[14:15], vcc
	s_cbranch_execz .LBB42_2
; %bb.4:                                ;   in Loop: Header=BB42_3 Depth=1
	s_waitcnt lgkmcnt(0)
	v_lshl_add_u64 v[6:7], v[0:1], 1, s[8:9]
	global_load_dwordx4 v[6:9], v[6:7], off
	s_addk_i32 s3, 0x2000
	s_cmp_ge_u32 s3, s16
	s_cselect_b64 s[18:19], -1, 0
	s_andn2_b64 s[12:13], s[12:13], exec
	s_and_b64 s[18:19], s[18:19], exec
	s_or_b64 s[12:13], s[12:13], s[18:19]
	s_waitcnt vmcnt(0)
	ds_write_b128 v4, v[6:9]
	v_add_u32_e32 v4, 0x4000, v4
	s_branch .LBB42_2
.LBB42_5:
	s_or_b64 exec, exec, s[10:11]
.LBB42_6:
	s_load_dwordx2 s[12:13], s[0:1], 0x20
	s_waitcnt lgkmcnt(0)
	s_barrier
	v_cmp_gt_u32_e32 vcc, s12, v3
	s_and_saveexec_b64 s[8:9], vcc
	s_cbranch_execz .LBB42_28
; %bb.7:
	s_mul_i32 s2, s2, s12
	v_add_u32_e32 v0, s2, v3
	v_lshlrev_b32_e32 v24, 1, v0
	v_cmp_gt_u32_e32 vcc, s7, v24
	s_and_b64 exec, exec, vcc
	s_cbranch_execz .LBB42_28
; %bb.8:
	s_load_dwordx2 s[8:9], s[0:1], 0x8
	s_load_dwordx2 s[10:11], s[0:1], 0x18
	s_mul_i32 s2, s12, s13
	v_mul_lo_u32 v0, s6, v0
	s_lshl_b32 s20, s2, 1
	v_lshlrev_b32_e32 v30, 1, v0
	s_mul_i32 s2, s2, s6
	v_cndmask_b32_e64 v0, 0, 1, s[4:5]
	s_ashr_i32 s13, s6, 31
	s_mov_b32 s12, s6
	v_cmp_eq_u32_e64 s[0:1], 63, v2
	v_lshlrev_b32_e32 v29, 4, v2
	s_lshl_b32 s21, s2, 1
	s_mov_b64 s[14:15], 0
	v_cmp_ne_u32_e64 s[2:3], 1, v0
	v_mov_b32_e32 v27, 0
                                        ; implicit-def: $vgpr8_vgpr9_vgpr10_vgpr11
                                        ; implicit-def: $vgpr12_vgpr13_vgpr14_vgpr15
                                        ; implicit-def: $vgpr16_vgpr17_vgpr18_vgpr19
                                        ; implicit-def: $vgpr20_vgpr21_vgpr22_vgpr23
                                        ; implicit-def: $vgpr2_vgpr3
                                        ; implicit-def: $vgpr6_vgpr7
	s_branch .LBB42_10
.LBB42_9:                               ;   in Loop: Header=BB42_10 Depth=1
	s_or_b64 exec, exec, s[4:5]
	v_add_u32_e32 v24, s20, v24
	v_cmp_le_u32_e32 vcc, s7, v24
	s_or_b64 s[14:15], vcc, s[14:15]
	v_add_u32_e32 v30, s21, v30
	s_andn2_b64 exec, exec, s[14:15]
	s_cbranch_execz .LBB42_28
.LBB42_10:                              ; =>This Loop Header: Depth=1
                                        ;     Child Loop BB42_14 Depth 2
	s_and_b64 vcc, exec, s[2:3]
	s_mov_b32 s22, 0
	s_cbranch_vccnz .LBB42_25
; %bb.11:                               ;   in Loop: Header=BB42_10 Depth=1
	v_add_u32_e32 v32, v28, v30
	v_mov_b32_e32 v25, 0
	v_mov_b32_e32 v33, v29
	;; [unrolled: 1-line block ×3, first 2 shown]
	s_branch .LBB42_14
.LBB42_12:                              ;   in Loop: Header=BB42_14 Depth=2
	s_or_b64 exec, exec, s[16:17]
.LBB42_13:                              ;   in Loop: Header=BB42_14 Depth=2
	s_or_b64 exec, exec, s[4:5]
	s_addk_i32 s22, 0x400
	s_cmp_ge_u32 s22, s6
	v_add_u32_e32 v33, 0x800, v33
	s_cbranch_scc1 .LBB42_26
.LBB42_14:                              ;   Parent Loop BB42_10 Depth=1
                                        ; =>  This Inner Loop Header: Depth=2
	v_add_u32_e32 v26, s22, v28
	v_cmp_gt_u32_e32 vcc, s6, v26
	v_add_u32_e32 v34, 0x200, v26
	s_and_saveexec_b64 s[16:17], vcc
	s_cbranch_execnz .LBB42_17
; %bb.15:                               ;   in Loop: Header=BB42_14 Depth=2
	s_or_b64 exec, exec, s[16:17]
	s_and_saveexec_b64 s[16:17], vcc
	s_cbranch_execnz .LBB42_20
.LBB42_16:                              ;   in Loop: Header=BB42_14 Depth=2
	s_or_b64 exec, exec, s[16:17]
	s_and_saveexec_b64 s[4:5], vcc
	s_cbranch_execz .LBB42_13
	s_branch .LBB42_23
.LBB42_17:                              ;   in Loop: Header=BB42_14 Depth=2
	v_add_u32_e32 v26, s22, v32
	s_waitcnt lgkmcnt(0)
	v_lshl_add_u64 v[36:37], v[26:27], 1, s[8:9]
	v_lshl_add_u64 v[38:39], s[12:13], 1, v[36:37]
	global_load_dwordx4 v[20:23], v[36:37], off nt
	global_load_dwordx4 v[12:15], v[38:39], off nt
	v_cmp_gt_u32_e64 s[4:5], s6, v34
	s_and_saveexec_b64 s[18:19], s[4:5]
	s_cbranch_execz .LBB42_19
; %bb.18:                               ;   in Loop: Header=BB42_14 Depth=2
	v_add_u32_e32 v26, 0x200, v26
	v_lshl_add_u64 v[36:37], v[26:27], 1, s[8:9]
	v_lshl_add_u64 v[38:39], s[12:13], 1, v[36:37]
	global_load_dwordx4 v[16:19], v[36:37], off nt
	global_load_dwordx4 v[8:11], v[38:39], off nt
.LBB42_19:                              ;   in Loop: Header=BB42_14 Depth=2
	s_or_b64 exec, exec, s[18:19]
	s_or_b64 exec, exec, s[16:17]
	s_and_saveexec_b64 s[16:17], vcc
	s_cbranch_execz .LBB42_16
.LBB42_20:                              ;   in Loop: Header=BB42_14 Depth=2
	s_waitcnt lgkmcnt(0)
	ds_read_b128 v[4:7], v33
	v_cmp_gt_u32_e64 s[4:5], s6, v34
	s_and_saveexec_b64 s[18:19], s[4:5]
	s_cbranch_execz .LBB42_22
; %bb.21:                               ;   in Loop: Header=BB42_14 Depth=2
	ds_read_b128 v[0:3], v33 offset:1024
.LBB42_22:                              ;   in Loop: Header=BB42_14 Depth=2
	s_or_b64 exec, exec, s[18:19]
	s_or_b64 exec, exec, s[16:17]
	s_and_saveexec_b64 s[4:5], vcc
	s_cbranch_execz .LBB42_13
.LBB42_23:                              ;   in Loop: Header=BB42_14 Depth=2
	s_waitcnt vmcnt(1) lgkmcnt(0)
	;;#ASMSTART
	v_dot2c_f32_f16 v31, v4, v20
	;;#ASMEND
	s_waitcnt vmcnt(0)
	;;#ASMSTART
	v_dot2c_f32_f16 v25, v4, v12
	;;#ASMEND
	v_cmp_gt_u32_e32 vcc, s6, v34
	;;#ASMSTART
	v_dot2c_f32_f16 v31, v5, v21
	;;#ASMEND
	;;#ASMSTART
	v_dot2c_f32_f16 v25, v5, v13
	;;#ASMEND
	s_nop 0
	;;#ASMSTART
	v_dot2c_f32_f16 v31, v6, v22
	;;#ASMEND
	;;#ASMSTART
	v_dot2c_f32_f16 v25, v6, v14
	;;#ASMEND
	s_nop 0
	;;#ASMSTART
	v_dot2c_f32_f16 v31, v7, v23
	;;#ASMEND
	;;#ASMSTART
	v_dot2c_f32_f16 v25, v7, v15
	;;#ASMEND
	s_and_saveexec_b64 s[16:17], vcc
	s_cbranch_execz .LBB42_12
; %bb.24:                               ;   in Loop: Header=BB42_14 Depth=2
	;;#ASMSTART
	v_dot2c_f32_f16 v31, v0, v16
	;;#ASMEND
	;;#ASMSTART
	v_dot2c_f32_f16 v25, v0, v8
	;;#ASMEND
	s_nop 0
	;;#ASMSTART
	v_dot2c_f32_f16 v31, v1, v17
	;;#ASMEND
	;;#ASMSTART
	v_dot2c_f32_f16 v25, v1, v9
	;;#ASMEND
	s_nop 0
	;;#ASMSTART
	v_dot2c_f32_f16 v31, v2, v18
	;;#ASMEND
	;;#ASMSTART
	v_dot2c_f32_f16 v25, v2, v10
	;;#ASMEND
	s_nop 0
	;;#ASMSTART
	v_dot2c_f32_f16 v31, v3, v19
	;;#ASMEND
	;;#ASMSTART
	v_dot2c_f32_f16 v25, v3, v11
	;;#ASMEND
	s_branch .LBB42_12
.LBB42_25:                              ;   in Loop: Header=BB42_10 Depth=1
	v_mov_b32_e32 v31, v27
	v_mov_b32_e32 v25, v27
.LBB42_26:                              ;   in Loop: Header=BB42_10 Depth=1
	;;#ASMSTART
	s_nop 0
	v_add_f32 v31, v31, v31 row_shr:8 bound_ctrl:0 
	;;#ASMEND
	;;#ASMSTART
	s_nop 0
	v_add_f32 v25, v25, v25 row_shr:8 bound_ctrl:0 
	;;#ASMEND
	s_nop 0
	;;#ASMSTART
	s_nop 0
	v_add_f32 v31, v31, v31 row_shr:4 bound_ctrl:0 
	;;#ASMEND
	;;#ASMSTART
	s_nop 0
	v_add_f32 v25, v25, v25 row_shr:4 bound_ctrl:0 
	;;#ASMEND
	s_nop 0
	;; [unrolled: 9-line block ×3, first 2 shown]
	;;#ASMSTART
	s_nop 0
	v_add_f32 v31, v31, v31 wave_shr:1 bound_ctrl:0
	;;#ASMEND
	;;#ASMSTART
	s_nop 0
	v_add_f32 v25, v25, v25 wave_shr:1 bound_ctrl:0
	;;#ASMEND
	s_nop 0
	;;#ASMSTART
	s_nop 0
	v_add_f32 v31, v31, v31 row_bcast:15 bound_ctrl:0
	;;#ASMEND
	;;#ASMSTART
	s_nop 0
	v_add_f32 v25, v25, v25 row_bcast:15 bound_ctrl:0
	;;#ASMEND
	s_nop 0
	;;#ASMSTART
	s_nop 0
	v_add_f32 v31, v31, v31 row_bcast:31 bound_ctrl:0
	;;#ASMEND
	;;#ASMSTART
	s_nop 0
	v_add_f32 v25, v25, v25 row_bcast:31 bound_ctrl:0
	;;#ASMEND
	s_and_saveexec_b64 s[4:5], s[0:1]
	s_cbranch_execz .LBB42_9
; %bb.27:                               ;   in Loop: Header=BB42_10 Depth=1
	v_cvt_f16_f32_e32 v26, v31
	v_cvt_f16_f32_e32 v31, v25
	v_mov_b32_e32 v25, v27
	s_waitcnt lgkmcnt(0)
	v_lshl_add_u64 v[32:33], v[24:25], 1, s[10:11]
	v_pack_b32_f16 v25, v26, v31
	global_store_dword v[32:33], v25, off
	s_branch .LBB42_9
.LBB42_28:
	s_endpgm
	.section	.rodata,"a",@progbits
	.p2align	6, 0x0
	.amdhsa_kernel _ZN5aiter16wvSplitK_hf_sml_I6__halfLi64ELi2ELi16ELi8ELi2ELi1EEEviiPKT_S4_PS2_ii
		.amdhsa_group_segment_fixed_size 65536
		.amdhsa_private_segment_fixed_size 0
		.amdhsa_kernarg_size 40
		.amdhsa_user_sgpr_count 2
		.amdhsa_user_sgpr_dispatch_ptr 0
		.amdhsa_user_sgpr_queue_ptr 0
		.amdhsa_user_sgpr_kernarg_segment_ptr 1
		.amdhsa_user_sgpr_dispatch_id 0
		.amdhsa_user_sgpr_kernarg_preload_length 0
		.amdhsa_user_sgpr_kernarg_preload_offset 0
		.amdhsa_user_sgpr_private_segment_size 0
		.amdhsa_uses_dynamic_stack 0
		.amdhsa_enable_private_segment 0
		.amdhsa_system_sgpr_workgroup_id_x 1
		.amdhsa_system_sgpr_workgroup_id_y 0
		.amdhsa_system_sgpr_workgroup_id_z 0
		.amdhsa_system_sgpr_workgroup_info 0
		.amdhsa_system_vgpr_workitem_id 1
		.amdhsa_next_free_vgpr 40
		.amdhsa_next_free_sgpr 23
		.amdhsa_accum_offset 40
		.amdhsa_reserve_vcc 1
		.amdhsa_float_round_mode_32 0
		.amdhsa_float_round_mode_16_64 0
		.amdhsa_float_denorm_mode_32 3
		.amdhsa_float_denorm_mode_16_64 3
		.amdhsa_dx10_clamp 1
		.amdhsa_ieee_mode 1
		.amdhsa_fp16_overflow 0
		.amdhsa_tg_split 0
		.amdhsa_exception_fp_ieee_invalid_op 0
		.amdhsa_exception_fp_denorm_src 0
		.amdhsa_exception_fp_ieee_div_zero 0
		.amdhsa_exception_fp_ieee_overflow 0
		.amdhsa_exception_fp_ieee_underflow 0
		.amdhsa_exception_fp_ieee_inexact 0
		.amdhsa_exception_int_div_zero 0
	.end_amdhsa_kernel
	.section	.text._ZN5aiter16wvSplitK_hf_sml_I6__halfLi64ELi2ELi16ELi8ELi2ELi1EEEviiPKT_S4_PS2_ii,"axG",@progbits,_ZN5aiter16wvSplitK_hf_sml_I6__halfLi64ELi2ELi16ELi8ELi2ELi1EEEviiPKT_S4_PS2_ii,comdat
.Lfunc_end42:
	.size	_ZN5aiter16wvSplitK_hf_sml_I6__halfLi64ELi2ELi16ELi8ELi2ELi1EEEviiPKT_S4_PS2_ii, .Lfunc_end42-_ZN5aiter16wvSplitK_hf_sml_I6__halfLi64ELi2ELi16ELi8ELi2ELi1EEEviiPKT_S4_PS2_ii
                                        ; -- End function
	.section	.AMDGPU.csdata,"",@progbits
; Kernel info:
; codeLenInByte = 1108
; NumSgprs: 29
; NumVgprs: 40
; NumAgprs: 0
; TotalNumVgprs: 40
; ScratchSize: 0
; MemoryBound: 0
; FloatMode: 240
; IeeeMode: 1
; LDSByteSize: 65536 bytes/workgroup (compile time only)
; SGPRBlocks: 3
; VGPRBlocks: 4
; NumSGPRsForWavesPerEU: 29
; NumVGPRsForWavesPerEU: 40
; AccumOffset: 40
; Occupancy: 4
; WaveLimiterHint : 0
; COMPUTE_PGM_RSRC2:SCRATCH_EN: 0
; COMPUTE_PGM_RSRC2:USER_SGPR: 2
; COMPUTE_PGM_RSRC2:TRAP_HANDLER: 0
; COMPUTE_PGM_RSRC2:TGID_X_EN: 1
; COMPUTE_PGM_RSRC2:TGID_Y_EN: 0
; COMPUTE_PGM_RSRC2:TGID_Z_EN: 0
; COMPUTE_PGM_RSRC2:TIDIG_COMP_CNT: 1
; COMPUTE_PGM_RSRC3_GFX90A:ACCUM_OFFSET: 9
; COMPUTE_PGM_RSRC3_GFX90A:TG_SPLIT: 0
	.section	.text._ZN5aiter12wvSplitK_hf_I6__halfLi64ELi2ELi16ELi8ELi2ELi1EEEviiPKT_S4_PS2_ii,"axG",@progbits,_ZN5aiter12wvSplitK_hf_I6__halfLi64ELi2ELi16ELi8ELi2ELi1EEEviiPKT_S4_PS2_ii,comdat
	.protected	_ZN5aiter12wvSplitK_hf_I6__halfLi64ELi2ELi16ELi8ELi2ELi1EEEviiPKT_S4_PS2_ii ; -- Begin function _ZN5aiter12wvSplitK_hf_I6__halfLi64ELi2ELi16ELi8ELi2ELi1EEEviiPKT_S4_PS2_ii
	.globl	_ZN5aiter12wvSplitK_hf_I6__halfLi64ELi2ELi16ELi8ELi2ELi1EEEviiPKT_S4_PS2_ii
	.p2align	8
	.type	_ZN5aiter12wvSplitK_hf_I6__halfLi64ELi2ELi16ELi8ELi2ELi1EEEviiPKT_S4_PS2_ii,@function
_ZN5aiter12wvSplitK_hf_I6__halfLi64ELi2ELi16ELi8ELi2ELi1EEEviiPKT_S4_PS2_ii: ; @_ZN5aiter12wvSplitK_hf_I6__halfLi64ELi2ELi16ELi8ELi2ELi1EEEviiPKT_S4_PS2_ii
; %bb.0:
	s_load_dwordx2 s[4:5], s[0:1], 0x20
	s_load_dwordx2 s[6:7], s[0:1], 0x0
	;; [unrolled: 1-line block ×3, first 2 shown]
	v_bfe_u32 v3, v0, 10, 10
	s_mov_b32 s10, 1
	s_waitcnt lgkmcnt(0)
	s_mul_i32 s2, s2, s4
	v_add_lshl_u32 v26, s2, v3, 1
	v_add_u32_e32 v1, 2, v26
	v_cmp_gt_u32_e32 vcc, s7, v26
	v_cmp_le_u32_e64 s[2:3], s7, v1
	s_mov_b32 s11, s10
	s_and_b64 s[12:13], vcc, s[2:3]
	v_mov_b64_e32 v[24:25], s[10:11]
	s_and_saveexec_b64 s[2:3], s[12:13]
	s_cbranch_execz .LBB43_6
; %bb.1:
	s_add_i32 s18, s7, -2
	v_cmp_ne_u32_e32 vcc, s18, v26
	v_mov_b64_e32 v[24:25], s[10:11]
	s_and_saveexec_b64 s[10:11], vcc
	s_cbranch_execz .LBB43_5
; %bb.2:
	v_subrev_u32_e32 v1, s18, v26
	s_mov_b32 s12, 1
	v_cmp_lt_u32_e32 vcc, 1, v1
	s_mov_b64 s[14:15], 0
	s_mov_b64 s[16:17], 0
	v_cndmask_b32_e32 v2, 1, v1, vcc
	s_mov_b32 s13, s12
.LBB43_3:                               ; =>This Inner Loop Header: Depth=1
	s_cmp_lg_u32 s16, 1
	s_cselect_b32 s13, s13, 0
	s_cmp_lg_u32 s16, 0
	s_cselect_b32 s12, s12, 0
	s_add_u32 s16, s16, 1
	s_addc_u32 s17, s17, 0
	v_cmp_eq_u32_e32 vcc, s16, v2
	s_or_b64 s[14:15], vcc, s[14:15]
	v_mov_b64_e32 v[24:25], s[12:13]
	s_andn2_b64 exec, exec, s[14:15]
	s_cbranch_execnz .LBB43_3
; %bb.4:
	s_or_b64 exec, exec, s[14:15]
	v_mov_b32_e32 v26, s18
.LBB43_5:
	s_or_b64 exec, exec, s[10:11]
.LBB43_6:
	s_or_b64 exec, exec, s[2:3]
	v_and_b32_e32 v2, 0x3ff, v0
	s_cmp_lg_u32 s6, 0
	v_lshlrev_b32_e32 v28, 3, v2
	s_mov_b32 s14, 0
	s_cselect_b64 s[18:19], -1, 0
	s_cmp_eq_u32 s6, 0
	v_lshlrev_b32_e32 v29, 4, v2
	s_cbranch_scc1 .LBB43_12
; %bb.7:
	v_lshlrev_b32_e32 v0, 4, v2
	s_min_i32 s15, s6, 0x8000
	v_lshl_add_u32 v4, v3, 10, v0
	v_lshl_add_u32 v5, v3, 9, v28
	s_mov_b64 s[2:3], 0
	v_mov_b32_e32 v1, 0
                                        ; implicit-def: $sgpr10_sgpr11
	s_branch .LBB43_9
.LBB43_8:                               ;   in Loop: Header=BB43_9 Depth=1
	s_or_b64 exec, exec, s[12:13]
	s_and_b64 s[12:13], exec, s[10:11]
	s_or_b64 s[2:3], s[12:13], s[2:3]
	s_andn2_b64 exec, exec, s[2:3]
	s_cbranch_execz .LBB43_11
.LBB43_9:                               ; =>This Inner Loop Header: Depth=1
	v_add_u32_e32 v0, s14, v5
	v_cmp_gt_u32_e32 vcc, s15, v0
	s_or_b64 s[10:11], s[10:11], exec
	s_and_saveexec_b64 s[12:13], vcc
	s_cbranch_execz .LBB43_8
; %bb.10:                               ;   in Loop: Header=BB43_9 Depth=1
	v_lshl_add_u64 v[6:7], v[0:1], 1, s[8:9]
	global_load_dwordx4 v[6:9], v[6:7], off
	s_addk_i32 s14, 0x2000
	s_cmp_ge_u32 s14, s15
	s_cselect_b64 s[16:17], -1, 0
	s_andn2_b64 s[10:11], s[10:11], exec
	s_and_b64 s[16:17], s[16:17], exec
	s_or_b64 s[10:11], s[10:11], s[16:17]
	s_waitcnt vmcnt(0)
	ds_write_b128 v4, v[6:9]
	v_add_u32_e32 v4, 0x4000, v4
	s_branch .LBB43_8
.LBB43_11:
	s_or_b64 exec, exec, s[2:3]
.LBB43_12:
	v_cmp_gt_u32_e32 vcc, s4, v3
	v_cmp_gt_u32_e64 s[2:3], s7, v26
	s_and_b64 s[2:3], vcc, s[2:3]
	s_waitcnt lgkmcnt(0)
	s_barrier
	s_and_saveexec_b64 s[10:11], s[2:3]
	s_cbranch_execz .LBB43_50
; %bb.13:
	s_load_dwordx2 s[10:11], s[0:1], 0x8
	s_load_dwordx2 s[12:13], s[0:1], 0x18
	s_mul_i32 s2, s4, s5
	v_cndmask_b32_e64 v0, 0, 1, s[18:19]
	s_ashr_i32 s15, s6, 31
	s_mov_b32 s14, s6
	v_cmp_eq_u32_e64 s[0:1], 63, v2
	s_lshl_b32 s26, s2, 1
	s_add_i32 s27, s7, -2
	s_mov_b64 s[16:17], 0
	v_cmp_ne_u32_e64 s[2:3], 1, v0
	v_mov_b32_e32 v31, 0
	s_movk_i32 s28, 0x7fff
                                        ; implicit-def: $vgpr0_vgpr1_vgpr2_vgpr3
                                        ; implicit-def: $vgpr4_vgpr5_vgpr6_vgpr7
                                        ; implicit-def: $vgpr8_vgpr9_vgpr10_vgpr11
                                        ; implicit-def: $vgpr12_vgpr13_vgpr14_vgpr15
                                        ; implicit-def: $vgpr18_vgpr19
                                        ; implicit-def: $vgpr22_vgpr23
	s_branch .LBB43_16
.LBB43_14:                              ;   in Loop: Header=BB43_16 Depth=1
	s_or_b64 exec, exec, s[20:21]
	v_mov_b32_e32 v26, s27
.LBB43_15:                              ;   in Loop: Header=BB43_16 Depth=1
	s_or_b64 exec, exec, s[18:19]
	v_cmp_le_u32_e32 vcc, s7, v26
	s_or_b64 s[16:17], vcc, s[16:17]
	s_andn2_b64 exec, exec, s[16:17]
	s_cbranch_execz .LBB43_50
.LBB43_16:                              ; =>This Loop Header: Depth=1
                                        ;     Child Loop BB43_20 Depth 2
                                        ;     Child Loop BB43_48 Depth 2
	s_and_b64 vcc, exec, s[2:3]
	s_mov_b32 s22, 0
	s_cbranch_vccnz .LBB43_39
; %bb.17:                               ;   in Loop: Header=BB43_16 Depth=1
	v_mad_u64_u32 v[32:33], s[4:5], v26, s6, v[28:29]
	v_mov_b32_e32 v33, 0
	v_mov_b32_e32 v38, v29
	v_mov_b32_e32 v27, 0
	s_branch .LBB43_20
.LBB43_18:                              ;   in Loop: Header=BB43_20 Depth=2
	s_or_b64 exec, exec, s[18:19]
.LBB43_19:                              ;   in Loop: Header=BB43_20 Depth=2
	s_or_b64 exec, exec, s[4:5]
	s_addk_i32 s22, 0x400
	s_cmp_ge_u32 s22, s6
	v_add_u32_e32 v38, 0x800, v38
	s_cbranch_scc1 .LBB43_40
.LBB43_20:                              ;   Parent Loop BB43_16 Depth=1
                                        ; =>  This Inner Loop Header: Depth=2
	v_add_u32_e32 v36, s22, v28
	v_cmp_gt_u32_e32 vcc, s6, v36
	v_add_u32_e32 v34, 0x200, v36
	s_and_saveexec_b64 s[18:19], vcc
	s_cbranch_execnz .LBB43_23
; %bb.21:                               ;   in Loop: Header=BB43_20 Depth=2
	s_or_b64 exec, exec, s[18:19]
	s_and_saveexec_b64 s[18:19], vcc
	s_cbranch_execnz .LBB43_26
.LBB43_22:                              ;   in Loop: Header=BB43_20 Depth=2
	s_or_b64 exec, exec, s[18:19]
	s_and_saveexec_b64 s[4:5], vcc
	s_cbranch_execz .LBB43_19
	s_branch .LBB43_37
.LBB43_23:                              ;   in Loop: Header=BB43_20 Depth=2
	v_add_u32_e32 v30, s22, v32
	s_waitcnt lgkmcnt(0)
	v_lshl_add_u64 v[40:41], v[30:31], 1, s[10:11]
	v_lshl_add_u64 v[42:43], s[14:15], 1, v[40:41]
	global_load_dwordx4 v[12:15], v[40:41], off nt
	global_load_dwordx4 v[4:7], v[42:43], off nt
	v_cmp_gt_u32_e64 s[4:5], s6, v34
	s_and_saveexec_b64 s[20:21], s[4:5]
	s_cbranch_execz .LBB43_25
; %bb.24:                               ;   in Loop: Header=BB43_20 Depth=2
	v_add_u32_e32 v30, 0x200, v30
	v_lshl_add_u64 v[40:41], v[30:31], 1, s[10:11]
	v_lshl_add_u64 v[42:43], s[14:15], 1, v[40:41]
	global_load_dwordx4 v[8:11], v[40:41], off nt
	global_load_dwordx4 v[0:3], v[42:43], off nt
.LBB43_25:                              ;   in Loop: Header=BB43_20 Depth=2
	s_or_b64 exec, exec, s[20:21]
	s_or_b64 exec, exec, s[18:19]
	s_and_saveexec_b64 s[18:19], vcc
	s_cbranch_execz .LBB43_22
.LBB43_26:                              ;   in Loop: Header=BB43_20 Depth=2
	v_cmp_lt_u32_e64 s[4:5], s28, v36
                                        ; implicit-def: $vgpr16_vgpr17
	s_and_saveexec_b64 s[20:21], s[4:5]
	s_xor_b64 s[4:5], exec, s[20:21]
	s_cbranch_execnz .LBB43_29
; %bb.27:                               ;   in Loop: Header=BB43_20 Depth=2
	s_andn2_saveexec_b64 s[4:5], s[4:5]
	s_cbranch_execnz .LBB43_30
.LBB43_28:                              ;   in Loop: Header=BB43_20 Depth=2
	s_or_b64 exec, exec, s[4:5]
	v_cmp_gt_u32_e64 s[4:5], s6, v34
	s_and_saveexec_b64 s[20:21], s[4:5]
	s_cbranch_execnz .LBB43_31
	s_branch .LBB43_36
.LBB43_29:                              ;   in Loop: Header=BB43_20 Depth=2
	v_mov_b32_e32 v37, v31
	s_waitcnt vmcnt(0) lgkmcnt(0)
	v_lshl_add_u64 v[16:17], v[36:37], 1, s[8:9]
	global_load_dwordx4 v[16:19], v[16:17], off
	s_andn2_saveexec_b64 s[4:5], s[4:5]
	s_cbranch_execz .LBB43_28
.LBB43_30:                              ;   in Loop: Header=BB43_20 Depth=2
	s_waitcnt vmcnt(0) lgkmcnt(0)
	ds_read_b128 v[16:19], v38
	s_or_b64 exec, exec, s[4:5]
	v_cmp_gt_u32_e64 s[4:5], s6, v34
	s_and_saveexec_b64 s[20:21], s[4:5]
	s_cbranch_execz .LBB43_36
.LBB43_31:                              ;   in Loop: Header=BB43_20 Depth=2
	v_cmp_lt_u32_e64 s[4:5], s28, v34
                                        ; implicit-def: $vgpr20_vgpr21
	s_and_saveexec_b64 s[24:25], s[4:5]
	s_xor_b64 s[4:5], exec, s[24:25]
	s_cbranch_execz .LBB43_33
; %bb.32:                               ;   in Loop: Header=BB43_20 Depth=2
	v_mov_b32_e32 v35, v31
	s_waitcnt vmcnt(0) lgkmcnt(0)
	v_lshl_add_u64 v[20:21], v[34:35], 1, s[8:9]
	global_load_dwordx4 v[20:23], v[20:21], off
.LBB43_33:                              ;   in Loop: Header=BB43_20 Depth=2
	s_andn2_saveexec_b64 s[4:5], s[4:5]
	s_cbranch_execz .LBB43_35
; %bb.34:                               ;   in Loop: Header=BB43_20 Depth=2
	s_waitcnt vmcnt(0) lgkmcnt(0)
	ds_read_b128 v[20:23], v38 offset:1024
.LBB43_35:                              ;   in Loop: Header=BB43_20 Depth=2
	s_or_b64 exec, exec, s[4:5]
.LBB43_36:                              ;   in Loop: Header=BB43_20 Depth=2
	s_or_b64 exec, exec, s[20:21]
	s_or_b64 exec, exec, s[18:19]
	s_and_saveexec_b64 s[4:5], vcc
	s_cbranch_execz .LBB43_19
.LBB43_37:                              ;   in Loop: Header=BB43_20 Depth=2
	s_waitcnt vmcnt(0) lgkmcnt(0)
	;;#ASMSTART
	v_dot2c_f32_f16 v27, v16, v12
	;;#ASMEND
	;;#ASMSTART
	v_dot2c_f32_f16 v33, v16, v4
	;;#ASMEND
	v_cmp_gt_u32_e32 vcc, s6, v34
	;;#ASMSTART
	v_dot2c_f32_f16 v27, v17, v13
	;;#ASMEND
	;;#ASMSTART
	v_dot2c_f32_f16 v33, v17, v5
	;;#ASMEND
	s_nop 0
	;;#ASMSTART
	v_dot2c_f32_f16 v27, v18, v14
	;;#ASMEND
	;;#ASMSTART
	v_dot2c_f32_f16 v33, v18, v6
	;;#ASMEND
	s_nop 0
	;;#ASMSTART
	v_dot2c_f32_f16 v27, v19, v15
	;;#ASMEND
	;;#ASMSTART
	v_dot2c_f32_f16 v33, v19, v7
	;;#ASMEND
	s_and_saveexec_b64 s[18:19], vcc
	s_cbranch_execz .LBB43_18
; %bb.38:                               ;   in Loop: Header=BB43_20 Depth=2
	;;#ASMSTART
	v_dot2c_f32_f16 v27, v20, v8
	;;#ASMEND
	;;#ASMSTART
	v_dot2c_f32_f16 v33, v20, v0
	;;#ASMEND
	s_nop 0
	;;#ASMSTART
	v_dot2c_f32_f16 v27, v21, v9
	;;#ASMEND
	;;#ASMSTART
	v_dot2c_f32_f16 v33, v21, v1
	;;#ASMEND
	s_nop 0
	;; [unrolled: 7-line block ×3, first 2 shown]
	;;#ASMSTART
	v_dot2c_f32_f16 v27, v23, v11
	;;#ASMEND
	;;#ASMSTART
	v_dot2c_f32_f16 v33, v23, v3
	;;#ASMEND
	s_branch .LBB43_18
.LBB43_39:                              ;   in Loop: Header=BB43_16 Depth=1
	v_mov_b32_e32 v27, v31
	v_mov_b32_e32 v33, v31
.LBB43_40:                              ;   in Loop: Header=BB43_16 Depth=1
	;;#ASMSTART
	s_nop 0
	v_add_f32 v27, v27, v27 row_shr:8 bound_ctrl:0 
	;;#ASMEND
	;;#ASMSTART
	s_nop 0
	v_add_f32 v33, v33, v33 row_shr:8 bound_ctrl:0 
	;;#ASMEND
	s_nop 0
	;;#ASMSTART
	s_nop 0
	v_add_f32 v27, v27, v27 row_shr:4 bound_ctrl:0 
	;;#ASMEND
	;;#ASMSTART
	s_nop 0
	v_add_f32 v33, v33, v33 row_shr:4 bound_ctrl:0 
	;;#ASMEND
	s_nop 0
	;; [unrolled: 9-line block ×3, first 2 shown]
	;;#ASMSTART
	s_nop 0
	v_add_f32 v27, v27, v27 wave_shr:1 bound_ctrl:0
	;;#ASMEND
	;;#ASMSTART
	s_nop 0
	v_add_f32 v33, v33, v33 wave_shr:1 bound_ctrl:0
	;;#ASMEND
	s_nop 0
	;;#ASMSTART
	s_nop 0
	v_add_f32 v27, v27, v27 row_bcast:15 bound_ctrl:0
	;;#ASMEND
	;;#ASMSTART
	s_nop 0
	v_add_f32 v33, v33, v33 row_bcast:15 bound_ctrl:0
	;;#ASMEND
	s_nop 0
	;;#ASMSTART
	s_nop 0
	v_add_f32 v27, v27, v27 row_bcast:31 bound_ctrl:0
	;;#ASMEND
	;;#ASMSTART
	s_nop 0
	v_add_f32 v33, v33, v33 row_bcast:31 bound_ctrl:0
	;;#ASMEND
	s_and_saveexec_b64 s[4:5], s[0:1]
	s_cbranch_execz .LBB43_45
; %bb.41:                               ;   in Loop: Header=BB43_16 Depth=1
	v_cmp_ne_u32_e32 vcc, 0, v24
	s_and_saveexec_b64 s[18:19], vcc
	s_cbranch_execz .LBB43_43
; %bb.42:                               ;   in Loop: Header=BB43_16 Depth=1
	v_cvt_f16_f32_e32 v30, v27
	v_mov_b32_e32 v27, v31
	s_waitcnt lgkmcnt(0)
	v_lshl_add_u64 v[34:35], v[26:27], 1, s[12:13]
	global_store_short v[34:35], v30, off
.LBB43_43:                              ;   in Loop: Header=BB43_16 Depth=1
	s_or_b64 exec, exec, s[18:19]
	v_cmp_ne_u32_e32 vcc, 0, v25
	s_and_b64 exec, exec, vcc
	s_cbranch_execz .LBB43_45
; %bb.44:                               ;   in Loop: Header=BB43_16 Depth=1
	v_cvt_f16_f32_e32 v27, v33
	v_add_u32_e32 v30, 1, v26
	s_waitcnt lgkmcnt(0)
	v_lshl_add_u64 v[32:33], v[30:31], 1, s[12:13]
	global_store_short v[32:33], v27, off
.LBB43_45:                              ;   in Loop: Header=BB43_16 Depth=1
	s_or_b64 exec, exec, s[4:5]
	v_add_u32_e32 v26, s26, v26
	v_add_u32_e32 v27, 2, v26
	v_cmp_gt_u32_e32 vcc, s7, v26
	v_cmp_le_u32_e64 s[4:5], s7, v27
	s_and_b64 s[4:5], vcc, s[4:5]
	s_and_saveexec_b64 s[18:19], s[4:5]
	s_cbranch_execz .LBB43_15
; %bb.46:                               ;   in Loop: Header=BB43_16 Depth=1
	v_cmp_ne_u32_e32 vcc, s27, v26
	s_and_saveexec_b64 s[20:21], vcc
	s_cbranch_execz .LBB43_14
; %bb.47:                               ;   in Loop: Header=BB43_16 Depth=1
	v_subrev_u32_e32 v26, s27, v26
	v_cmp_lt_u32_e32 vcc, 1, v26
	s_mov_b64 s[22:23], 0
	s_mov_b64 s[24:25], 0
	v_cndmask_b32_e32 v26, 1, v26, vcc
.LBB43_48:                              ;   Parent Loop BB43_16 Depth=1
                                        ; =>  This Inner Loop Header: Depth=2
	s_cmp_lg_u32 s24, 1
	s_cselect_b64 vcc, -1, 0
	s_cmp_lg_u32 s24, 0
	v_cndmask_b32_e32 v25, 0, v25, vcc
	s_cselect_b64 vcc, -1, 0
	s_add_u32 s24, s24, 1
	s_addc_u32 s25, s25, 0
	v_cmp_eq_u32_e64 s[4:5], s24, v26
	s_or_b64 s[22:23], s[4:5], s[22:23]
	v_cndmask_b32_e32 v24, 0, v24, vcc
	s_andn2_b64 exec, exec, s[22:23]
	s_cbranch_execnz .LBB43_48
; %bb.49:                               ;   in Loop: Header=BB43_16 Depth=1
	s_or_b64 exec, exec, s[22:23]
	s_branch .LBB43_14
.LBB43_50:
	s_endpgm
	.section	.rodata,"a",@progbits
	.p2align	6, 0x0
	.amdhsa_kernel _ZN5aiter12wvSplitK_hf_I6__halfLi64ELi2ELi16ELi8ELi2ELi1EEEviiPKT_S4_PS2_ii
		.amdhsa_group_segment_fixed_size 65536
		.amdhsa_private_segment_fixed_size 0
		.amdhsa_kernarg_size 40
		.amdhsa_user_sgpr_count 2
		.amdhsa_user_sgpr_dispatch_ptr 0
		.amdhsa_user_sgpr_queue_ptr 0
		.amdhsa_user_sgpr_kernarg_segment_ptr 1
		.amdhsa_user_sgpr_dispatch_id 0
		.amdhsa_user_sgpr_kernarg_preload_length 0
		.amdhsa_user_sgpr_kernarg_preload_offset 0
		.amdhsa_user_sgpr_private_segment_size 0
		.amdhsa_uses_dynamic_stack 0
		.amdhsa_enable_private_segment 0
		.amdhsa_system_sgpr_workgroup_id_x 1
		.amdhsa_system_sgpr_workgroup_id_y 0
		.amdhsa_system_sgpr_workgroup_id_z 0
		.amdhsa_system_sgpr_workgroup_info 0
		.amdhsa_system_vgpr_workitem_id 1
		.amdhsa_next_free_vgpr 44
		.amdhsa_next_free_sgpr 29
		.amdhsa_accum_offset 44
		.amdhsa_reserve_vcc 1
		.amdhsa_float_round_mode_32 0
		.amdhsa_float_round_mode_16_64 0
		.amdhsa_float_denorm_mode_32 3
		.amdhsa_float_denorm_mode_16_64 3
		.amdhsa_dx10_clamp 1
		.amdhsa_ieee_mode 1
		.amdhsa_fp16_overflow 0
		.amdhsa_tg_split 0
		.amdhsa_exception_fp_ieee_invalid_op 0
		.amdhsa_exception_fp_denorm_src 0
		.amdhsa_exception_fp_ieee_div_zero 0
		.amdhsa_exception_fp_ieee_overflow 0
		.amdhsa_exception_fp_ieee_underflow 0
		.amdhsa_exception_fp_ieee_inexact 0
		.amdhsa_exception_int_div_zero 0
	.end_amdhsa_kernel
	.section	.text._ZN5aiter12wvSplitK_hf_I6__halfLi64ELi2ELi16ELi8ELi2ELi1EEEviiPKT_S4_PS2_ii,"axG",@progbits,_ZN5aiter12wvSplitK_hf_I6__halfLi64ELi2ELi16ELi8ELi2ELi1EEEviiPKT_S4_PS2_ii,comdat
.Lfunc_end43:
	.size	_ZN5aiter12wvSplitK_hf_I6__halfLi64ELi2ELi16ELi8ELi2ELi1EEEviiPKT_S4_PS2_ii, .Lfunc_end43-_ZN5aiter12wvSplitK_hf_I6__halfLi64ELi2ELi16ELi8ELi2ELi1EEEviiPKT_S4_PS2_ii
                                        ; -- End function
	.section	.AMDGPU.csdata,"",@progbits
; Kernel info:
; codeLenInByte = 1556
; NumSgprs: 35
; NumVgprs: 44
; NumAgprs: 0
; TotalNumVgprs: 44
; ScratchSize: 0
; MemoryBound: 1
; FloatMode: 240
; IeeeMode: 1
; LDSByteSize: 65536 bytes/workgroup (compile time only)
; SGPRBlocks: 4
; VGPRBlocks: 5
; NumSGPRsForWavesPerEU: 35
; NumVGPRsForWavesPerEU: 44
; AccumOffset: 44
; Occupancy: 4
; WaveLimiterHint : 0
; COMPUTE_PGM_RSRC2:SCRATCH_EN: 0
; COMPUTE_PGM_RSRC2:USER_SGPR: 2
; COMPUTE_PGM_RSRC2:TRAP_HANDLER: 0
; COMPUTE_PGM_RSRC2:TGID_X_EN: 1
; COMPUTE_PGM_RSRC2:TGID_Y_EN: 0
; COMPUTE_PGM_RSRC2:TGID_Z_EN: 0
; COMPUTE_PGM_RSRC2:TIDIG_COMP_CNT: 1
; COMPUTE_PGM_RSRC3_GFX90A:ACCUM_OFFSET: 10
; COMPUTE_PGM_RSRC3_GFX90A:TG_SPLIT: 0
	.section	.text._ZN5aiter16wvSplitK_hf_big_I6__halfLi64ELi2ELi16ELi8ELi2ELi1EEEviiPKT_S4_PS2_ii,"axG",@progbits,_ZN5aiter16wvSplitK_hf_big_I6__halfLi64ELi2ELi16ELi8ELi2ELi1EEEviiPKT_S4_PS2_ii,comdat
	.protected	_ZN5aiter16wvSplitK_hf_big_I6__halfLi64ELi2ELi16ELi8ELi2ELi1EEEviiPKT_S4_PS2_ii ; -- Begin function _ZN5aiter16wvSplitK_hf_big_I6__halfLi64ELi2ELi16ELi8ELi2ELi1EEEviiPKT_S4_PS2_ii
	.globl	_ZN5aiter16wvSplitK_hf_big_I6__halfLi64ELi2ELi16ELi8ELi2ELi1EEEviiPKT_S4_PS2_ii
	.p2align	8
	.type	_ZN5aiter16wvSplitK_hf_big_I6__halfLi64ELi2ELi16ELi8ELi2ELi1EEEviiPKT_S4_PS2_ii,@function
_ZN5aiter16wvSplitK_hf_big_I6__halfLi64ELi2ELi16ELi8ELi2ELi1EEEviiPKT_S4_PS2_ii: ; @_ZN5aiter16wvSplitK_hf_big_I6__halfLi64ELi2ELi16ELi8ELi2ELi1EEEviiPKT_S4_PS2_ii
; %bb.0:
	s_load_dwordx2 s[4:5], s[0:1], 0x20
	v_bfe_u32 v1, v0, 10, 10
	s_waitcnt lgkmcnt(0)
	v_cmp_gt_u32_e32 vcc, s4, v1
	s_and_saveexec_b64 s[6:7], vcc
	s_cbranch_execz .LBB44_51
; %bb.1:
	s_load_dwordx2 s[10:11], s[0:1], 0x0
	s_mul_i32 s2, s2, s4
	v_add_lshl_u32 v26, s2, v1, 1
	s_mov_b32 s6, 1
	v_add_u32_e32 v2, 2, v26
	s_waitcnt lgkmcnt(0)
	v_cmp_gt_u32_e32 vcc, s11, v26
	v_cmp_le_u32_e64 s[2:3], s11, v2
	s_mov_b32 s7, s6
	s_and_b64 s[8:9], vcc, s[2:3]
	v_mov_b64_e32 v[24:25], s[6:7]
	s_and_saveexec_b64 s[2:3], s[8:9]
	s_cbranch_execz .LBB44_7
; %bb.2:
	s_add_i32 s16, s11, -2
	v_cmp_ne_u32_e32 vcc, s16, v26
	v_mov_b64_e32 v[24:25], s[6:7]
	s_and_saveexec_b64 s[6:7], vcc
	s_cbranch_execz .LBB44_6
; %bb.3:
	v_subrev_u32_e32 v2, s16, v26
	s_mov_b32 s8, 1
	v_cmp_lt_u32_e32 vcc, 1, v2
	s_mov_b64 s[12:13], 0
	s_mov_b64 s[14:15], 0
	v_cndmask_b32_e32 v2, 1, v2, vcc
	s_mov_b32 s9, s8
.LBB44_4:                               ; =>This Inner Loop Header: Depth=1
	s_cmp_lg_u32 s14, 1
	s_cselect_b32 s9, s9, 0
	s_cmp_lg_u32 s14, 0
	s_cselect_b32 s8, s8, 0
	s_add_u32 s14, s14, 1
	s_addc_u32 s15, s15, 0
	v_cmp_eq_u32_e32 vcc, s14, v2
	s_or_b64 s[12:13], vcc, s[12:13]
	v_mov_b64_e32 v[24:25], s[8:9]
	s_andn2_b64 exec, exec, s[12:13]
	s_cbranch_execnz .LBB44_4
; %bb.5:
	s_or_b64 exec, exec, s[12:13]
	v_mov_b32_e32 v26, s16
.LBB44_6:
	s_or_b64 exec, exec, s[6:7]
.LBB44_7:
	s_or_b64 exec, exec, s[2:3]
	s_lshl_b32 s2, s4, 1
	s_abs_i32 s3, s2
	v_cvt_f32_u32_e32 v2, s3
	s_sub_i32 s8, 0, s3
	s_abs_i32 s7, s11
	s_ashr_i32 s6, s11, 31
	v_rcp_iflag_f32_e32 v2, v2
	s_nop 0
	v_mul_f32_e32 v2, 0x4f7ffffe, v2
	v_cvt_u32_f32_e32 v2, v2
	s_nop 0
	v_readfirstlane_b32 s9, v2
	s_mul_i32 s8, s8, s9
	s_mul_hi_u32 s8, s9, s8
	s_add_i32 s9, s9, s8
	s_mul_hi_u32 s8, s7, s9
	s_mul_i32 s8, s8, s3
	s_sub_i32 s7, s7, s8
	s_sub_i32 s8, s7, s3
	s_cmp_ge_u32 s7, s3
	s_cselect_b32 s7, s8, s7
	s_sub_i32 s8, s7, s3
	s_cmp_ge_u32 s7, s3
	s_cselect_b32 s3, s8, s7
	s_xor_b32 s3, s3, s6
	s_sub_i32 s3, s3, s6
	s_add_i32 s2, s2, s11
	s_sub_i32 s2, s2, s3
	s_cmp_eq_u32 s3, 0
	s_cselect_b32 s33, s11, s2
	v_cmp_gt_u32_e32 vcc, s33, v26
	s_and_b64 exec, exec, vcc
	s_cbranch_execz .LBB44_51
; %bb.8:
	s_mov_b32 s2, 0
	s_load_dwordx4 s[12:15], s[0:1], 0x8
	s_load_dwordx2 s[16:17], s[0:1], 0x18
	v_cvt_f64_i32_e32 v[2:3], s10
	s_mov_b32 s3, 0x40e00000
	v_min_f64 v[2:3], v[2:3], s[2:3]
	s_cmp_lg_u32 s10, 0
	v_and_b32_e32 v0, 0x3ff, v0
	s_mul_i32 s0, s5, s4
	v_cvt_u32_f64_e32 v2, v[2:3]
	v_lshlrev_b32_e32 v30, 3, v0
	s_cselect_b64 s[2:3], -1, 0
	s_lshl_b32 s36, s0, 1
	v_cmp_eq_u32_e64 s[0:1], 63, v0
	v_lshlrev_b32_e32 v0, 4, v0
	s_lshl_b32 s35, s4, 9
	s_ashr_i32 s19, s10, 31
	s_add_i32 s37, s11, -2
	v_lshl_add_u32 v31, v1, 10, v0
	v_cndmask_b32_e64 v0, 0, 1, s[2:3]
	v_cmp_ne_u32_e32 vcc, 0, v2
	s_waitcnt lgkmcnt(0)
	s_add_u32 s20, s16, 2
	v_cmp_ne_u32_e64 s[2:3], 1, v0
	v_cndmask_b32_e64 v0, 0, 1, vcc
	v_readfirstlane_b32 s34, v2
	s_mov_b32 s18, s10
	s_addc_u32 s21, s17, 0
	s_lshl_b32 s38, s4, 10
	v_lshl_add_u32 v32, v1, 9, v30
	s_mov_b64 s[22:23], 0
	v_cmp_ne_u32_e64 s[4:5], 1, v0
	v_mov_b32_e32 v29, 0
                                        ; implicit-def: $vgpr4_vgpr5_vgpr6_vgpr7
                                        ; implicit-def: $vgpr12_vgpr13_vgpr14_vgpr15
                                        ; implicit-def: $vgpr8_vgpr9_vgpr10_vgpr11
                                        ; implicit-def: $vgpr16_vgpr17_vgpr18_vgpr19
                                        ; implicit-def: $vgpr2_vgpr3
                                        ; implicit-def: $vgpr22_vgpr23
	s_branch .LBB44_12
.LBB44_9:                               ;   in Loop: Header=BB44_12 Depth=1
	s_or_b64 exec, exec, s[26:27]
	v_mov_b32_e32 v26, s37
.LBB44_10:                              ;   in Loop: Header=BB44_12 Depth=1
	s_or_b64 exec, exec, s[24:25]
.LBB44_11:                              ;   in Loop: Header=BB44_12 Depth=1
	s_or_b64 exec, exec, s[8:9]
	v_cmp_le_u32_e32 vcc, s33, v26
	s_or_b64 s[22:23], vcc, s[22:23]
	s_andn2_b64 exec, exec, s[22:23]
	s_cbranch_execz .LBB44_51
.LBB44_12:                              ; =>This Loop Header: Depth=1
                                        ;     Child Loop BB44_17 Depth 2
                                        ;       Child Loop BB44_21 Depth 3
                                        ;     Child Loop BB44_49 Depth 2
	s_and_b64 vcc, exec, s[2:3]
	s_mov_b32 s30, 0
	s_cbranch_vccnz .LBB44_37
; %bb.13:                               ;   in Loop: Header=BB44_12 Depth=1
	v_cmp_gt_u32_e64 s[6:7], s11, v26
	v_mul_lo_u32 v34, v26, s10
	v_mov_b32_e32 v33, 0
	v_mov_b32_e32 v27, 0
	s_mov_b32 s31, 0
	s_branch .LBB44_17
.LBB44_14:                              ;   in Loop: Header=BB44_17 Depth=2
	s_or_b64 exec, exec, s[26:27]
.LBB44_15:                              ;   in Loop: Header=BB44_17 Depth=2
	s_or_b64 exec, exec, s[8:9]
.LBB44_16:                              ;   in Loop: Header=BB44_17 Depth=2
	s_or_b64 exec, exec, s[24:25]
	s_addk_i32 s31, 0x400
	s_cmp_ge_u32 s31, s10
	s_cbranch_scc1 .LBB44_38
.LBB44_17:                              ;   Parent Loop BB44_12 Depth=1
                                        ; =>  This Loop Header: Depth=2
                                        ;       Child Loop BB44_21 Depth 3
	s_cmp_eq_u32 s31, 0
	s_cselect_b64 s[8:9], -1, 0
	s_add_i32 s24, s30, s34
	s_cmp_eq_u32 s31, s24
	s_cselect_b64 s[26:27], -1, 0
	s_or_b64 s[26:27], s[8:9], s[26:27]
	s_andn2_b64 vcc, exec, s[26:27]
	s_cbranch_vccnz .LBB44_25
; %bb.18:                               ;   in Loop: Header=BB44_17 Depth=2
	s_and_b64 s[8:9], s[8:9], exec
	s_cselect_b32 s30, s30, s24
	s_and_b64 vcc, exec, s[4:5]
	s_barrier
	s_cbranch_vccnz .LBB44_24
; %bb.19:                               ;   in Loop: Header=BB44_17 Depth=2
	v_add_u32_e32 v35, s30, v32
	s_mov_b32 s28, 0
	s_mov_b64 s[24:25], 0
	v_mov_b32_e32 v36, v31
                                        ; implicit-def: $sgpr26_sgpr27
	s_branch .LBB44_21
.LBB44_20:                              ;   in Loop: Header=BB44_21 Depth=3
	s_or_b64 exec, exec, s[8:9]
	s_and_b64 s[8:9], exec, s[26:27]
	s_or_b64 s[24:25], s[8:9], s[24:25]
	s_andn2_b64 exec, exec, s[24:25]
	s_cbranch_execz .LBB44_23
.LBB44_21:                              ;   Parent Loop BB44_12 Depth=1
                                        ;     Parent Loop BB44_17 Depth=2
                                        ; =>    This Inner Loop Header: Depth=3
	v_add_u32_e32 v37, s28, v32
	v_add_u32_e32 v28, s28, v35
	v_cmp_gt_u32_e32 vcc, s10, v28
	v_cmp_gt_u32_e64 s[8:9], s34, v37
	s_and_b64 s[40:41], vcc, s[8:9]
	s_or_b64 s[26:27], s[26:27], exec
	s_and_saveexec_b64 s[8:9], s[40:41]
	s_cbranch_execz .LBB44_20
; %bb.22:                               ;   in Loop: Header=BB44_21 Depth=3
	v_lshl_add_u64 v[38:39], v[28:29], 1, s[14:15]
	global_load_dwordx4 v[38:41], v[38:39], off
	s_add_i32 s28, s28, s35
	s_cmp_ge_u32 s28, s34
	s_cselect_b64 s[40:41], -1, 0
	s_andn2_b64 s[26:27], s[26:27], exec
	s_and_b64 s[40:41], s[40:41], exec
	s_or_b64 s[26:27], s[26:27], s[40:41]
	s_waitcnt vmcnt(0)
	ds_write_b128 v36, v[38:41]
	v_add_u32_e32 v36, s38, v36
	s_branch .LBB44_20
.LBB44_23:                              ;   in Loop: Header=BB44_17 Depth=2
	s_or_b64 exec, exec, s[24:25]
.LBB44_24:                              ;   in Loop: Header=BB44_17 Depth=2
	s_waitcnt lgkmcnt(0)
	s_barrier
.LBB44_25:                              ;   in Loop: Header=BB44_17 Depth=2
	s_and_saveexec_b64 s[24:25], s[6:7]
	s_cbranch_execz .LBB44_16
; %bb.26:                               ;   in Loop: Header=BB44_17 Depth=2
	v_add_u32_e32 v35, s31, v30
	v_cmp_gt_u32_e32 vcc, s10, v35
	s_and_saveexec_b64 s[26:27], vcc
	s_cbranch_execnz .LBB44_29
; %bb.27:                               ;   in Loop: Header=BB44_17 Depth=2
	s_or_b64 exec, exec, s[26:27]
	s_and_saveexec_b64 s[26:27], vcc
	s_cbranch_execnz .LBB44_32
.LBB44_28:                              ;   in Loop: Header=BB44_17 Depth=2
	s_or_b64 exec, exec, s[26:27]
	s_and_saveexec_b64 s[8:9], vcc
	s_cbranch_execz .LBB44_15
	s_branch .LBB44_35
.LBB44_29:                              ;   in Loop: Header=BB44_17 Depth=2
	v_add_u32_e32 v28, v35, v34
	v_lshl_add_u64 v[36:37], v[28:29], 1, s[12:13]
	v_lshl_add_u64 v[38:39], s[18:19], 1, v[36:37]
	global_load_dwordx4 v[16:19], v[36:37], off nt
	global_load_dwordx4 v[12:15], v[38:39], off nt
	v_add_u32_e32 v28, 0x200, v35
	v_cmp_gt_u32_e64 s[8:9], s10, v28
	s_and_saveexec_b64 s[28:29], s[8:9]
	s_cbranch_execz .LBB44_31
; %bb.30:                               ;   in Loop: Header=BB44_17 Depth=2
	v_add_u32_e32 v28, v28, v34
	v_lshl_add_u64 v[36:37], v[28:29], 1, s[12:13]
	v_lshl_add_u64 v[38:39], s[18:19], 1, v[36:37]
	global_load_dwordx4 v[8:11], v[36:37], off nt
	global_load_dwordx4 v[4:7], v[38:39], off nt
.LBB44_31:                              ;   in Loop: Header=BB44_17 Depth=2
	s_or_b64 exec, exec, s[28:29]
	s_or_b64 exec, exec, s[26:27]
	s_and_saveexec_b64 s[26:27], vcc
	s_cbranch_execz .LBB44_28
.LBB44_32:                              ;   in Loop: Header=BB44_17 Depth=2
	s_waitcnt lgkmcnt(0)
	v_subrev_u32_e32 v20, s30, v35
	v_lshlrev_b32_e32 v28, 1, v20
	ds_read_b128 v[20:23], v28
	v_add_u32_e32 v36, 0x200, v35
	v_cmp_gt_u32_e64 s[8:9], s10, v36
	s_and_saveexec_b64 s[28:29], s[8:9]
	s_cbranch_execz .LBB44_34
; %bb.33:                               ;   in Loop: Header=BB44_17 Depth=2
	ds_read_b128 v[0:3], v28 offset:1024
.LBB44_34:                              ;   in Loop: Header=BB44_17 Depth=2
	s_or_b64 exec, exec, s[28:29]
	s_or_b64 exec, exec, s[26:27]
	s_and_saveexec_b64 s[8:9], vcc
	s_cbranch_execz .LBB44_15
.LBB44_35:                              ;   in Loop: Header=BB44_17 Depth=2
	s_waitcnt vmcnt(1) lgkmcnt(0)
	;;#ASMSTART
	v_dot2c_f32_f16 v27, v20, v16
	;;#ASMEND
	s_waitcnt vmcnt(0)
	;;#ASMSTART
	v_dot2c_f32_f16 v33, v20, v12
	;;#ASMEND
	v_add_u32_e32 v28, 0x200, v35
	;;#ASMSTART
	v_dot2c_f32_f16 v27, v21, v17
	;;#ASMEND
	;;#ASMSTART
	v_dot2c_f32_f16 v33, v21, v13
	;;#ASMEND
	v_cmp_gt_u32_e32 vcc, s10, v28
	;;#ASMSTART
	v_dot2c_f32_f16 v27, v22, v18
	;;#ASMEND
	;;#ASMSTART
	v_dot2c_f32_f16 v33, v22, v14
	;;#ASMEND
	s_nop 0
	;;#ASMSTART
	v_dot2c_f32_f16 v27, v23, v19
	;;#ASMEND
	;;#ASMSTART
	v_dot2c_f32_f16 v33, v23, v15
	;;#ASMEND
	s_and_saveexec_b64 s[26:27], vcc
	s_cbranch_execz .LBB44_14
; %bb.36:                               ;   in Loop: Header=BB44_17 Depth=2
	;;#ASMSTART
	v_dot2c_f32_f16 v27, v0, v8
	;;#ASMEND
	;;#ASMSTART
	v_dot2c_f32_f16 v33, v0, v4
	;;#ASMEND
	s_nop 0
	;;#ASMSTART
	v_dot2c_f32_f16 v27, v1, v9
	;;#ASMEND
	;;#ASMSTART
	v_dot2c_f32_f16 v33, v1, v5
	;;#ASMEND
	s_nop 0
	;; [unrolled: 7-line block ×3, first 2 shown]
	;;#ASMSTART
	v_dot2c_f32_f16 v27, v3, v11
	;;#ASMEND
	;;#ASMSTART
	v_dot2c_f32_f16 v33, v3, v7
	;;#ASMEND
	s_branch .LBB44_14
.LBB44_37:                              ;   in Loop: Header=BB44_12 Depth=1
	v_mov_b32_e32 v27, v29
	v_mov_b32_e32 v33, v29
.LBB44_38:                              ;   in Loop: Header=BB44_12 Depth=1
	v_cmp_le_u32_e32 vcc, s11, v26
	s_and_saveexec_b64 s[6:7], vcc
	s_xor_b64 s[6:7], exec, s[6:7]
; %bb.39:                               ;   in Loop: Header=BB44_12 Depth=1
	v_add_u32_e32 v26, s36, v26
                                        ; implicit-def: $vgpr27
                                        ; implicit-def: $vgpr33
; %bb.40:                               ;   in Loop: Header=BB44_12 Depth=1
	s_andn2_saveexec_b64 s[8:9], s[6:7]
	s_cbranch_execz .LBB44_11
; %bb.41:                               ;   in Loop: Header=BB44_12 Depth=1
	;;#ASMSTART
	s_nop 0
	v_add_f32 v27, v27, v27 row_shr:8 bound_ctrl:0 
	;;#ASMEND
	;;#ASMSTART
	s_nop 0
	v_add_f32 v33, v33, v33 row_shr:8 bound_ctrl:0 
	;;#ASMEND
	s_nop 0
	;;#ASMSTART
	s_nop 0
	v_add_f32 v27, v27, v27 row_shr:4 bound_ctrl:0 
	;;#ASMEND
	;;#ASMSTART
	s_nop 0
	v_add_f32 v33, v33, v33 row_shr:4 bound_ctrl:0 
	;;#ASMEND
	s_nop 0
	;; [unrolled: 9-line block ×3, first 2 shown]
	;;#ASMSTART
	s_nop 0
	v_add_f32 v27, v27, v27 wave_shr:1 bound_ctrl:0
	;;#ASMEND
	;;#ASMSTART
	s_nop 0
	v_add_f32 v33, v33, v33 wave_shr:1 bound_ctrl:0
	;;#ASMEND
	s_nop 0
	;;#ASMSTART
	s_nop 0
	v_add_f32 v27, v27, v27 row_bcast:15 bound_ctrl:0
	;;#ASMEND
	;;#ASMSTART
	s_nop 0
	v_add_f32 v33, v33, v33 row_bcast:15 bound_ctrl:0
	;;#ASMEND
	s_nop 0
	;;#ASMSTART
	s_nop 0
	v_add_f32 v27, v27, v27 row_bcast:31 bound_ctrl:0
	;;#ASMEND
	;;#ASMSTART
	s_nop 0
	v_add_f32 v33, v33, v33 row_bcast:31 bound_ctrl:0
	;;#ASMEND
	s_and_saveexec_b64 s[6:7], s[0:1]
	s_cbranch_execz .LBB44_46
; %bb.42:                               ;   in Loop: Header=BB44_12 Depth=1
	v_cmp_ne_u32_e32 vcc, 0, v24
	s_and_saveexec_b64 s[24:25], vcc
	s_cbranch_execz .LBB44_44
; %bb.43:                               ;   in Loop: Header=BB44_12 Depth=1
	v_cvt_f16_f32_e32 v28, v27
	v_mov_b32_e32 v27, v29
	v_lshl_add_u64 v[34:35], v[26:27], 1, s[16:17]
	global_store_short v[34:35], v28, off
.LBB44_44:                              ;   in Loop: Header=BB44_12 Depth=1
	s_or_b64 exec, exec, s[24:25]
	v_cmp_ne_u32_e32 vcc, 0, v25
	s_and_b64 exec, exec, vcc
	s_cbranch_execz .LBB44_46
; %bb.45:                               ;   in Loop: Header=BB44_12 Depth=1
	v_cvt_f16_f32_e32 v28, v33
	v_mov_b32_e32 v27, v29
	v_lshl_add_u64 v[34:35], v[26:27], 1, s[20:21]
	global_store_short v[34:35], v28, off
.LBB44_46:                              ;   in Loop: Header=BB44_12 Depth=1
	s_or_b64 exec, exec, s[6:7]
	v_add_u32_e32 v26, s36, v26
	v_add_u32_e32 v27, 2, v26
	v_cmp_gt_u32_e32 vcc, s11, v26
	v_cmp_le_u32_e64 s[6:7], s11, v27
	s_and_b64 s[6:7], vcc, s[6:7]
	s_and_saveexec_b64 s[24:25], s[6:7]
	s_cbranch_execz .LBB44_10
; %bb.47:                               ;   in Loop: Header=BB44_12 Depth=1
	v_cmp_ne_u32_e32 vcc, s37, v26
	s_and_saveexec_b64 s[26:27], vcc
	s_cbranch_execz .LBB44_9
; %bb.48:                               ;   in Loop: Header=BB44_12 Depth=1
	v_subrev_u32_e32 v26, s37, v26
	v_cmp_lt_u32_e32 vcc, 1, v26
	s_mov_b64 s[28:29], 0
	s_mov_b64 s[30:31], 0
	v_cndmask_b32_e32 v26, 1, v26, vcc
.LBB44_49:                              ;   Parent Loop BB44_12 Depth=1
                                        ; =>  This Inner Loop Header: Depth=2
	s_cmp_lg_u32 s30, 1
	s_cselect_b64 vcc, -1, 0
	s_cmp_lg_u32 s30, 0
	v_cndmask_b32_e32 v25, 0, v25, vcc
	s_cselect_b64 vcc, -1, 0
	s_add_u32 s30, s30, 1
	s_addc_u32 s31, s31, 0
	v_cmp_eq_u32_e64 s[6:7], s30, v26
	s_or_b64 s[28:29], s[6:7], s[28:29]
	v_cndmask_b32_e32 v24, 0, v24, vcc
	s_andn2_b64 exec, exec, s[28:29]
	s_cbranch_execnz .LBB44_49
; %bb.50:                               ;   in Loop: Header=BB44_12 Depth=1
	s_or_b64 exec, exec, s[28:29]
	s_branch .LBB44_9
.LBB44_51:
	s_endpgm
	.section	.rodata,"a",@progbits
	.p2align	6, 0x0
	.amdhsa_kernel _ZN5aiter16wvSplitK_hf_big_I6__halfLi64ELi2ELi16ELi8ELi2ELi1EEEviiPKT_S4_PS2_ii
		.amdhsa_group_segment_fixed_size 65536
		.amdhsa_private_segment_fixed_size 0
		.amdhsa_kernarg_size 40
		.amdhsa_user_sgpr_count 2
		.amdhsa_user_sgpr_dispatch_ptr 0
		.amdhsa_user_sgpr_queue_ptr 0
		.amdhsa_user_sgpr_kernarg_segment_ptr 1
		.amdhsa_user_sgpr_dispatch_id 0
		.amdhsa_user_sgpr_kernarg_preload_length 0
		.amdhsa_user_sgpr_kernarg_preload_offset 0
		.amdhsa_user_sgpr_private_segment_size 0
		.amdhsa_uses_dynamic_stack 0
		.amdhsa_enable_private_segment 0
		.amdhsa_system_sgpr_workgroup_id_x 1
		.amdhsa_system_sgpr_workgroup_id_y 0
		.amdhsa_system_sgpr_workgroup_id_z 0
		.amdhsa_system_sgpr_workgroup_info 0
		.amdhsa_system_vgpr_workitem_id 1
		.amdhsa_next_free_vgpr 42
		.amdhsa_next_free_sgpr 42
		.amdhsa_accum_offset 44
		.amdhsa_reserve_vcc 1
		.amdhsa_float_round_mode_32 0
		.amdhsa_float_round_mode_16_64 0
		.amdhsa_float_denorm_mode_32 3
		.amdhsa_float_denorm_mode_16_64 3
		.amdhsa_dx10_clamp 1
		.amdhsa_ieee_mode 1
		.amdhsa_fp16_overflow 0
		.amdhsa_tg_split 0
		.amdhsa_exception_fp_ieee_invalid_op 0
		.amdhsa_exception_fp_denorm_src 0
		.amdhsa_exception_fp_ieee_div_zero 0
		.amdhsa_exception_fp_ieee_overflow 0
		.amdhsa_exception_fp_ieee_underflow 0
		.amdhsa_exception_fp_ieee_inexact 0
		.amdhsa_exception_int_div_zero 0
	.end_amdhsa_kernel
	.section	.text._ZN5aiter16wvSplitK_hf_big_I6__halfLi64ELi2ELi16ELi8ELi2ELi1EEEviiPKT_S4_PS2_ii,"axG",@progbits,_ZN5aiter16wvSplitK_hf_big_I6__halfLi64ELi2ELi16ELi8ELi2ELi1EEEviiPKT_S4_PS2_ii,comdat
.Lfunc_end44:
	.size	_ZN5aiter16wvSplitK_hf_big_I6__halfLi64ELi2ELi16ELi8ELi2ELi1EEEviiPKT_S4_PS2_ii, .Lfunc_end44-_ZN5aiter16wvSplitK_hf_big_I6__halfLi64ELi2ELi16ELi8ELi2ELi1EEEviiPKT_S4_PS2_ii
                                        ; -- End function
	.section	.AMDGPU.csdata,"",@progbits
; Kernel info:
; codeLenInByte = 1692
; NumSgprs: 48
; NumVgprs: 42
; NumAgprs: 0
; TotalNumVgprs: 42
; ScratchSize: 0
; MemoryBound: 0
; FloatMode: 240
; IeeeMode: 1
; LDSByteSize: 65536 bytes/workgroup (compile time only)
; SGPRBlocks: 5
; VGPRBlocks: 5
; NumSGPRsForWavesPerEU: 48
; NumVGPRsForWavesPerEU: 42
; AccumOffset: 44
; Occupancy: 4
; WaveLimiterHint : 0
; COMPUTE_PGM_RSRC2:SCRATCH_EN: 0
; COMPUTE_PGM_RSRC2:USER_SGPR: 2
; COMPUTE_PGM_RSRC2:TRAP_HANDLER: 0
; COMPUTE_PGM_RSRC2:TGID_X_EN: 1
; COMPUTE_PGM_RSRC2:TGID_Y_EN: 0
; COMPUTE_PGM_RSRC2:TGID_Z_EN: 0
; COMPUTE_PGM_RSRC2:TIDIG_COMP_CNT: 1
; COMPUTE_PGM_RSRC3_GFX90A:ACCUM_OFFSET: 10
; COMPUTE_PGM_RSRC3_GFX90A:TG_SPLIT: 0
	.section	.text._ZN5aiter16wvSplitK_hf_sml_I6__halfLi64ELi2ELi16ELi8ELi2ELi2EEEviiPKT_S4_PS2_ii,"axG",@progbits,_ZN5aiter16wvSplitK_hf_sml_I6__halfLi64ELi2ELi16ELi8ELi2ELi2EEEviiPKT_S4_PS2_ii,comdat
	.protected	_ZN5aiter16wvSplitK_hf_sml_I6__halfLi64ELi2ELi16ELi8ELi2ELi2EEEviiPKT_S4_PS2_ii ; -- Begin function _ZN5aiter16wvSplitK_hf_sml_I6__halfLi64ELi2ELi16ELi8ELi2ELi2EEEviiPKT_S4_PS2_ii
	.globl	_ZN5aiter16wvSplitK_hf_sml_I6__halfLi64ELi2ELi16ELi8ELi2ELi2EEEviiPKT_S4_PS2_ii
	.p2align	8
	.type	_ZN5aiter16wvSplitK_hf_sml_I6__halfLi64ELi2ELi16ELi8ELi2ELi2EEEviiPKT_S4_PS2_ii,@function
_ZN5aiter16wvSplitK_hf_sml_I6__halfLi64ELi2ELi16ELi8ELi2ELi2EEEviiPKT_S4_PS2_ii: ; @_ZN5aiter16wvSplitK_hf_sml_I6__halfLi64ELi2ELi16ELi8ELi2ELi2EEEviiPKT_S4_PS2_ii
; %bb.0:
	s_load_dwordx2 s[6:7], s[0:1], 0x0
	v_and_b32_e32 v2, 0x3ff, v0
	v_bfe_u32 v3, v0, 10, 10
	v_lshlrev_b32_e32 v36, 3, v2
	s_mov_b32 s3, 0
	s_waitcnt lgkmcnt(0)
	s_lshl_b32 s20, s6, 1
	s_cmp_lg_u32 s6, 0
	s_cselect_b64 s[4:5], -1, 0
	s_cmp_eq_u32 s6, 0
	s_cbranch_scc1 .LBB45_6
; %bb.1:
	s_load_dwordx2 s[8:9], s[0:1], 0x10
	v_lshlrev_b32_e32 v0, 4, v2
	s_min_i32 s16, s20, 0x8000
	v_lshl_add_u32 v4, v3, 10, v0
	v_lshl_add_u32 v5, v3, 9, v36
	s_mov_b64 s[10:11], 0
	v_mov_b32_e32 v1, 0
                                        ; implicit-def: $sgpr12_sgpr13
	s_branch .LBB45_3
.LBB45_2:                               ;   in Loop: Header=BB45_3 Depth=1
	s_or_b64 exec, exec, s[14:15]
	s_and_b64 s[14:15], exec, s[12:13]
	s_or_b64 s[10:11], s[14:15], s[10:11]
	s_andn2_b64 exec, exec, s[10:11]
	s_cbranch_execz .LBB45_5
.LBB45_3:                               ; =>This Inner Loop Header: Depth=1
	v_add_u32_e32 v0, s3, v5
	v_cmp_gt_u32_e32 vcc, s16, v0
	s_or_b64 s[12:13], s[12:13], exec
	s_and_saveexec_b64 s[14:15], vcc
	s_cbranch_execz .LBB45_2
; %bb.4:                                ;   in Loop: Header=BB45_3 Depth=1
	s_waitcnt lgkmcnt(0)
	v_lshl_add_u64 v[6:7], v[0:1], 1, s[8:9]
	global_load_dwordx4 v[6:9], v[6:7], off
	s_addk_i32 s3, 0x2000
	s_cmp_ge_u32 s3, s16
	s_cselect_b64 s[18:19], -1, 0
	s_andn2_b64 s[12:13], s[12:13], exec
	s_and_b64 s[18:19], s[18:19], exec
	s_or_b64 s[12:13], s[12:13], s[18:19]
	s_waitcnt vmcnt(0)
	ds_write_b128 v4, v[6:9]
	v_add_u32_e32 v4, 0x4000, v4
	s_branch .LBB45_2
.LBB45_5:
	s_or_b64 exec, exec, s[10:11]
.LBB45_6:
	s_load_dwordx2 s[12:13], s[0:1], 0x20
	s_waitcnt lgkmcnt(0)
	s_barrier
	v_cmp_gt_u32_e32 vcc, s12, v3
	s_and_saveexec_b64 s[8:9], vcc
	s_cbranch_execz .LBB45_28
; %bb.7:
	s_mul_i32 s2, s2, s12
	v_add_u32_e32 v0, s2, v3
	v_lshlrev_b32_e32 v32, 1, v0
	v_cmp_gt_u32_e32 vcc, s7, v32
	s_and_b64 exec, exec, vcc
	s_cbranch_execz .LBB45_28
; %bb.8:
	s_load_dwordx2 s[8:9], s[0:1], 0x8
	s_load_dwordx2 s[10:11], s[0:1], 0x18
	s_mul_i32 s2, s12, s13
	v_mul_lo_u32 v0, s6, v0
	s_lshl_b32 s21, s2, 1
	v_lshl_add_u32 v38, v0, 1, v36
	s_mul_i32 s2, s2, s6
	v_cndmask_b32_e64 v0, 0, 1, s[4:5]
	s_ashr_i32 s13, s6, 31
	s_mov_b32 s12, s6
	v_cmp_eq_u32_e64 s[0:1], 63, v2
	v_lshlrev_b32_e32 v37, 4, v2
	s_lshl_b32 s22, s2, 1
	s_mov_b64 s[14:15], 0
	v_cmp_ne_u32_e64 s[2:3], 1, v0
	v_mov_b32_e32 v35, 0
                                        ; implicit-def: $vgpr4_vgpr5_vgpr6_vgpr7
                                        ; implicit-def: $vgpr8_vgpr9_vgpr10_vgpr11
                                        ; implicit-def: $vgpr12_vgpr13_vgpr14_vgpr15
                                        ; implicit-def: $vgpr16_vgpr17_vgpr18_vgpr19
                                        ; implicit-def: $vgpr30_vgpr31
                                        ; implicit-def: $vgpr2_vgpr3
                                        ; implicit-def: $vgpr22_vgpr23
                                        ; implicit-def: $vgpr26_vgpr27
	s_branch .LBB45_10
.LBB45_9:                               ;   in Loop: Header=BB45_10 Depth=1
	s_or_b64 exec, exec, s[4:5]
	v_add_u32_e32 v32, s21, v32
	v_cmp_le_u32_e32 vcc, s7, v32
	s_or_b64 s[14:15], vcc, s[14:15]
	v_add_u32_e32 v38, s22, v38
	s_andn2_b64 exec, exec, s[14:15]
	s_cbranch_execz .LBB45_28
.LBB45_10:                              ; =>This Loop Header: Depth=1
                                        ;     Child Loop BB45_14 Depth 2
	s_and_b64 vcc, exec, s[2:3]
	s_mov_b32 s23, 0
	s_cbranch_vccnz .LBB45_25
; %bb.11:                               ;   in Loop: Header=BB45_10 Depth=1
	v_mov_b32_e32 v39, 0
	v_mov_b32_e32 v42, v37
	v_mov_b32_e32 v40, 0
	v_mov_b32_e32 v33, 0
	v_mov_b32_e32 v41, 0
	s_branch .LBB45_14
.LBB45_12:                              ;   in Loop: Header=BB45_14 Depth=2
	s_or_b64 exec, exec, s[16:17]
.LBB45_13:                              ;   in Loop: Header=BB45_14 Depth=2
	s_or_b64 exec, exec, s[4:5]
	s_addk_i32 s23, 0x400
	s_cmp_ge_u32 s23, s6
	v_add_u32_e32 v42, 0x800, v42
	s_cbranch_scc1 .LBB45_26
.LBB45_14:                              ;   Parent Loop BB45_10 Depth=1
                                        ; =>  This Inner Loop Header: Depth=2
	v_add_u32_e32 v34, s23, v36
	v_cmp_gt_u32_e32 vcc, s6, v34
	v_add_u32_e32 v43, 0x200, v34
	s_and_saveexec_b64 s[16:17], vcc
	s_cbranch_execnz .LBB45_17
; %bb.15:                               ;   in Loop: Header=BB45_14 Depth=2
	s_or_b64 exec, exec, s[16:17]
	s_and_saveexec_b64 s[16:17], vcc
	s_cbranch_execnz .LBB45_20
.LBB45_16:                              ;   in Loop: Header=BB45_14 Depth=2
	s_or_b64 exec, exec, s[16:17]
	s_and_saveexec_b64 s[4:5], vcc
	s_cbranch_execz .LBB45_13
	s_branch .LBB45_23
.LBB45_17:                              ;   in Loop: Header=BB45_14 Depth=2
	v_add_u32_e32 v34, s23, v38
	s_waitcnt lgkmcnt(0)
	v_lshl_add_u64 v[44:45], v[34:35], 1, s[8:9]
	v_lshl_add_u64 v[46:47], s[12:13], 1, v[44:45]
	global_load_dwordx4 v[16:19], v[44:45], off nt
	global_load_dwordx4 v[8:11], v[46:47], off nt
	v_cmp_gt_u32_e64 s[4:5], s6, v43
	s_and_saveexec_b64 s[18:19], s[4:5]
	s_cbranch_execz .LBB45_19
; %bb.18:                               ;   in Loop: Header=BB45_14 Depth=2
	v_add_u32_e32 v34, 0x200, v34
	v_lshl_add_u64 v[44:45], v[34:35], 1, s[8:9]
	v_lshl_add_u64 v[46:47], s[12:13], 1, v[44:45]
	global_load_dwordx4 v[12:15], v[44:45], off nt
	global_load_dwordx4 v[4:7], v[46:47], off nt
.LBB45_19:                              ;   in Loop: Header=BB45_14 Depth=2
	s_or_b64 exec, exec, s[18:19]
	s_or_b64 exec, exec, s[16:17]
	s_and_saveexec_b64 s[16:17], vcc
	s_cbranch_execz .LBB45_16
.LBB45_20:                              ;   in Loop: Header=BB45_14 Depth=2
	v_add_u32_e32 v34, s20, v42
	s_waitcnt lgkmcnt(0)
	ds_read_b128 v[24:27], v42
	ds_read_b128 v[20:23], v34
	v_cmp_gt_u32_e64 s[4:5], s6, v43
	s_and_saveexec_b64 s[18:19], s[4:5]
	s_cbranch_execz .LBB45_22
; %bb.21:                               ;   in Loop: Header=BB45_14 Depth=2
	ds_read_b128 v[0:3], v42 offset:1024
	ds_read_b128 v[28:31], v34 offset:1024
.LBB45_22:                              ;   in Loop: Header=BB45_14 Depth=2
	s_or_b64 exec, exec, s[18:19]
	s_or_b64 exec, exec, s[16:17]
	s_and_saveexec_b64 s[4:5], vcc
	s_cbranch_execz .LBB45_13
.LBB45_23:                              ;   in Loop: Header=BB45_14 Depth=2
	s_waitcnt vmcnt(1) lgkmcnt(0)
	;;#ASMSTART
	v_dot2c_f32_f16 v41, v24, v16
	;;#ASMEND
	s_waitcnt vmcnt(0)
	;;#ASMSTART
	v_dot2c_f32_f16 v33, v24, v8
	;;#ASMEND
	;;#ASMSTART
	v_dot2c_f32_f16 v40, v20, v16
	;;#ASMEND
	;; [unrolled: 3-line block ×3, first 2 shown]
	v_cmp_gt_u32_e32 vcc, s6, v43
	;;#ASMSTART
	v_dot2c_f32_f16 v41, v25, v17
	;;#ASMEND
	;;#ASMSTART
	v_dot2c_f32_f16 v33, v25, v9
	;;#ASMEND
	;; [unrolled: 3-line block ×4, first 2 shown]
	s_nop 0
	;;#ASMSTART
	v_dot2c_f32_f16 v41, v26, v18
	;;#ASMEND
	;;#ASMSTART
	v_dot2c_f32_f16 v33, v26, v10
	;;#ASMEND
	;; [unrolled: 3-line block ×4, first 2 shown]
	s_nop 0
	;;#ASMSTART
	v_dot2c_f32_f16 v41, v27, v19
	;;#ASMEND
	;;#ASMSTART
	v_dot2c_f32_f16 v33, v27, v11
	;;#ASMEND
	;;#ASMSTART
	v_dot2c_f32_f16 v40, v23, v19
	;;#ASMEND
	;;#ASMSTART
	v_dot2c_f32_f16 v39, v23, v11
	;;#ASMEND
	s_and_saveexec_b64 s[16:17], vcc
	s_cbranch_execz .LBB45_12
; %bb.24:                               ;   in Loop: Header=BB45_14 Depth=2
	;;#ASMSTART
	v_dot2c_f32_f16 v41, v0, v12
	;;#ASMEND
	;;#ASMSTART
	v_dot2c_f32_f16 v33, v0, v4
	;;#ASMEND
	;;#ASMSTART
	v_dot2c_f32_f16 v40, v28, v12
	;;#ASMEND
	;;#ASMSTART
	v_dot2c_f32_f16 v39, v28, v4
	;;#ASMEND
	s_nop 0
	;;#ASMSTART
	v_dot2c_f32_f16 v41, v1, v13
	;;#ASMEND
	;;#ASMSTART
	v_dot2c_f32_f16 v33, v1, v5
	;;#ASMEND
	;;#ASMSTART
	v_dot2c_f32_f16 v40, v29, v13
	;;#ASMEND
	;;#ASMSTART
	v_dot2c_f32_f16 v39, v29, v5
	;;#ASMEND
	s_nop 0
	;; [unrolled: 13-line block ×3, first 2 shown]
	;;#ASMSTART
	v_dot2c_f32_f16 v41, v3, v15
	;;#ASMEND
	;;#ASMSTART
	v_dot2c_f32_f16 v33, v3, v7
	;;#ASMEND
	;; [unrolled: 3-line block ×4, first 2 shown]
	s_branch .LBB45_12
.LBB45_25:                              ;   in Loop: Header=BB45_10 Depth=1
	v_mov_b32_e32 v41, v35
	v_mov_b32_e32 v33, v35
	;; [unrolled: 1-line block ×4, first 2 shown]
.LBB45_26:                              ;   in Loop: Header=BB45_10 Depth=1
	;;#ASMSTART
	s_nop 0
	v_add_f32 v41, v41, v41 row_shr:8 bound_ctrl:0 
	;;#ASMEND
	;;#ASMSTART
	s_nop 0
	v_add_f32 v33, v33, v33 row_shr:8 bound_ctrl:0 
	;;#ASMEND
	;;#ASMSTART
	s_nop 0
	v_add_f32 v40, v40, v40 row_shr:8 bound_ctrl:0 
	;;#ASMEND
	;;#ASMSTART
	s_nop 0
	v_add_f32 v39, v39, v39 row_shr:8 bound_ctrl:0 
	;;#ASMEND
	s_nop 0
	;;#ASMSTART
	s_nop 0
	v_add_f32 v41, v41, v41 row_shr:4 bound_ctrl:0 
	;;#ASMEND
	;;#ASMSTART
	s_nop 0
	v_add_f32 v33, v33, v33 row_shr:4 bound_ctrl:0 
	;;#ASMEND
	;;#ASMSTART
	s_nop 0
	v_add_f32 v40, v40, v40 row_shr:4 bound_ctrl:0 
	;;#ASMEND
	;;#ASMSTART
	s_nop 0
	v_add_f32 v39, v39, v39 row_shr:4 bound_ctrl:0 
	;;#ASMEND
	s_nop 0
	;; [unrolled: 17-line block ×3, first 2 shown]
	;;#ASMSTART
	s_nop 0
	v_add_f32 v41, v41, v41 wave_shr:1 bound_ctrl:0
	;;#ASMEND
	;;#ASMSTART
	s_nop 0
	v_add_f32 v33, v33, v33 wave_shr:1 bound_ctrl:0
	;;#ASMEND
	;; [unrolled: 4-line block ×4, first 2 shown]
	s_nop 0
	;;#ASMSTART
	s_nop 0
	v_add_f32 v41, v41, v41 row_bcast:15 bound_ctrl:0
	;;#ASMEND
	;;#ASMSTART
	s_nop 0
	v_add_f32 v33, v33, v33 row_bcast:15 bound_ctrl:0
	;;#ASMEND
	;; [unrolled: 4-line block ×4, first 2 shown]
	s_nop 0
	;;#ASMSTART
	s_nop 0
	v_add_f32 v41, v41, v41 row_bcast:31 bound_ctrl:0
	;;#ASMEND
	;;#ASMSTART
	s_nop 0
	v_add_f32 v33, v33, v33 row_bcast:31 bound_ctrl:0
	;;#ASMEND
	;; [unrolled: 4-line block ×4, first 2 shown]
	s_and_saveexec_b64 s[4:5], s[0:1]
	s_cbranch_execz .LBB45_9
; %bb.27:                               ;   in Loop: Header=BB45_10 Depth=1
	v_cvt_f16_f32_e32 v34, v41
	v_cvt_f16_f32_e32 v41, v33
	v_mov_b32_e32 v33, v35
	s_waitcnt lgkmcnt(0)
	v_lshl_add_u64 v[42:43], v[32:33], 1, s[10:11]
	v_cvt_f16_f32_e32 v39, v39
	v_pack_b32_f16 v33, v34, v41
	global_store_dword v[42:43], v33, off
	v_cvt_f16_f32_e32 v33, v40
	v_add_u32_e32 v34, s7, v32
	v_lshl_add_u64 v[40:41], v[34:35], 1, s[10:11]
	v_add_u32_e32 v34, 1, v34
	global_store_short v[40:41], v33, off
	v_lshl_add_u64 v[40:41], v[34:35], 1, s[10:11]
	global_store_short v[40:41], v39, off
	s_branch .LBB45_9
.LBB45_28:
	s_endpgm
	.section	.rodata,"a",@progbits
	.p2align	6, 0x0
	.amdhsa_kernel _ZN5aiter16wvSplitK_hf_sml_I6__halfLi64ELi2ELi16ELi8ELi2ELi2EEEviiPKT_S4_PS2_ii
		.amdhsa_group_segment_fixed_size 65536
		.amdhsa_private_segment_fixed_size 0
		.amdhsa_kernarg_size 40
		.amdhsa_user_sgpr_count 2
		.amdhsa_user_sgpr_dispatch_ptr 0
		.amdhsa_user_sgpr_queue_ptr 0
		.amdhsa_user_sgpr_kernarg_segment_ptr 1
		.amdhsa_user_sgpr_dispatch_id 0
		.amdhsa_user_sgpr_kernarg_preload_length 0
		.amdhsa_user_sgpr_kernarg_preload_offset 0
		.amdhsa_user_sgpr_private_segment_size 0
		.amdhsa_uses_dynamic_stack 0
		.amdhsa_enable_private_segment 0
		.amdhsa_system_sgpr_workgroup_id_x 1
		.amdhsa_system_sgpr_workgroup_id_y 0
		.amdhsa_system_sgpr_workgroup_id_z 0
		.amdhsa_system_sgpr_workgroup_info 0
		.amdhsa_system_vgpr_workitem_id 1
		.amdhsa_next_free_vgpr 48
		.amdhsa_next_free_sgpr 24
		.amdhsa_accum_offset 48
		.amdhsa_reserve_vcc 1
		.amdhsa_float_round_mode_32 0
		.amdhsa_float_round_mode_16_64 0
		.amdhsa_float_denorm_mode_32 3
		.amdhsa_float_denorm_mode_16_64 3
		.amdhsa_dx10_clamp 1
		.amdhsa_ieee_mode 1
		.amdhsa_fp16_overflow 0
		.amdhsa_tg_split 0
		.amdhsa_exception_fp_ieee_invalid_op 0
		.amdhsa_exception_fp_denorm_src 0
		.amdhsa_exception_fp_ieee_div_zero 0
		.amdhsa_exception_fp_ieee_overflow 0
		.amdhsa_exception_fp_ieee_underflow 0
		.amdhsa_exception_fp_ieee_inexact 0
		.amdhsa_exception_int_div_zero 0
	.end_amdhsa_kernel
	.section	.text._ZN5aiter16wvSplitK_hf_sml_I6__halfLi64ELi2ELi16ELi8ELi2ELi2EEEviiPKT_S4_PS2_ii,"axG",@progbits,_ZN5aiter16wvSplitK_hf_sml_I6__halfLi64ELi2ELi16ELi8ELi2ELi2EEEviiPKT_S4_PS2_ii,comdat
.Lfunc_end45:
	.size	_ZN5aiter16wvSplitK_hf_sml_I6__halfLi64ELi2ELi16ELi8ELi2ELi2EEEviiPKT_S4_PS2_ii, .Lfunc_end45-_ZN5aiter16wvSplitK_hf_sml_I6__halfLi64ELi2ELi16ELi8ELi2ELi2EEEviiPKT_S4_PS2_ii
                                        ; -- End function
	.section	.AMDGPU.csdata,"",@progbits
; Kernel info:
; codeLenInByte = 1516
; NumSgprs: 30
; NumVgprs: 48
; NumAgprs: 0
; TotalNumVgprs: 48
; ScratchSize: 0
; MemoryBound: 0
; FloatMode: 240
; IeeeMode: 1
; LDSByteSize: 65536 bytes/workgroup (compile time only)
; SGPRBlocks: 3
; VGPRBlocks: 5
; NumSGPRsForWavesPerEU: 30
; NumVGPRsForWavesPerEU: 48
; AccumOffset: 48
; Occupancy: 4
; WaveLimiterHint : 0
; COMPUTE_PGM_RSRC2:SCRATCH_EN: 0
; COMPUTE_PGM_RSRC2:USER_SGPR: 2
; COMPUTE_PGM_RSRC2:TRAP_HANDLER: 0
; COMPUTE_PGM_RSRC2:TGID_X_EN: 1
; COMPUTE_PGM_RSRC2:TGID_Y_EN: 0
; COMPUTE_PGM_RSRC2:TGID_Z_EN: 0
; COMPUTE_PGM_RSRC2:TIDIG_COMP_CNT: 1
; COMPUTE_PGM_RSRC3_GFX90A:ACCUM_OFFSET: 11
; COMPUTE_PGM_RSRC3_GFX90A:TG_SPLIT: 0
	.section	.text._ZN5aiter12wvSplitK_hf_I6__halfLi64ELi2ELi16ELi8ELi2ELi2EEEviiPKT_S4_PS2_ii,"axG",@progbits,_ZN5aiter12wvSplitK_hf_I6__halfLi64ELi2ELi16ELi8ELi2ELi2EEEviiPKT_S4_PS2_ii,comdat
	.protected	_ZN5aiter12wvSplitK_hf_I6__halfLi64ELi2ELi16ELi8ELi2ELi2EEEviiPKT_S4_PS2_ii ; -- Begin function _ZN5aiter12wvSplitK_hf_I6__halfLi64ELi2ELi16ELi8ELi2ELi2EEEviiPKT_S4_PS2_ii
	.globl	_ZN5aiter12wvSplitK_hf_I6__halfLi64ELi2ELi16ELi8ELi2ELi2EEEviiPKT_S4_PS2_ii
	.p2align	8
	.type	_ZN5aiter12wvSplitK_hf_I6__halfLi64ELi2ELi16ELi8ELi2ELi2EEEviiPKT_S4_PS2_ii,@function
_ZN5aiter12wvSplitK_hf_I6__halfLi64ELi2ELi16ELi8ELi2ELi2EEEviiPKT_S4_PS2_ii: ; @_ZN5aiter12wvSplitK_hf_I6__halfLi64ELi2ELi16ELi8ELi2ELi2EEEviiPKT_S4_PS2_ii
; %bb.0:
	s_load_dwordx2 s[4:5], s[0:1], 0x20
	s_load_dwordx2 s[6:7], s[0:1], 0x0
	;; [unrolled: 1-line block ×3, first 2 shown]
	v_bfe_u32 v3, v0, 10, 10
	s_mov_b32 s10, 1
	s_waitcnt lgkmcnt(0)
	s_mul_i32 s2, s2, s4
	v_add_lshl_u32 v34, s2, v3, 1
	v_add_u32_e32 v1, 2, v34
	v_cmp_gt_u32_e32 vcc, s7, v34
	v_cmp_le_u32_e64 s[2:3], s7, v1
	s_mov_b32 s11, s10
	s_and_b64 s[12:13], vcc, s[2:3]
	v_mov_b64_e32 v[32:33], s[10:11]
	s_and_saveexec_b64 s[2:3], s[12:13]
	s_cbranch_execz .LBB46_6
; %bb.1:
	s_add_i32 s18, s7, -2
	v_cmp_ne_u32_e32 vcc, s18, v34
	v_mov_b64_e32 v[32:33], s[10:11]
	s_and_saveexec_b64 s[10:11], vcc
	s_cbranch_execz .LBB46_5
; %bb.2:
	v_subrev_u32_e32 v1, s18, v34
	s_mov_b32 s12, 1
	v_cmp_lt_u32_e32 vcc, 1, v1
	s_mov_b64 s[14:15], 0
	s_mov_b64 s[16:17], 0
	v_cndmask_b32_e32 v2, 1, v1, vcc
	s_mov_b32 s13, s12
.LBB46_3:                               ; =>This Inner Loop Header: Depth=1
	s_cmp_lg_u32 s16, 1
	s_cselect_b32 s13, s13, 0
	s_cmp_lg_u32 s16, 0
	s_cselect_b32 s12, s12, 0
	s_add_u32 s16, s16, 1
	s_addc_u32 s17, s17, 0
	v_cmp_eq_u32_e32 vcc, s16, v2
	s_or_b64 s[14:15], vcc, s[14:15]
	v_mov_b64_e32 v[32:33], s[12:13]
	s_andn2_b64 exec, exec, s[14:15]
	s_cbranch_execnz .LBB46_3
; %bb.4:
	s_or_b64 exec, exec, s[14:15]
	v_mov_b32_e32 v34, s18
.LBB46_5:
	s_or_b64 exec, exec, s[10:11]
.LBB46_6:
	s_or_b64 exec, exec, s[2:3]
	s_lshl_b32 s26, s6, 1
	v_and_b32_e32 v2, 0x3ff, v0
	s_cmp_lg_u32 s6, 0
	v_lshlrev_b32_e32 v36, 3, v2
	s_mov_b32 s14, 0
	s_cselect_b64 s[18:19], -1, 0
	s_cmp_eq_u32 s6, 0
	v_lshlrev_b32_e32 v37, 4, v2
	s_cbranch_scc1 .LBB46_12
; %bb.7:
	v_lshlrev_b32_e32 v0, 4, v2
	s_min_i32 s15, s26, 0x8000
	v_lshl_add_u32 v4, v3, 10, v0
	v_lshl_add_u32 v5, v3, 9, v36
	s_mov_b64 s[2:3], 0
	v_mov_b32_e32 v1, 0
                                        ; implicit-def: $sgpr10_sgpr11
	s_branch .LBB46_9
.LBB46_8:                               ;   in Loop: Header=BB46_9 Depth=1
	s_or_b64 exec, exec, s[12:13]
	s_and_b64 s[12:13], exec, s[10:11]
	s_or_b64 s[2:3], s[12:13], s[2:3]
	s_andn2_b64 exec, exec, s[2:3]
	s_cbranch_execz .LBB46_11
.LBB46_9:                               ; =>This Inner Loop Header: Depth=1
	v_add_u32_e32 v0, s14, v5
	v_cmp_gt_u32_e32 vcc, s15, v0
	s_or_b64 s[10:11], s[10:11], exec
	s_and_saveexec_b64 s[12:13], vcc
	s_cbranch_execz .LBB46_8
; %bb.10:                               ;   in Loop: Header=BB46_9 Depth=1
	v_lshl_add_u64 v[6:7], v[0:1], 1, s[8:9]
	global_load_dwordx4 v[6:9], v[6:7], off
	s_addk_i32 s14, 0x2000
	s_cmp_ge_u32 s14, s15
	s_cselect_b64 s[16:17], -1, 0
	s_andn2_b64 s[10:11], s[10:11], exec
	s_and_b64 s[16:17], s[16:17], exec
	s_or_b64 s[10:11], s[10:11], s[16:17]
	s_waitcnt vmcnt(0)
	ds_write_b128 v4, v[6:9]
	v_add_u32_e32 v4, 0x4000, v4
	s_branch .LBB46_8
.LBB46_11:
	s_or_b64 exec, exec, s[2:3]
.LBB46_12:
	v_cmp_gt_u32_e32 vcc, s4, v3
	v_cmp_gt_u32_e64 s[2:3], s7, v34
	s_and_b64 s[2:3], vcc, s[2:3]
	s_waitcnt lgkmcnt(0)
	s_barrier
	s_and_saveexec_b64 s[10:11], s[2:3]
	s_cbranch_execz .LBB46_66
; %bb.13:
	s_load_dwordx2 s[10:11], s[0:1], 0x8
	s_load_dwordx2 s[12:13], s[0:1], 0x18
	s_mul_i32 s2, s4, s5
	v_cndmask_b32_e64 v0, 0, 1, s[18:19]
	s_ashr_i32 s15, s6, 31
	s_mov_b32 s14, s6
	v_cmp_eq_u32_e64 s[0:1], 63, v2
	s_lshl_b32 s27, s2, 1
	s_add_i32 s28, s7, -2
	v_add_u32_e32 v46, s6, v36
	s_mov_b64 s[16:17], 0
	v_cmp_ne_u32_e64 s[2:3], 1, v0
	v_mov_b32_e32 v39, 0
	s_movk_i32 s29, 0x7fff
                                        ; implicit-def: $vgpr0_vgpr1_vgpr2_vgpr3
                                        ; implicit-def: $vgpr4_vgpr5_vgpr6_vgpr7
                                        ; implicit-def: $vgpr8_vgpr9_vgpr10_vgpr11
                                        ; implicit-def: $vgpr12_vgpr13_vgpr14_vgpr15
                                        ; implicit-def: $vgpr18_vgpr19
                                        ; implicit-def: $vgpr26_vgpr27
                                        ; implicit-def: $vgpr22_vgpr23
                                        ; implicit-def: $vgpr30_vgpr31
	s_branch .LBB46_16
.LBB46_14:                              ;   in Loop: Header=BB46_16 Depth=1
	s_or_b64 exec, exec, s[20:21]
	v_mov_b32_e32 v34, s28
.LBB46_15:                              ;   in Loop: Header=BB46_16 Depth=1
	s_or_b64 exec, exec, s[18:19]
	v_cmp_le_u32_e32 vcc, s7, v34
	s_or_b64 s[16:17], vcc, s[16:17]
	s_andn2_b64 exec, exec, s[16:17]
	s_cbranch_execz .LBB46_66
.LBB46_16:                              ; =>This Loop Header: Depth=1
                                        ;     Child Loop BB46_20 Depth 2
                                        ;     Child Loop BB46_61 Depth 2
	s_and_b64 vcc, exec, s[2:3]
	s_mov_b32 s22, 0
	s_cbranch_vccnz .LBB46_51
; %bb.17:                               ;   in Loop: Header=BB46_16 Depth=1
	v_mad_u64_u32 v[40:41], s[4:5], v34, s6, v[36:37]
	v_mov_b32_e32 v41, 0
	v_mov_b32_e32 v49, v37
	v_mov_b32_e32 v47, 0
	v_mov_b32_e32 v48, 0
	v_mov_b32_e32 v35, 0
	s_branch .LBB46_20
.LBB46_18:                              ;   in Loop: Header=BB46_20 Depth=2
	s_or_b64 exec, exec, s[18:19]
.LBB46_19:                              ;   in Loop: Header=BB46_20 Depth=2
	s_or_b64 exec, exec, s[4:5]
	s_addk_i32 s22, 0x400
	s_cmp_ge_u32 s22, s6
	v_add_u32_e32 v49, 0x800, v49
	s_cbranch_scc1 .LBB46_52
.LBB46_20:                              ;   Parent Loop BB46_16 Depth=1
                                        ; =>  This Inner Loop Header: Depth=2
	v_add_u32_e32 v44, s22, v36
	v_cmp_gt_u32_e32 vcc, s6, v44
	v_add_u32_e32 v42, 0x200, v44
	s_and_saveexec_b64 s[18:19], vcc
	s_cbranch_execnz .LBB46_24
; %bb.21:                               ;   in Loop: Header=BB46_20 Depth=2
	s_or_b64 exec, exec, s[18:19]
	s_and_saveexec_b64 s[18:19], vcc
	s_cbranch_execnz .LBB46_27
.LBB46_22:                              ;   in Loop: Header=BB46_20 Depth=2
	s_or_b64 exec, exec, s[18:19]
	s_and_saveexec_b64 s[18:19], vcc
	s_cbranch_execnz .LBB46_46
.LBB46_23:                              ;   in Loop: Header=BB46_20 Depth=2
	s_or_b64 exec, exec, s[18:19]
	s_and_saveexec_b64 s[4:5], vcc
	s_cbranch_execz .LBB46_19
	s_branch .LBB46_49
.LBB46_24:                              ;   in Loop: Header=BB46_20 Depth=2
	v_add_u32_e32 v38, s22, v40
	s_waitcnt lgkmcnt(0)
	v_lshl_add_u64 v[50:51], v[38:39], 1, s[10:11]
	v_lshl_add_u64 v[52:53], s[14:15], 1, v[50:51]
	global_load_dwordx4 v[12:15], v[50:51], off nt
	global_load_dwordx4 v[4:7], v[52:53], off nt
	v_cmp_gt_u32_e64 s[4:5], s6, v42
	s_and_saveexec_b64 s[20:21], s[4:5]
	s_cbranch_execz .LBB46_26
; %bb.25:                               ;   in Loop: Header=BB46_20 Depth=2
	v_add_u32_e32 v38, 0x200, v38
	v_lshl_add_u64 v[50:51], v[38:39], 1, s[10:11]
	v_lshl_add_u64 v[52:53], s[14:15], 1, v[50:51]
	global_load_dwordx4 v[8:11], v[50:51], off nt
	global_load_dwordx4 v[0:3], v[52:53], off nt
.LBB46_26:                              ;   in Loop: Header=BB46_20 Depth=2
	s_or_b64 exec, exec, s[20:21]
	s_or_b64 exec, exec, s[18:19]
	s_and_saveexec_b64 s[18:19], vcc
	s_cbranch_execz .LBB46_22
.LBB46_27:                              ;   in Loop: Header=BB46_20 Depth=2
	v_cmp_lt_u32_e64 s[4:5], s29, v44
                                        ; implicit-def: $vgpr16_vgpr17
	s_and_saveexec_b64 s[20:21], s[4:5]
	s_xor_b64 s[4:5], exec, s[20:21]
	s_cbranch_execz .LBB46_29
; %bb.28:                               ;   in Loop: Header=BB46_20 Depth=2
	v_mov_b32_e32 v45, v39
	s_waitcnt vmcnt(0) lgkmcnt(0)
	v_lshl_add_u64 v[16:17], v[44:45], 1, s[8:9]
	global_load_dwordx4 v[16:19], v[16:17], off
.LBB46_29:                              ;   in Loop: Header=BB46_20 Depth=2
	s_andn2_saveexec_b64 s[4:5], s[4:5]
	s_cbranch_execz .LBB46_31
; %bb.30:                               ;   in Loop: Header=BB46_20 Depth=2
	s_waitcnt vmcnt(0) lgkmcnt(0)
	ds_read_b128 v[16:19], v49
.LBB46_31:                              ;   in Loop: Header=BB46_20 Depth=2
	s_or_b64 exec, exec, s[4:5]
	v_add_u32_e32 v38, s22, v46
	v_cmp_lt_u32_e64 s[4:5], s29, v38
                                        ; implicit-def: $vgpr24_vgpr25
	s_and_saveexec_b64 s[20:21], s[4:5]
	s_xor_b64 s[4:5], exec, s[20:21]
	s_cbranch_execnz .LBB46_34
; %bb.32:                               ;   in Loop: Header=BB46_20 Depth=2
	s_andn2_saveexec_b64 s[4:5], s[4:5]
	s_cbranch_execnz .LBB46_35
.LBB46_33:                              ;   in Loop: Header=BB46_20 Depth=2
	s_or_b64 exec, exec, s[4:5]
	v_cmp_gt_u32_e64 s[4:5], s6, v42
	s_and_saveexec_b64 s[20:21], s[4:5]
	s_cbranch_execnz .LBB46_36
	s_branch .LBB46_45
.LBB46_34:                              ;   in Loop: Header=BB46_20 Depth=2
	s_waitcnt vmcnt(0) lgkmcnt(0)
	v_lshl_add_u64 v[24:25], v[38:39], 1, s[8:9]
	global_load_dwordx4 v[24:27], v[24:25], off
	s_andn2_saveexec_b64 s[4:5], s[4:5]
	s_cbranch_execz .LBB46_33
.LBB46_35:                              ;   in Loop: Header=BB46_20 Depth=2
	s_waitcnt vmcnt(0) lgkmcnt(0)
	v_add_u32_e32 v24, s26, v49
	ds_read_b128 v[24:27], v24
	s_or_b64 exec, exec, s[4:5]
	v_cmp_gt_u32_e64 s[4:5], s6, v42
	s_and_saveexec_b64 s[20:21], s[4:5]
	s_cbranch_execz .LBB46_45
.LBB46_36:                              ;   in Loop: Header=BB46_20 Depth=2
	v_cmp_lt_u32_e64 s[4:5], s29, v42
                                        ; implicit-def: $vgpr20_vgpr21
	s_and_saveexec_b64 s[24:25], s[4:5]
	s_xor_b64 s[4:5], exec, s[24:25]
	s_cbranch_execz .LBB46_38
; %bb.37:                               ;   in Loop: Header=BB46_20 Depth=2
	v_mov_b32_e32 v43, v39
	s_waitcnt vmcnt(0) lgkmcnt(0)
	v_lshl_add_u64 v[20:21], v[42:43], 1, s[8:9]
	global_load_dwordx4 v[20:23], v[20:21], off
.LBB46_38:                              ;   in Loop: Header=BB46_20 Depth=2
	s_andn2_saveexec_b64 s[4:5], s[4:5]
	s_cbranch_execz .LBB46_40
; %bb.39:                               ;   in Loop: Header=BB46_20 Depth=2
	s_waitcnt vmcnt(0) lgkmcnt(0)
	ds_read_b128 v[20:23], v49 offset:1024
.LBB46_40:                              ;   in Loop: Header=BB46_20 Depth=2
	s_or_b64 exec, exec, s[4:5]
	v_add_u32_e32 v38, 0x200, v38
	v_cmp_lt_u32_e64 s[4:5], s29, v38
                                        ; implicit-def: $vgpr28_vgpr29
	s_and_saveexec_b64 s[24:25], s[4:5]
	s_xor_b64 s[4:5], exec, s[24:25]
	s_cbranch_execz .LBB46_42
; %bb.41:                               ;   in Loop: Header=BB46_20 Depth=2
	s_waitcnt vmcnt(0) lgkmcnt(0)
	v_lshl_add_u64 v[28:29], v[38:39], 1, s[8:9]
	global_load_dwordx4 v[28:31], v[28:29], off
.LBB46_42:                              ;   in Loop: Header=BB46_20 Depth=2
	s_andn2_saveexec_b64 s[4:5], s[4:5]
	s_cbranch_execz .LBB46_44
; %bb.43:                               ;   in Loop: Header=BB46_20 Depth=2
	s_waitcnt vmcnt(0) lgkmcnt(0)
	v_add_u32_e32 v28, s26, v49
	ds_read_b128 v[28:31], v28 offset:1024
.LBB46_44:                              ;   in Loop: Header=BB46_20 Depth=2
	s_or_b64 exec, exec, s[4:5]
.LBB46_45:                              ;   in Loop: Header=BB46_20 Depth=2
	s_or_b64 exec, exec, s[20:21]
	s_or_b64 exec, exec, s[18:19]
	s_and_saveexec_b64 s[18:19], vcc
	s_cbranch_execz .LBB46_23
.LBB46_46:                              ;   in Loop: Header=BB46_20 Depth=2
	s_waitcnt vmcnt(0) lgkmcnt(0)
	;;#ASMSTART
	v_dot2c_f32_f16 v35, v16, v12
	;;#ASMEND
	;;#ASMSTART
	v_dot2c_f32_f16 v48, v16, v4
	;;#ASMEND
	v_cmp_gt_u32_e64 s[4:5], s6, v42
	;;#ASMSTART
	v_dot2c_f32_f16 v35, v17, v13
	;;#ASMEND
	;;#ASMSTART
	v_dot2c_f32_f16 v48, v17, v5
	;;#ASMEND
	s_nop 0
	;;#ASMSTART
	v_dot2c_f32_f16 v35, v18, v14
	;;#ASMEND
	;;#ASMSTART
	v_dot2c_f32_f16 v48, v18, v6
	;;#ASMEND
	s_nop 0
	;;#ASMSTART
	v_dot2c_f32_f16 v35, v19, v15
	;;#ASMEND
	;;#ASMSTART
	v_dot2c_f32_f16 v48, v19, v7
	;;#ASMEND
	s_and_saveexec_b64 s[20:21], s[4:5]
	s_cbranch_execz .LBB46_48
; %bb.47:                               ;   in Loop: Header=BB46_20 Depth=2
	;;#ASMSTART
	v_dot2c_f32_f16 v35, v20, v8
	;;#ASMEND
	;;#ASMSTART
	v_dot2c_f32_f16 v48, v20, v0
	;;#ASMEND
	s_nop 0
	;;#ASMSTART
	v_dot2c_f32_f16 v35, v21, v9
	;;#ASMEND
	;;#ASMSTART
	v_dot2c_f32_f16 v48, v21, v1
	;;#ASMEND
	s_nop 0
	;;#ASMSTART
	v_dot2c_f32_f16 v35, v22, v10
	;;#ASMEND
	;;#ASMSTART
	v_dot2c_f32_f16 v48, v22, v2
	;;#ASMEND
	s_nop 0
	;;#ASMSTART
	v_dot2c_f32_f16 v35, v23, v11
	;;#ASMEND
	;;#ASMSTART
	v_dot2c_f32_f16 v48, v23, v3
	;;#ASMEND
.LBB46_48:                              ;   in Loop: Header=BB46_20 Depth=2
	s_or_b64 exec, exec, s[20:21]
	s_or_b64 exec, exec, s[18:19]
	s_and_saveexec_b64 s[4:5], vcc
	s_cbranch_execz .LBB46_19
.LBB46_49:                              ;   in Loop: Header=BB46_20 Depth=2
	s_waitcnt vmcnt(0) lgkmcnt(0)
	;;#ASMSTART
	v_dot2c_f32_f16 v47, v24, v12
	;;#ASMEND
	;;#ASMSTART
	v_dot2c_f32_f16 v41, v24, v4
	;;#ASMEND
	v_cmp_gt_u32_e32 vcc, s6, v42
	;;#ASMSTART
	v_dot2c_f32_f16 v47, v25, v13
	;;#ASMEND
	;;#ASMSTART
	v_dot2c_f32_f16 v41, v25, v5
	;;#ASMEND
	s_nop 0
	;;#ASMSTART
	v_dot2c_f32_f16 v47, v26, v14
	;;#ASMEND
	;;#ASMSTART
	v_dot2c_f32_f16 v41, v26, v6
	;;#ASMEND
	s_nop 0
	;;#ASMSTART
	v_dot2c_f32_f16 v47, v27, v15
	;;#ASMEND
	;;#ASMSTART
	v_dot2c_f32_f16 v41, v27, v7
	;;#ASMEND
	s_and_saveexec_b64 s[18:19], vcc
	s_cbranch_execz .LBB46_18
; %bb.50:                               ;   in Loop: Header=BB46_20 Depth=2
	;;#ASMSTART
	v_dot2c_f32_f16 v47, v28, v8
	;;#ASMEND
	;;#ASMSTART
	v_dot2c_f32_f16 v41, v28, v0
	;;#ASMEND
	s_nop 0
	;;#ASMSTART
	v_dot2c_f32_f16 v47, v29, v9
	;;#ASMEND
	;;#ASMSTART
	v_dot2c_f32_f16 v41, v29, v1
	;;#ASMEND
	s_nop 0
	;; [unrolled: 7-line block ×3, first 2 shown]
	;;#ASMSTART
	v_dot2c_f32_f16 v47, v31, v11
	;;#ASMEND
	;;#ASMSTART
	v_dot2c_f32_f16 v41, v31, v3
	;;#ASMEND
	s_branch .LBB46_18
.LBB46_51:                              ;   in Loop: Header=BB46_16 Depth=1
	v_mov_b32_e32 v35, v39
	v_mov_b32_e32 v48, v39
	v_mov_b32_e32 v47, v39
	v_mov_b32_e32 v41, v39
.LBB46_52:                              ;   in Loop: Header=BB46_16 Depth=1
	;;#ASMSTART
	s_nop 0
	v_add_f32 v35, v35, v35 row_shr:8 bound_ctrl:0 
	;;#ASMEND
	;;#ASMSTART
	s_nop 0
	v_add_f32 v48, v48, v48 row_shr:8 bound_ctrl:0 
	;;#ASMEND
	;;#ASMSTART
	s_nop 0
	v_add_f32 v47, v47, v47 row_shr:8 bound_ctrl:0 
	;;#ASMEND
	;;#ASMSTART
	s_nop 0
	v_add_f32 v41, v41, v41 row_shr:8 bound_ctrl:0 
	;;#ASMEND
	s_nop 0
	;;#ASMSTART
	s_nop 0
	v_add_f32 v35, v35, v35 row_shr:4 bound_ctrl:0 
	;;#ASMEND
	;;#ASMSTART
	s_nop 0
	v_add_f32 v48, v48, v48 row_shr:4 bound_ctrl:0 
	;;#ASMEND
	;;#ASMSTART
	s_nop 0
	v_add_f32 v47, v47, v47 row_shr:4 bound_ctrl:0 
	;;#ASMEND
	;;#ASMSTART
	s_nop 0
	v_add_f32 v41, v41, v41 row_shr:4 bound_ctrl:0 
	;;#ASMEND
	s_nop 0
	;; [unrolled: 17-line block ×3, first 2 shown]
	;;#ASMSTART
	s_nop 0
	v_add_f32 v35, v35, v35 wave_shr:1 bound_ctrl:0
	;;#ASMEND
	;;#ASMSTART
	s_nop 0
	v_add_f32 v48, v48, v48 wave_shr:1 bound_ctrl:0
	;;#ASMEND
	;; [unrolled: 4-line block ×4, first 2 shown]
	s_nop 0
	;;#ASMSTART
	s_nop 0
	v_add_f32 v35, v35, v35 row_bcast:15 bound_ctrl:0
	;;#ASMEND
	;;#ASMSTART
	s_nop 0
	v_add_f32 v48, v48, v48 row_bcast:15 bound_ctrl:0
	;;#ASMEND
	;; [unrolled: 4-line block ×4, first 2 shown]
	s_nop 0
	;;#ASMSTART
	s_nop 0
	v_add_f32 v35, v35, v35 row_bcast:31 bound_ctrl:0
	;;#ASMEND
	;;#ASMSTART
	s_nop 0
	v_add_f32 v48, v48, v48 row_bcast:31 bound_ctrl:0
	;;#ASMEND
	;; [unrolled: 4-line block ×4, first 2 shown]
	s_and_saveexec_b64 s[18:19], s[0:1]
	s_cbranch_execz .LBB46_58
; %bb.53:                               ;   in Loop: Header=BB46_16 Depth=1
	v_cmp_ne_u32_e32 vcc, 0, v32
	s_and_saveexec_b64 s[4:5], vcc
	s_cbranch_execnz .LBB46_63
; %bb.54:                               ;   in Loop: Header=BB46_16 Depth=1
	s_or_b64 exec, exec, s[4:5]
	v_cmp_ne_u32_e64 s[4:5], 0, v33
	s_and_saveexec_b64 s[20:21], s[4:5]
	s_cbranch_execnz .LBB46_64
.LBB46_55:                              ;   in Loop: Header=BB46_16 Depth=1
	s_or_b64 exec, exec, s[20:21]
	v_add_u32_e32 v38, s7, v34
	s_and_saveexec_b64 s[20:21], vcc
	s_cbranch_execnz .LBB46_65
.LBB46_56:                              ;   in Loop: Header=BB46_16 Depth=1
	s_or_b64 exec, exec, s[20:21]
	s_and_b64 exec, exec, s[4:5]
	s_cbranch_execz .LBB46_58
.LBB46_57:                              ;   in Loop: Header=BB46_16 Depth=1
	v_cvt_f16_f32_e32 v35, v41
	v_add_u32_e32 v38, 1, v38
	s_waitcnt lgkmcnt(0)
	v_lshl_add_u64 v[40:41], v[38:39], 1, s[12:13]
	global_store_short v[40:41], v35, off
.LBB46_58:                              ;   in Loop: Header=BB46_16 Depth=1
	s_or_b64 exec, exec, s[18:19]
	v_add_u32_e32 v34, s27, v34
	v_add_u32_e32 v35, 2, v34
	v_cmp_gt_u32_e32 vcc, s7, v34
	v_cmp_le_u32_e64 s[4:5], s7, v35
	s_and_b64 s[4:5], vcc, s[4:5]
	s_and_saveexec_b64 s[18:19], s[4:5]
	s_cbranch_execz .LBB46_15
; %bb.59:                               ;   in Loop: Header=BB46_16 Depth=1
	v_cmp_ne_u32_e32 vcc, s28, v34
	s_and_saveexec_b64 s[20:21], vcc
	s_cbranch_execz .LBB46_14
; %bb.60:                               ;   in Loop: Header=BB46_16 Depth=1
	v_subrev_u32_e32 v34, s28, v34
	v_cmp_lt_u32_e32 vcc, 1, v34
	s_mov_b64 s[22:23], 0
	s_mov_b64 s[24:25], 0
	v_cndmask_b32_e32 v34, 1, v34, vcc
.LBB46_61:                              ;   Parent Loop BB46_16 Depth=1
                                        ; =>  This Inner Loop Header: Depth=2
	s_cmp_lg_u32 s24, 1
	s_cselect_b64 vcc, -1, 0
	s_cmp_lg_u32 s24, 0
	v_cndmask_b32_e32 v33, 0, v33, vcc
	s_cselect_b64 vcc, -1, 0
	s_add_u32 s24, s24, 1
	s_addc_u32 s25, s25, 0
	v_cmp_eq_u32_e64 s[4:5], s24, v34
	s_or_b64 s[22:23], s[4:5], s[22:23]
	v_cndmask_b32_e32 v32, 0, v32, vcc
	s_andn2_b64 exec, exec, s[22:23]
	s_cbranch_execnz .LBB46_61
; %bb.62:                               ;   in Loop: Header=BB46_16 Depth=1
	s_or_b64 exec, exec, s[22:23]
	s_branch .LBB46_14
.LBB46_63:                              ;   in Loop: Header=BB46_16 Depth=1
	v_cvt_f16_f32_e32 v38, v35
	v_mov_b32_e32 v35, v39
	s_waitcnt lgkmcnt(0)
	v_lshl_add_u64 v[42:43], v[34:35], 1, s[12:13]
	global_store_short v[42:43], v38, off
	s_or_b64 exec, exec, s[4:5]
	v_cmp_ne_u32_e64 s[4:5], 0, v33
	s_and_saveexec_b64 s[20:21], s[4:5]
	s_cbranch_execz .LBB46_55
.LBB46_64:                              ;   in Loop: Header=BB46_16 Depth=1
	v_cvt_f16_f32_e32 v35, v48
	v_add_u32_e32 v38, 1, v34
	s_waitcnt lgkmcnt(0)
	v_lshl_add_u64 v[42:43], v[38:39], 1, s[12:13]
	global_store_short v[42:43], v35, off
	s_or_b64 exec, exec, s[20:21]
	v_add_u32_e32 v38, s7, v34
	s_and_saveexec_b64 s[20:21], vcc
	s_cbranch_execz .LBB46_56
.LBB46_65:                              ;   in Loop: Header=BB46_16 Depth=1
	v_cvt_f16_f32_e32 v35, v47
	s_waitcnt lgkmcnt(0)
	v_lshl_add_u64 v[42:43], v[38:39], 1, s[12:13]
	global_store_short v[42:43], v35, off
	s_or_b64 exec, exec, s[20:21]
	s_and_b64 exec, exec, s[4:5]
	s_cbranch_execnz .LBB46_57
	s_branch .LBB46_58
.LBB46_66:
	s_endpgm
	.section	.rodata,"a",@progbits
	.p2align	6, 0x0
	.amdhsa_kernel _ZN5aiter12wvSplitK_hf_I6__halfLi64ELi2ELi16ELi8ELi2ELi2EEEviiPKT_S4_PS2_ii
		.amdhsa_group_segment_fixed_size 65536
		.amdhsa_private_segment_fixed_size 0
		.amdhsa_kernarg_size 40
		.amdhsa_user_sgpr_count 2
		.amdhsa_user_sgpr_dispatch_ptr 0
		.amdhsa_user_sgpr_queue_ptr 0
		.amdhsa_user_sgpr_kernarg_segment_ptr 1
		.amdhsa_user_sgpr_dispatch_id 0
		.amdhsa_user_sgpr_kernarg_preload_length 0
		.amdhsa_user_sgpr_kernarg_preload_offset 0
		.amdhsa_user_sgpr_private_segment_size 0
		.amdhsa_uses_dynamic_stack 0
		.amdhsa_enable_private_segment 0
		.amdhsa_system_sgpr_workgroup_id_x 1
		.amdhsa_system_sgpr_workgroup_id_y 0
		.amdhsa_system_sgpr_workgroup_id_z 0
		.amdhsa_system_sgpr_workgroup_info 0
		.amdhsa_system_vgpr_workitem_id 1
		.amdhsa_next_free_vgpr 54
		.amdhsa_next_free_sgpr 30
		.amdhsa_accum_offset 56
		.amdhsa_reserve_vcc 1
		.amdhsa_float_round_mode_32 0
		.amdhsa_float_round_mode_16_64 0
		.amdhsa_float_denorm_mode_32 3
		.amdhsa_float_denorm_mode_16_64 3
		.amdhsa_dx10_clamp 1
		.amdhsa_ieee_mode 1
		.amdhsa_fp16_overflow 0
		.amdhsa_tg_split 0
		.amdhsa_exception_fp_ieee_invalid_op 0
		.amdhsa_exception_fp_denorm_src 0
		.amdhsa_exception_fp_ieee_div_zero 0
		.amdhsa_exception_fp_ieee_overflow 0
		.amdhsa_exception_fp_ieee_underflow 0
		.amdhsa_exception_fp_ieee_inexact 0
		.amdhsa_exception_int_div_zero 0
	.end_amdhsa_kernel
	.section	.text._ZN5aiter12wvSplitK_hf_I6__halfLi64ELi2ELi16ELi8ELi2ELi2EEEviiPKT_S4_PS2_ii,"axG",@progbits,_ZN5aiter12wvSplitK_hf_I6__halfLi64ELi2ELi16ELi8ELi2ELi2EEEviiPKT_S4_PS2_ii,comdat
.Lfunc_end46:
	.size	_ZN5aiter12wvSplitK_hf_I6__halfLi64ELi2ELi16ELi8ELi2ELi2EEEviiPKT_S4_PS2_ii, .Lfunc_end46-_ZN5aiter12wvSplitK_hf_I6__halfLi64ELi2ELi16ELi8ELi2ELi2EEEviiPKT_S4_PS2_ii
                                        ; -- End function
	.section	.AMDGPU.csdata,"",@progbits
; Kernel info:
; codeLenInByte = 2252
; NumSgprs: 36
; NumVgprs: 54
; NumAgprs: 0
; TotalNumVgprs: 54
; ScratchSize: 0
; MemoryBound: 1
; FloatMode: 240
; IeeeMode: 1
; LDSByteSize: 65536 bytes/workgroup (compile time only)
; SGPRBlocks: 4
; VGPRBlocks: 6
; NumSGPRsForWavesPerEU: 36
; NumVGPRsForWavesPerEU: 54
; AccumOffset: 56
; Occupancy: 4
; WaveLimiterHint : 0
; COMPUTE_PGM_RSRC2:SCRATCH_EN: 0
; COMPUTE_PGM_RSRC2:USER_SGPR: 2
; COMPUTE_PGM_RSRC2:TRAP_HANDLER: 0
; COMPUTE_PGM_RSRC2:TGID_X_EN: 1
; COMPUTE_PGM_RSRC2:TGID_Y_EN: 0
; COMPUTE_PGM_RSRC2:TGID_Z_EN: 0
; COMPUTE_PGM_RSRC2:TIDIG_COMP_CNT: 1
; COMPUTE_PGM_RSRC3_GFX90A:ACCUM_OFFSET: 13
; COMPUTE_PGM_RSRC3_GFX90A:TG_SPLIT: 0
	.section	.text._ZN5aiter16wvSplitK_hf_big_I6__halfLi64ELi2ELi16ELi8ELi2ELi2EEEviiPKT_S4_PS2_ii,"axG",@progbits,_ZN5aiter16wvSplitK_hf_big_I6__halfLi64ELi2ELi16ELi8ELi2ELi2EEEviiPKT_S4_PS2_ii,comdat
	.protected	_ZN5aiter16wvSplitK_hf_big_I6__halfLi64ELi2ELi16ELi8ELi2ELi2EEEviiPKT_S4_PS2_ii ; -- Begin function _ZN5aiter16wvSplitK_hf_big_I6__halfLi64ELi2ELi16ELi8ELi2ELi2EEEviiPKT_S4_PS2_ii
	.globl	_ZN5aiter16wvSplitK_hf_big_I6__halfLi64ELi2ELi16ELi8ELi2ELi2EEEviiPKT_S4_PS2_ii
	.p2align	8
	.type	_ZN5aiter16wvSplitK_hf_big_I6__halfLi64ELi2ELi16ELi8ELi2ELi2EEEviiPKT_S4_PS2_ii,@function
_ZN5aiter16wvSplitK_hf_big_I6__halfLi64ELi2ELi16ELi8ELi2ELi2EEEviiPKT_S4_PS2_ii: ; @_ZN5aiter16wvSplitK_hf_big_I6__halfLi64ELi2ELi16ELi8ELi2ELi2EEEviiPKT_S4_PS2_ii
; %bb.0:
	s_load_dwordx2 s[4:5], s[0:1], 0x20
	v_bfe_u32 v1, v0, 10, 10
	s_waitcnt lgkmcnt(0)
	v_cmp_gt_u32_e32 vcc, s4, v1
	s_and_saveexec_b64 s[6:7], vcc
	s_cbranch_execz .LBB47_55
; %bb.1:
	s_load_dwordx2 s[10:11], s[0:1], 0x0
	s_mul_i32 s2, s2, s4
	v_add_lshl_u32 v34, s2, v1, 1
	s_mov_b32 s6, 1
	v_add_u32_e32 v2, 2, v34
	s_waitcnt lgkmcnt(0)
	v_cmp_gt_u32_e32 vcc, s11, v34
	v_cmp_le_u32_e64 s[2:3], s11, v2
	s_mov_b32 s7, s6
	s_and_b64 s[8:9], vcc, s[2:3]
	v_mov_b64_e32 v[32:33], s[6:7]
	s_and_saveexec_b64 s[2:3], s[8:9]
	s_cbranch_execz .LBB47_7
; %bb.2:
	s_add_i32 s16, s11, -2
	v_cmp_ne_u32_e32 vcc, s16, v34
	v_mov_b64_e32 v[32:33], s[6:7]
	s_and_saveexec_b64 s[6:7], vcc
	s_cbranch_execz .LBB47_6
; %bb.3:
	v_subrev_u32_e32 v2, s16, v34
	s_mov_b32 s8, 1
	v_cmp_lt_u32_e32 vcc, 1, v2
	s_mov_b64 s[12:13], 0
	s_mov_b64 s[14:15], 0
	v_cndmask_b32_e32 v2, 1, v2, vcc
	s_mov_b32 s9, s8
.LBB47_4:                               ; =>This Inner Loop Header: Depth=1
	s_cmp_lg_u32 s14, 1
	s_cselect_b32 s9, s9, 0
	s_cmp_lg_u32 s14, 0
	s_cselect_b32 s8, s8, 0
	s_add_u32 s14, s14, 1
	s_addc_u32 s15, s15, 0
	v_cmp_eq_u32_e32 vcc, s14, v2
	s_or_b64 s[12:13], vcc, s[12:13]
	v_mov_b64_e32 v[32:33], s[8:9]
	s_andn2_b64 exec, exec, s[12:13]
	s_cbranch_execnz .LBB47_4
; %bb.5:
	s_or_b64 exec, exec, s[12:13]
	v_mov_b32_e32 v34, s16
.LBB47_6:
	s_or_b64 exec, exec, s[6:7]
.LBB47_7:
	s_or_b64 exec, exec, s[2:3]
	s_lshl_b32 s2, s4, 1
	s_abs_i32 s3, s2
	v_cvt_f32_u32_e32 v2, s3
	s_sub_i32 s8, 0, s3
	s_abs_i32 s7, s11
	s_ashr_i32 s6, s11, 31
	v_rcp_iflag_f32_e32 v2, v2
	s_nop 0
	v_mul_f32_e32 v2, 0x4f7ffffe, v2
	v_cvt_u32_f32_e32 v2, v2
	s_nop 0
	v_readfirstlane_b32 s9, v2
	s_mul_i32 s8, s8, s9
	s_mul_hi_u32 s8, s9, s8
	s_add_i32 s9, s9, s8
	s_mul_hi_u32 s8, s7, s9
	s_mul_i32 s8, s8, s3
	s_sub_i32 s7, s7, s8
	s_sub_i32 s8, s7, s3
	s_cmp_ge_u32 s7, s3
	s_cselect_b32 s7, s8, s7
	s_sub_i32 s8, s7, s3
	s_cmp_ge_u32 s7, s3
	s_cselect_b32 s3, s8, s7
	s_xor_b32 s3, s3, s6
	s_sub_i32 s3, s3, s6
	s_add_i32 s2, s2, s11
	s_sub_i32 s2, s2, s3
	s_cmp_eq_u32 s3, 0
	s_cselect_b32 s33, s11, s2
	v_cmp_gt_u32_e32 vcc, s33, v34
	s_and_b64 exec, exec, vcc
	s_cbranch_execz .LBB47_55
; %bb.8:
	s_mov_b32 s2, 0
	s_load_dwordx4 s[12:15], s[0:1], 0x8
	s_load_dwordx2 s[16:17], s[0:1], 0x18
	v_cvt_f64_i32_e32 v[2:3], s10
	s_mov_b32 s3, 0x40d00000
	v_min_f64 v[2:3], v[2:3], s[2:3]
	s_cmp_lg_u32 s10, 0
	v_and_b32_e32 v0, 0x3ff, v0
	s_mul_i32 s0, s5, s4
	v_cvt_u32_f64_e32 v2, v[2:3]
	v_lshlrev_b32_e32 v38, 3, v0
	s_cselect_b64 s[2:3], -1, 0
	s_lshl_b32 s36, s0, 1
	v_cmp_eq_u32_e64 s[0:1], 63, v0
	v_lshlrev_b32_e32 v0, 4, v0
	s_lshl_b32 s35, s4, 9
	s_ashr_i32 s19, s10, 31
	s_add_i32 s37, s11, -2
	v_lshl_add_u32 v40, v1, 10, v0
	v_cndmask_b32_e64 v0, 0, 1, s[2:3]
	v_cmp_ne_u32_e32 vcc, 0, v2
	s_waitcnt lgkmcnt(0)
	s_add_u32 s20, s16, 2
	v_lshl_add_u32 v41, v1, 9, v38
	v_cmp_ne_u32_e64 s[2:3], 1, v0
	v_cndmask_b32_e64 v0, 0, 1, vcc
	v_readfirstlane_b32 s34, v2
	s_mov_b32 s18, s10
	s_addc_u32 s21, s17, 0
	v_lshlrev_b32_e32 v39, 1, v2
	s_lshl_b32 s38, s4, 10
	v_add_u32_e32 v42, s10, v41
	s_mov_b64 s[22:23], 0
	v_cmp_ne_u32_e64 s[4:5], 1, v0
	v_mov_b32_e32 v37, 0
                                        ; implicit-def: $vgpr0_vgpr1_vgpr2_vgpr3
                                        ; implicit-def: $vgpr12_vgpr13_vgpr14_vgpr15
                                        ; implicit-def: $vgpr8_vgpr9_vgpr10_vgpr11
                                        ; implicit-def: $vgpr16_vgpr17_vgpr18_vgpr19
                                        ; implicit-def: $vgpr30_vgpr31
                                        ; implicit-def: $vgpr6_vgpr7
                                        ; implicit-def: $vgpr22_vgpr23
                                        ; implicit-def: $vgpr26_vgpr27
	s_branch .LBB47_12
.LBB47_9:                               ;   in Loop: Header=BB47_12 Depth=1
	s_or_b64 exec, exec, s[26:27]
	v_mov_b32_e32 v34, s37
.LBB47_10:                              ;   in Loop: Header=BB47_12 Depth=1
	s_or_b64 exec, exec, s[24:25]
.LBB47_11:                              ;   in Loop: Header=BB47_12 Depth=1
	s_or_b64 exec, exec, s[8:9]
	v_cmp_le_u32_e32 vcc, s33, v34
	s_or_b64 s[22:23], vcc, s[22:23]
	s_andn2_b64 exec, exec, s[22:23]
	s_cbranch_execz .LBB47_55
.LBB47_12:                              ; =>This Loop Header: Depth=1
                                        ;     Child Loop BB47_17 Depth 2
                                        ;       Child Loop BB47_21 Depth 3
                                        ;     Child Loop BB47_50 Depth 2
	s_and_b64 vcc, exec, s[2:3]
	s_mov_b32 s30, 0
	s_cbranch_vccnz .LBB47_37
; %bb.13:                               ;   in Loop: Header=BB47_12 Depth=1
	v_cmp_gt_u32_e64 s[6:7], s11, v34
	v_mul_lo_u32 v46, v34, s10
	v_mov_b32_e32 v43, 0
	v_mov_b32_e32 v44, 0
	;; [unrolled: 1-line block ×4, first 2 shown]
	s_mov_b32 s31, 0
	s_branch .LBB47_17
.LBB47_14:                              ;   in Loop: Header=BB47_17 Depth=2
	s_or_b64 exec, exec, s[26:27]
.LBB47_15:                              ;   in Loop: Header=BB47_17 Depth=2
	s_or_b64 exec, exec, s[8:9]
.LBB47_16:                              ;   in Loop: Header=BB47_17 Depth=2
	s_or_b64 exec, exec, s[24:25]
	s_addk_i32 s31, 0x400
	s_cmp_ge_u32 s31, s10
	s_cbranch_scc1 .LBB47_38
.LBB47_17:                              ;   Parent Loop BB47_12 Depth=1
                                        ; =>  This Loop Header: Depth=2
                                        ;       Child Loop BB47_21 Depth 3
	s_cmp_eq_u32 s31, 0
	s_cselect_b64 s[8:9], -1, 0
	s_add_i32 s24, s30, s34
	s_cmp_eq_u32 s31, s24
	s_cselect_b64 s[26:27], -1, 0
	s_or_b64 s[26:27], s[8:9], s[26:27]
	s_andn2_b64 vcc, exec, s[26:27]
	s_cbranch_vccnz .LBB47_25
; %bb.18:                               ;   in Loop: Header=BB47_17 Depth=2
	s_and_b64 s[8:9], s[8:9], exec
	s_cselect_b32 s30, s30, s24
	s_and_b64 vcc, exec, s[4:5]
	s_barrier
	s_cbranch_vccnz .LBB47_24
; %bb.19:                               ;   in Loop: Header=BB47_17 Depth=2
	v_add_u32_e32 v47, s30, v42
	v_add_u32_e32 v48, s30, v41
	s_mov_b32 s28, 0
	s_mov_b64 s[24:25], 0
	v_mov_b32_e32 v49, v40
                                        ; implicit-def: $sgpr26_sgpr27
	s_branch .LBB47_21
.LBB47_20:                              ;   in Loop: Header=BB47_21 Depth=3
	s_or_b64 exec, exec, s[8:9]
	s_and_b64 s[8:9], exec, s[26:27]
	s_or_b64 s[24:25], s[8:9], s[24:25]
	s_andn2_b64 exec, exec, s[24:25]
	s_cbranch_execz .LBB47_23
.LBB47_21:                              ;   Parent Loop BB47_12 Depth=1
                                        ;     Parent Loop BB47_17 Depth=2
                                        ; =>    This Inner Loop Header: Depth=3
	v_add_u32_e32 v50, s28, v41
	v_add_u32_e32 v36, s28, v48
	v_cmp_gt_u32_e32 vcc, s10, v36
	v_cmp_gt_u32_e64 s[8:9], s34, v50
	s_and_b64 s[40:41], vcc, s[8:9]
	s_or_b64 s[26:27], s[26:27], exec
	s_and_saveexec_b64 s[8:9], s[40:41]
	s_cbranch_execz .LBB47_20
; %bb.22:                               ;   in Loop: Header=BB47_21 Depth=3
	v_lshl_add_u64 v[50:51], v[36:37], 1, s[14:15]
	v_add_u32_e32 v36, s28, v47
	global_load_dwordx4 v[50:53], v[50:51], off
	v_lshl_add_u64 v[54:55], v[36:37], 1, s[14:15]
	global_load_dwordx4 v[54:57], v[54:55], off
	s_add_i32 s28, s28, s35
	s_cmp_ge_u32 s28, s34
	s_cselect_b64 s[40:41], -1, 0
	s_andn2_b64 s[26:27], s[26:27], exec
	s_and_b64 s[40:41], s[40:41], exec
	v_add_u32_e32 v36, v49, v39
	s_or_b64 s[26:27], s[26:27], s[40:41]
	s_waitcnt vmcnt(1)
	ds_write_b128 v49, v[50:53]
	v_add_u32_e32 v49, s38, v49
	s_waitcnt vmcnt(0)
	ds_write2_b64 v36, v[54:55], v[56:57] offset1:1
	s_branch .LBB47_20
.LBB47_23:                              ;   in Loop: Header=BB47_17 Depth=2
	s_or_b64 exec, exec, s[24:25]
.LBB47_24:                              ;   in Loop: Header=BB47_17 Depth=2
	s_waitcnt lgkmcnt(0)
	s_barrier
.LBB47_25:                              ;   in Loop: Header=BB47_17 Depth=2
	s_and_saveexec_b64 s[24:25], s[6:7]
	s_cbranch_execz .LBB47_16
; %bb.26:                               ;   in Loop: Header=BB47_17 Depth=2
	v_add_u32_e32 v47, s31, v38
	v_cmp_gt_u32_e32 vcc, s10, v47
	s_and_saveexec_b64 s[26:27], vcc
	s_cbranch_execnz .LBB47_29
; %bb.27:                               ;   in Loop: Header=BB47_17 Depth=2
	s_or_b64 exec, exec, s[26:27]
	s_and_saveexec_b64 s[26:27], vcc
	s_cbranch_execnz .LBB47_32
.LBB47_28:                              ;   in Loop: Header=BB47_17 Depth=2
	s_or_b64 exec, exec, s[26:27]
	s_and_saveexec_b64 s[8:9], vcc
	s_cbranch_execz .LBB47_15
	s_branch .LBB47_35
.LBB47_29:                              ;   in Loop: Header=BB47_17 Depth=2
	v_add_u32_e32 v36, v47, v46
	v_lshl_add_u64 v[48:49], v[36:37], 1, s[12:13]
	v_lshl_add_u64 v[50:51], s[18:19], 1, v[48:49]
	global_load_dwordx4 v[16:19], v[48:49], off nt
	global_load_dwordx4 v[12:15], v[50:51], off nt
	v_add_u32_e32 v36, 0x200, v47
	v_cmp_gt_u32_e64 s[8:9], s10, v36
	s_and_saveexec_b64 s[28:29], s[8:9]
	s_cbranch_execz .LBB47_31
; %bb.30:                               ;   in Loop: Header=BB47_17 Depth=2
	v_add_u32_e32 v36, v36, v46
	v_lshl_add_u64 v[48:49], v[36:37], 1, s[12:13]
	v_lshl_add_u64 v[50:51], s[18:19], 1, v[48:49]
	global_load_dwordx4 v[8:11], v[48:49], off nt
	global_load_dwordx4 v[0:3], v[50:51], off nt
.LBB47_31:                              ;   in Loop: Header=BB47_17 Depth=2
	s_or_b64 exec, exec, s[28:29]
	s_or_b64 exec, exec, s[26:27]
	s_and_saveexec_b64 s[26:27], vcc
	s_cbranch_execz .LBB47_28
.LBB47_32:                              ;   in Loop: Header=BB47_17 Depth=2
	s_waitcnt lgkmcnt(0)
	v_subrev_u32_e32 v20, s30, v47
	v_lshlrev_b32_e32 v48, 1, v20
	v_lshl_add_u32 v36, s34, 1, v48
	ds_read_b128 v[24:27], v48
	ds_read_b128 v[20:23], v36
	v_add_u32_e32 v49, 0x200, v47
	v_cmp_gt_u32_e64 s[8:9], s10, v49
	s_and_saveexec_b64 s[28:29], s[8:9]
	s_cbranch_execz .LBB47_34
; %bb.33:                               ;   in Loop: Header=BB47_17 Depth=2
	ds_read_b128 v[4:7], v48 offset:1024
	ds_read_b128 v[28:31], v36 offset:1024
.LBB47_34:                              ;   in Loop: Header=BB47_17 Depth=2
	s_or_b64 exec, exec, s[28:29]
	s_or_b64 exec, exec, s[26:27]
	s_and_saveexec_b64 s[8:9], vcc
	s_cbranch_execz .LBB47_15
.LBB47_35:                              ;   in Loop: Header=BB47_17 Depth=2
	s_waitcnt vmcnt(1) lgkmcnt(1)
	;;#ASMSTART
	v_dot2c_f32_f16 v35, v24, v16
	;;#ASMEND
	s_waitcnt vmcnt(0)
	;;#ASMSTART
	v_dot2c_f32_f16 v45, v24, v12
	;;#ASMEND
	s_waitcnt lgkmcnt(0)
	;;#ASMSTART
	v_dot2c_f32_f16 v44, v20, v16
	;;#ASMEND
	;;#ASMSTART
	v_dot2c_f32_f16 v43, v20, v12
	;;#ASMEND
	v_add_u32_e32 v36, 0x200, v47
	;;#ASMSTART
	v_dot2c_f32_f16 v35, v25, v17
	;;#ASMEND
	;;#ASMSTART
	v_dot2c_f32_f16 v45, v25, v13
	;;#ASMEND
	;; [unrolled: 3-line block ×4, first 2 shown]
	v_cmp_gt_u32_e32 vcc, s10, v36
	;;#ASMSTART
	v_dot2c_f32_f16 v35, v26, v18
	;;#ASMEND
	;;#ASMSTART
	v_dot2c_f32_f16 v45, v26, v14
	;;#ASMEND
	;; [unrolled: 3-line block ×4, first 2 shown]
	s_nop 0
	;;#ASMSTART
	v_dot2c_f32_f16 v35, v27, v19
	;;#ASMEND
	;;#ASMSTART
	v_dot2c_f32_f16 v45, v27, v15
	;;#ASMEND
	;; [unrolled: 3-line block ×4, first 2 shown]
	s_and_saveexec_b64 s[26:27], vcc
	s_cbranch_execz .LBB47_14
; %bb.36:                               ;   in Loop: Header=BB47_17 Depth=2
	;;#ASMSTART
	v_dot2c_f32_f16 v35, v4, v8
	;;#ASMEND
	;;#ASMSTART
	v_dot2c_f32_f16 v45, v4, v0
	;;#ASMEND
	;;#ASMSTART
	v_dot2c_f32_f16 v44, v28, v8
	;;#ASMEND
	;;#ASMSTART
	v_dot2c_f32_f16 v43, v28, v0
	;;#ASMEND
	s_nop 0
	;;#ASMSTART
	v_dot2c_f32_f16 v35, v5, v9
	;;#ASMEND
	;;#ASMSTART
	v_dot2c_f32_f16 v45, v5, v1
	;;#ASMEND
	;;#ASMSTART
	v_dot2c_f32_f16 v44, v29, v9
	;;#ASMEND
	;;#ASMSTART
	v_dot2c_f32_f16 v43, v29, v1
	;;#ASMEND
	s_nop 0
	;; [unrolled: 13-line block ×3, first 2 shown]
	;;#ASMSTART
	v_dot2c_f32_f16 v35, v7, v11
	;;#ASMEND
	;;#ASMSTART
	v_dot2c_f32_f16 v45, v7, v3
	;;#ASMEND
	;; [unrolled: 3-line block ×4, first 2 shown]
	s_branch .LBB47_14
.LBB47_37:                              ;   in Loop: Header=BB47_12 Depth=1
	v_mov_b32_e32 v35, v37
	v_mov_b32_e32 v45, v37
	;; [unrolled: 1-line block ×4, first 2 shown]
.LBB47_38:                              ;   in Loop: Header=BB47_12 Depth=1
	v_cmp_le_u32_e32 vcc, s11, v34
	s_and_saveexec_b64 s[6:7], vcc
	s_xor_b64 s[6:7], exec, s[6:7]
; %bb.39:                               ;   in Loop: Header=BB47_12 Depth=1
	v_add_u32_e32 v34, s36, v34
                                        ; implicit-def: $vgpr35
                                        ; implicit-def: $vgpr45
                                        ; implicit-def: $vgpr44
                                        ; implicit-def: $vgpr43
; %bb.40:                               ;   in Loop: Header=BB47_12 Depth=1
	s_andn2_saveexec_b64 s[8:9], s[6:7]
	s_cbranch_execz .LBB47_11
; %bb.41:                               ;   in Loop: Header=BB47_12 Depth=1
	;;#ASMSTART
	s_nop 0
	v_add_f32 v35, v35, v35 row_shr:8 bound_ctrl:0 
	;;#ASMEND
	;;#ASMSTART
	s_nop 0
	v_add_f32 v45, v45, v45 row_shr:8 bound_ctrl:0 
	;;#ASMEND
	;;#ASMSTART
	s_nop 0
	v_add_f32 v44, v44, v44 row_shr:8 bound_ctrl:0 
	;;#ASMEND
	;;#ASMSTART
	s_nop 0
	v_add_f32 v43, v43, v43 row_shr:8 bound_ctrl:0 
	;;#ASMEND
	s_nop 0
	;;#ASMSTART
	s_nop 0
	v_add_f32 v35, v35, v35 row_shr:4 bound_ctrl:0 
	;;#ASMEND
	;;#ASMSTART
	s_nop 0
	v_add_f32 v45, v45, v45 row_shr:4 bound_ctrl:0 
	;;#ASMEND
	;;#ASMSTART
	s_nop 0
	v_add_f32 v44, v44, v44 row_shr:4 bound_ctrl:0 
	;;#ASMEND
	;;#ASMSTART
	s_nop 0
	v_add_f32 v43, v43, v43 row_shr:4 bound_ctrl:0 
	;;#ASMEND
	s_nop 0
	;; [unrolled: 17-line block ×3, first 2 shown]
	;;#ASMSTART
	s_nop 0
	v_add_f32 v35, v35, v35 wave_shr:1 bound_ctrl:0
	;;#ASMEND
	;;#ASMSTART
	s_nop 0
	v_add_f32 v45, v45, v45 wave_shr:1 bound_ctrl:0
	;;#ASMEND
	;; [unrolled: 4-line block ×4, first 2 shown]
	s_nop 0
	;;#ASMSTART
	s_nop 0
	v_add_f32 v35, v35, v35 row_bcast:15 bound_ctrl:0
	;;#ASMEND
	;;#ASMSTART
	s_nop 0
	v_add_f32 v45, v45, v45 row_bcast:15 bound_ctrl:0
	;;#ASMEND
	;; [unrolled: 4-line block ×4, first 2 shown]
	s_nop 0
	;;#ASMSTART
	s_nop 0
	v_add_f32 v35, v35, v35 row_bcast:31 bound_ctrl:0
	;;#ASMEND
	;;#ASMSTART
	s_nop 0
	v_add_f32 v45, v45, v45 row_bcast:31 bound_ctrl:0
	;;#ASMEND
	;; [unrolled: 4-line block ×4, first 2 shown]
	s_and_saveexec_b64 s[24:25], s[0:1]
	s_cbranch_execz .LBB47_47
; %bb.42:                               ;   in Loop: Header=BB47_12 Depth=1
	v_cmp_ne_u32_e32 vcc, 0, v32
	s_and_saveexec_b64 s[6:7], vcc
	s_cbranch_execnz .LBB47_52
; %bb.43:                               ;   in Loop: Header=BB47_12 Depth=1
	s_or_b64 exec, exec, s[6:7]
	v_cmp_ne_u32_e64 s[6:7], 0, v33
	s_and_saveexec_b64 s[26:27], s[6:7]
	s_cbranch_execnz .LBB47_53
.LBB47_44:                              ;   in Loop: Header=BB47_12 Depth=1
	s_or_b64 exec, exec, s[26:27]
	v_add_u32_e32 v36, s11, v34
	s_and_saveexec_b64 s[26:27], vcc
	s_cbranch_execnz .LBB47_54
.LBB47_45:                              ;   in Loop: Header=BB47_12 Depth=1
	s_or_b64 exec, exec, s[26:27]
	s_and_b64 exec, exec, s[6:7]
	s_cbranch_execz .LBB47_47
.LBB47_46:                              ;   in Loop: Header=BB47_12 Depth=1
	v_cvt_f16_f32_e32 v35, v43
	v_add_u32_e32 v36, 1, v36
	v_lshl_add_u64 v[44:45], v[36:37], 1, s[16:17]
	global_store_short v[44:45], v35, off
.LBB47_47:                              ;   in Loop: Header=BB47_12 Depth=1
	s_or_b64 exec, exec, s[24:25]
	v_add_u32_e32 v34, s36, v34
	v_add_u32_e32 v35, 2, v34
	v_cmp_gt_u32_e32 vcc, s11, v34
	v_cmp_le_u32_e64 s[6:7], s11, v35
	s_and_b64 s[6:7], vcc, s[6:7]
	s_and_saveexec_b64 s[24:25], s[6:7]
	s_cbranch_execz .LBB47_10
; %bb.48:                               ;   in Loop: Header=BB47_12 Depth=1
	v_cmp_ne_u32_e32 vcc, s37, v34
	s_and_saveexec_b64 s[26:27], vcc
	s_cbranch_execz .LBB47_9
; %bb.49:                               ;   in Loop: Header=BB47_12 Depth=1
	v_subrev_u32_e32 v34, s37, v34
	v_cmp_lt_u32_e32 vcc, 1, v34
	s_mov_b64 s[28:29], 0
	s_mov_b64 s[30:31], 0
	v_cndmask_b32_e32 v34, 1, v34, vcc
.LBB47_50:                              ;   Parent Loop BB47_12 Depth=1
                                        ; =>  This Inner Loop Header: Depth=2
	s_cmp_lg_u32 s30, 1
	s_cselect_b64 vcc, -1, 0
	s_cmp_lg_u32 s30, 0
	v_cndmask_b32_e32 v33, 0, v33, vcc
	s_cselect_b64 vcc, -1, 0
	s_add_u32 s30, s30, 1
	s_addc_u32 s31, s31, 0
	v_cmp_eq_u32_e64 s[6:7], s30, v34
	s_or_b64 s[28:29], s[6:7], s[28:29]
	v_cndmask_b32_e32 v32, 0, v32, vcc
	s_andn2_b64 exec, exec, s[28:29]
	s_cbranch_execnz .LBB47_50
; %bb.51:                               ;   in Loop: Header=BB47_12 Depth=1
	s_or_b64 exec, exec, s[28:29]
	s_branch .LBB47_9
.LBB47_52:                              ;   in Loop: Header=BB47_12 Depth=1
	v_cvt_f16_f32_e32 v36, v35
	v_mov_b32_e32 v35, v37
	v_lshl_add_u64 v[46:47], v[34:35], 1, s[16:17]
	global_store_short v[46:47], v36, off
	s_or_b64 exec, exec, s[6:7]
	v_cmp_ne_u32_e64 s[6:7], 0, v33
	s_and_saveexec_b64 s[26:27], s[6:7]
	s_cbranch_execz .LBB47_44
.LBB47_53:                              ;   in Loop: Header=BB47_12 Depth=1
	v_cvt_f16_f32_e32 v36, v45
	v_mov_b32_e32 v35, v37
	v_lshl_add_u64 v[46:47], v[34:35], 1, s[20:21]
	global_store_short v[46:47], v36, off
	s_or_b64 exec, exec, s[26:27]
	v_add_u32_e32 v36, s11, v34
	s_and_saveexec_b64 s[26:27], vcc
	s_cbranch_execz .LBB47_45
.LBB47_54:                              ;   in Loop: Header=BB47_12 Depth=1
	v_cvt_f16_f32_e32 v35, v44
	v_lshl_add_u64 v[44:45], v[36:37], 1, s[16:17]
	global_store_short v[44:45], v35, off
	s_or_b64 exec, exec, s[26:27]
	s_and_b64 exec, exec, s[6:7]
	s_cbranch_execnz .LBB47_46
	s_branch .LBB47_47
.LBB47_55:
	s_endpgm
	.section	.rodata,"a",@progbits
	.p2align	6, 0x0
	.amdhsa_kernel _ZN5aiter16wvSplitK_hf_big_I6__halfLi64ELi2ELi16ELi8ELi2ELi2EEEviiPKT_S4_PS2_ii
		.amdhsa_group_segment_fixed_size 65536
		.amdhsa_private_segment_fixed_size 0
		.amdhsa_kernarg_size 40
		.amdhsa_user_sgpr_count 2
		.amdhsa_user_sgpr_dispatch_ptr 0
		.amdhsa_user_sgpr_queue_ptr 0
		.amdhsa_user_sgpr_kernarg_segment_ptr 1
		.amdhsa_user_sgpr_dispatch_id 0
		.amdhsa_user_sgpr_kernarg_preload_length 0
		.amdhsa_user_sgpr_kernarg_preload_offset 0
		.amdhsa_user_sgpr_private_segment_size 0
		.amdhsa_uses_dynamic_stack 0
		.amdhsa_enable_private_segment 0
		.amdhsa_system_sgpr_workgroup_id_x 1
		.amdhsa_system_sgpr_workgroup_id_y 0
		.amdhsa_system_sgpr_workgroup_id_z 0
		.amdhsa_system_sgpr_workgroup_info 0
		.amdhsa_system_vgpr_workitem_id 1
		.amdhsa_next_free_vgpr 58
		.amdhsa_next_free_sgpr 42
		.amdhsa_accum_offset 60
		.amdhsa_reserve_vcc 1
		.amdhsa_float_round_mode_32 0
		.amdhsa_float_round_mode_16_64 0
		.amdhsa_float_denorm_mode_32 3
		.amdhsa_float_denorm_mode_16_64 3
		.amdhsa_dx10_clamp 1
		.amdhsa_ieee_mode 1
		.amdhsa_fp16_overflow 0
		.amdhsa_tg_split 0
		.amdhsa_exception_fp_ieee_invalid_op 0
		.amdhsa_exception_fp_denorm_src 0
		.amdhsa_exception_fp_ieee_div_zero 0
		.amdhsa_exception_fp_ieee_overflow 0
		.amdhsa_exception_fp_ieee_underflow 0
		.amdhsa_exception_fp_ieee_inexact 0
		.amdhsa_exception_int_div_zero 0
	.end_amdhsa_kernel
	.section	.text._ZN5aiter16wvSplitK_hf_big_I6__halfLi64ELi2ELi16ELi8ELi2ELi2EEEviiPKT_S4_PS2_ii,"axG",@progbits,_ZN5aiter16wvSplitK_hf_big_I6__halfLi64ELi2ELi16ELi8ELi2ELi2EEEviiPKT_S4_PS2_ii,comdat
.Lfunc_end47:
	.size	_ZN5aiter16wvSplitK_hf_big_I6__halfLi64ELi2ELi16ELi8ELi2ELi2EEEviiPKT_S4_PS2_ii, .Lfunc_end47-_ZN5aiter16wvSplitK_hf_big_I6__halfLi64ELi2ELi16ELi8ELi2ELi2EEEviiPKT_S4_PS2_ii
                                        ; -- End function
	.section	.AMDGPU.csdata,"",@progbits
; Kernel info:
; codeLenInByte = 2232
; NumSgprs: 48
; NumVgprs: 58
; NumAgprs: 0
; TotalNumVgprs: 58
; ScratchSize: 0
; MemoryBound: 0
; FloatMode: 240
; IeeeMode: 1
; LDSByteSize: 65536 bytes/workgroup (compile time only)
; SGPRBlocks: 5
; VGPRBlocks: 7
; NumSGPRsForWavesPerEU: 48
; NumVGPRsForWavesPerEU: 58
; AccumOffset: 60
; Occupancy: 4
; WaveLimiterHint : 0
; COMPUTE_PGM_RSRC2:SCRATCH_EN: 0
; COMPUTE_PGM_RSRC2:USER_SGPR: 2
; COMPUTE_PGM_RSRC2:TRAP_HANDLER: 0
; COMPUTE_PGM_RSRC2:TGID_X_EN: 1
; COMPUTE_PGM_RSRC2:TGID_Y_EN: 0
; COMPUTE_PGM_RSRC2:TGID_Z_EN: 0
; COMPUTE_PGM_RSRC2:TIDIG_COMP_CNT: 1
; COMPUTE_PGM_RSRC3_GFX90A:ACCUM_OFFSET: 14
; COMPUTE_PGM_RSRC3_GFX90A:TG_SPLIT: 0
	.section	.text._ZN5aiter16wvSplitK_hf_sml_I6__halfLi64ELi4ELi16ELi8ELi1ELi3EEEviiPKT_S4_PS2_ii,"axG",@progbits,_ZN5aiter16wvSplitK_hf_sml_I6__halfLi64ELi4ELi16ELi8ELi1ELi3EEEviiPKT_S4_PS2_ii,comdat
	.protected	_ZN5aiter16wvSplitK_hf_sml_I6__halfLi64ELi4ELi16ELi8ELi1ELi3EEEviiPKT_S4_PS2_ii ; -- Begin function _ZN5aiter16wvSplitK_hf_sml_I6__halfLi64ELi4ELi16ELi8ELi1ELi3EEEviiPKT_S4_PS2_ii
	.globl	_ZN5aiter16wvSplitK_hf_sml_I6__halfLi64ELi4ELi16ELi8ELi1ELi3EEEviiPKT_S4_PS2_ii
	.p2align	8
	.type	_ZN5aiter16wvSplitK_hf_sml_I6__halfLi64ELi4ELi16ELi8ELi1ELi3EEEviiPKT_S4_PS2_ii,@function
_ZN5aiter16wvSplitK_hf_sml_I6__halfLi64ELi4ELi16ELi8ELi1ELi3EEEviiPKT_S4_PS2_ii: ; @_ZN5aiter16wvSplitK_hf_sml_I6__halfLi64ELi4ELi16ELi8ELi1ELi3EEEviiPKT_S4_PS2_ii
; %bb.0:
	s_load_dwordx2 s[4:5], s[0:1], 0x0
	v_and_b32_e32 v2, 0x3ff, v0
	v_bfe_u32 v3, v0, 10, 10
	v_lshlrev_b32_e32 v32, 3, v2
	s_mov_b32 s3, 0
	s_waitcnt lgkmcnt(0)
	s_cmp_lg_u32 s4, 0
	s_cselect_b64 s[16:17], -1, 0
	s_cmp_eq_u32 s4, 0
	s_cbranch_scc1 .LBB48_6
; %bb.1:
	s_load_dwordx2 s[6:7], s[0:1], 0x10
	s_mul_i32 s8, s4, 3
	v_lshlrev_b32_e32 v0, 4, v2
	s_min_i32 s14, s8, 0x8000
	v_lshl_add_u32 v4, v3, 10, v0
	v_lshl_add_u32 v5, v3, 9, v32
	s_mov_b64 s[8:9], 0
	v_mov_b32_e32 v1, 0
                                        ; implicit-def: $sgpr10_sgpr11
	s_branch .LBB48_3
.LBB48_2:                               ;   in Loop: Header=BB48_3 Depth=1
	s_or_b64 exec, exec, s[12:13]
	s_and_b64 s[12:13], exec, s[10:11]
	s_or_b64 s[8:9], s[12:13], s[8:9]
	s_andn2_b64 exec, exec, s[8:9]
	s_cbranch_execz .LBB48_5
.LBB48_3:                               ; =>This Inner Loop Header: Depth=1
	v_add_u32_e32 v0, s3, v5
	v_cmp_gt_u32_e32 vcc, s14, v0
	s_or_b64 s[10:11], s[10:11], exec
	s_and_saveexec_b64 s[12:13], vcc
	s_cbranch_execz .LBB48_2
; %bb.4:                                ;   in Loop: Header=BB48_3 Depth=1
	s_waitcnt lgkmcnt(0)
	v_lshl_add_u64 v[6:7], v[0:1], 1, s[6:7]
	global_load_dwordx4 v[6:9], v[6:7], off
	s_addk_i32 s3, 0x2000
	s_cmp_ge_u32 s3, s14
	s_cselect_b64 s[18:19], -1, 0
	s_andn2_b64 s[10:11], s[10:11], exec
	s_and_b64 s[18:19], s[18:19], exec
	s_or_b64 s[10:11], s[10:11], s[18:19]
	s_waitcnt vmcnt(0)
	ds_write_b128 v4, v[6:9]
	v_add_u32_e32 v4, 0x4000, v4
	s_branch .LBB48_2
.LBB48_5:
	s_or_b64 exec, exec, s[8:9]
.LBB48_6:
	s_load_dwordx2 s[10:11], s[0:1], 0x20
	s_waitcnt lgkmcnt(0)
	s_barrier
	v_cmp_gt_u32_e32 vcc, s10, v3
	s_and_saveexec_b64 s[6:7], vcc
	s_cbranch_execz .LBB48_17
; %bb.7:
	s_mul_i32 s2, s2, s10
	v_add_u32_e32 v0, s2, v3
	v_lshlrev_b32_e32 v24, 2, v0
	v_cmp_gt_u32_e32 vcc, s5, v24
	s_and_b64 exec, exec, vcc
	s_cbranch_execz .LBB48_17
; %bb.8:
	s_load_dwordx2 s[6:7], s[0:1], 0x8
	s_load_dwordx2 s[8:9], s[0:1], 0x18
	s_mul_i32 s2, s10, s11
	v_mul_lo_u32 v0, s4, v0
	s_ashr_i32 s11, s4, 31
	s_mov_b32 s10, s4
	s_lshl_b32 s18, s2, 2
	v_lshl_add_u32 v34, v0, 2, v32
	s_mul_i32 s2, s2, s4
	v_cndmask_b32_e64 v0, 0, 1, s[16:17]
	v_cmp_eq_u32_e64 s[0:1], 63, v2
	s_lshl_b64 s[12:13], s[10:11], 1
	s_lshl_b32 s19, s4, 2
	v_lshlrev_b32_e32 v33, 4, v2
	s_lshl_b32 s20, s4, 1
	s_lshl_b32 s21, s2, 2
	s_mov_b64 s[14:15], 0
	v_cmp_ne_u32_e64 s[2:3], 1, v0
	v_mov_b32_e32 v27, 0
	s_branch .LBB48_10
.LBB48_9:                               ;   in Loop: Header=BB48_10 Depth=1
	s_or_b64 exec, exec, s[16:17]
	v_add_u32_e32 v24, s18, v24
	v_cmp_le_u32_e32 vcc, s5, v24
	s_or_b64 s[14:15], vcc, s[14:15]
	v_add_u32_e32 v34, s21, v34
	s_andn2_b64 exec, exec, s[14:15]
	s_cbranch_execz .LBB48_17
.LBB48_10:                              ; =>This Loop Header: Depth=1
                                        ;     Child Loop BB48_13 Depth 2
	s_mov_b32 s22, 0
	s_and_b64 vcc, exec, s[2:3]
	v_mov_b32_e32 v35, v27
	v_mov_b32_e32 v36, v27
	;; [unrolled: 1-line block ×12, first 2 shown]
	s_cbranch_vccnz .LBB48_15
; %bb.11:                               ;   in Loop: Header=BB48_10 Depth=1
	v_mov_b32_e32 v45, 0
	v_mov_b32_e32 v46, v33
	;; [unrolled: 1-line block ×13, first 2 shown]
	s_branch .LBB48_13
.LBB48_12:                              ;   in Loop: Header=BB48_13 Depth=2
	s_or_b64 exec, exec, s[16:17]
	s_addk_i32 s22, 0x200
	s_cmp_ge_u32 s22, s4
	v_add_u32_e32 v46, 0x400, v46
	s_cbranch_scc1 .LBB48_15
.LBB48_13:                              ;   Parent Loop BB48_10 Depth=1
                                        ; =>  This Inner Loop Header: Depth=2
	v_add_u32_e32 v0, s22, v32
	v_cmp_gt_u32_e32 vcc, s4, v0
	s_and_saveexec_b64 s[16:17], vcc
	s_cbranch_execz .LBB48_12
; %bb.14:                               ;   in Loop: Header=BB48_13 Depth=2
	v_add_u32_e32 v26, s22, v34
	s_waitcnt lgkmcnt(0)
	v_lshl_add_u64 v[0:1], v[26:27], 1, s[6:7]
	global_load_dwordx4 v[20:23], v[0:1], off nt
	v_lshl_add_u64 v[0:1], s[10:11], 1, v[0:1]
	global_load_dwordx4 v[12:15], v[0:1], off nt
	v_lshl_add_u64 v[0:1], v[0:1], 0, s[12:13]
	global_load_dwordx4 v[4:7], v[0:1], off nt
	v_lshl_add_u64 v[0:1], v[0:1], 0, s[12:13]
	v_add_u32_e32 v16, s20, v46
	global_load_dwordx4 v[0:3], v[0:1], off nt
	ds_read_b128 v[8:11], v46
	v_add_u32_e32 v26, s19, v46
	ds_read_b128 v[16:19], v16
	ds_read2_b32 v[30:31], v26 offset1:1
	ds_read2_b32 v[28:29], v26 offset0:2 offset1:3
	s_waitcnt vmcnt(3) lgkmcnt(3)
	;;#ASMSTART
	v_dot2c_f32_f16 v45, v8, v20
	;;#ASMEND
	s_waitcnt lgkmcnt(2)
	;;#ASMSTART
	v_dot2c_f32_f16 v42, v16, v20
	;;#ASMEND
	s_waitcnt lgkmcnt(1)
	;;#ASMSTART
	v_dot2c_f32_f16 v38, v30, v20
	;;#ASMEND
	s_waitcnt vmcnt(2)
	;;#ASMSTART
	v_dot2c_f32_f16 v25, v8, v12
	;;#ASMEND
	;;#ASMSTART
	v_dot2c_f32_f16 v41, v16, v12
	;;#ASMEND
	;;#ASMSTART
	v_dot2c_f32_f16 v37, v30, v12
	;;#ASMEND
	s_waitcnt vmcnt(1)
	;;#ASMSTART
	v_dot2c_f32_f16 v44, v8, v4
	;;#ASMEND
	;;#ASMSTART
	v_dot2c_f32_f16 v40, v16, v4
	;;#ASMEND
	;; [unrolled: 10-line block ×3, first 2 shown]
	;;#ASMSTART
	v_dot2c_f32_f16 v35, v30, v0
	;;#ASMEND
	;;#ASMSTART
	v_dot2c_f32_f16 v45, v9, v21
	;;#ASMEND
	;; [unrolled: 3-line block ×10, first 2 shown]
	s_nop 0
	;;#ASMSTART
	v_dot2c_f32_f16 v43, v9, v1
	;;#ASMEND
	;;#ASMSTART
	v_dot2c_f32_f16 v39, v17, v1
	;;#ASMEND
	;; [unrolled: 3-line block ×5, first 2 shown]
	s_waitcnt lgkmcnt(0)
	;;#ASMSTART
	v_dot2c_f32_f16 v38, v28, v22
	;;#ASMEND
	;;#ASMSTART
	v_dot2c_f32_f16 v25, v10, v14
	;;#ASMEND
	;;#ASMSTART
	v_dot2c_f32_f16 v41, v18, v14
	;;#ASMEND
	;;#ASMSTART
	v_dot2c_f32_f16 v37, v28, v14
	;;#ASMEND
	;;#ASMSTART
	v_dot2c_f32_f16 v44, v10, v6
	;;#ASMEND
	;;#ASMSTART
	v_dot2c_f32_f16 v40, v18, v6
	;;#ASMEND
	;;#ASMSTART
	v_dot2c_f32_f16 v36, v28, v6
	;;#ASMEND
	;;#ASMSTART
	v_dot2c_f32_f16 v43, v10, v2
	;;#ASMEND
	;;#ASMSTART
	v_dot2c_f32_f16 v39, v18, v2
	;;#ASMEND
	;;#ASMSTART
	v_dot2c_f32_f16 v35, v28, v2
	;;#ASMEND
	;;#ASMSTART
	v_dot2c_f32_f16 v45, v11, v23
	;;#ASMEND
	;;#ASMSTART
	v_dot2c_f32_f16 v42, v19, v23
	;;#ASMEND
	s_nop 0
	;;#ASMSTART
	v_dot2c_f32_f16 v38, v29, v23
	;;#ASMEND
	;;#ASMSTART
	v_dot2c_f32_f16 v25, v11, v15
	;;#ASMEND
	;; [unrolled: 3-line block ×10, first 2 shown]
	s_branch .LBB48_12
.LBB48_15:                              ;   in Loop: Header=BB48_10 Depth=1
	;;#ASMSTART
	s_nop 0
	v_add_f32 v45, v45, v45 row_shr:8 bound_ctrl:0 
	;;#ASMEND
	;;#ASMSTART
	s_nop 0
	v_add_f32 v25, v25, v25 row_shr:8 bound_ctrl:0 
	;;#ASMEND
	;;#ASMSTART
	s_nop 0
	v_add_f32 v44, v44, v44 row_shr:8 bound_ctrl:0 
	;;#ASMEND
	;;#ASMSTART
	s_nop 0
	v_add_f32 v43, v43, v43 row_shr:8 bound_ctrl:0 
	;;#ASMEND
	;;#ASMSTART
	s_nop 0
	v_add_f32 v42, v42, v42 row_shr:8 bound_ctrl:0 
	;;#ASMEND
	;;#ASMSTART
	s_nop 0
	v_add_f32 v41, v41, v41 row_shr:8 bound_ctrl:0 
	;;#ASMEND
	;;#ASMSTART
	s_nop 0
	v_add_f32 v40, v40, v40 row_shr:8 bound_ctrl:0 
	;;#ASMEND
	;;#ASMSTART
	s_nop 0
	v_add_f32 v39, v39, v39 row_shr:8 bound_ctrl:0 
	;;#ASMEND
	;;#ASMSTART
	s_nop 0
	v_add_f32 v38, v38, v38 row_shr:8 bound_ctrl:0 
	;;#ASMEND
	;;#ASMSTART
	s_nop 0
	v_add_f32 v37, v37, v37 row_shr:8 bound_ctrl:0 
	;;#ASMEND
	;;#ASMSTART
	s_nop 0
	v_add_f32 v36, v36, v36 row_shr:8 bound_ctrl:0 
	;;#ASMEND
	;;#ASMSTART
	s_nop 0
	v_add_f32 v35, v35, v35 row_shr:8 bound_ctrl:0 
	;;#ASMEND
	s_nop 0
	;;#ASMSTART
	s_nop 0
	v_add_f32 v45, v45, v45 row_shr:4 bound_ctrl:0 
	;;#ASMEND
	;;#ASMSTART
	s_nop 0
	v_add_f32 v25, v25, v25 row_shr:4 bound_ctrl:0 
	;;#ASMEND
	;;#ASMSTART
	s_nop 0
	v_add_f32 v44, v44, v44 row_shr:4 bound_ctrl:0 
	;;#ASMEND
	;;#ASMSTART
	s_nop 0
	v_add_f32 v43, v43, v43 row_shr:4 bound_ctrl:0 
	;;#ASMEND
	;;#ASMSTART
	s_nop 0
	v_add_f32 v42, v42, v42 row_shr:4 bound_ctrl:0 
	;;#ASMEND
	;;#ASMSTART
	s_nop 0
	v_add_f32 v41, v41, v41 row_shr:4 bound_ctrl:0 
	;;#ASMEND
	;;#ASMSTART
	s_nop 0
	v_add_f32 v40, v40, v40 row_shr:4 bound_ctrl:0 
	;;#ASMEND
	;;#ASMSTART
	s_nop 0
	v_add_f32 v39, v39, v39 row_shr:4 bound_ctrl:0 
	;;#ASMEND
	;;#ASMSTART
	s_nop 0
	v_add_f32 v38, v38, v38 row_shr:4 bound_ctrl:0 
	;;#ASMEND
	;;#ASMSTART
	s_nop 0
	v_add_f32 v37, v37, v37 row_shr:4 bound_ctrl:0 
	;;#ASMEND
	;;#ASMSTART
	s_nop 0
	v_add_f32 v36, v36, v36 row_shr:4 bound_ctrl:0 
	;;#ASMEND
	;;#ASMSTART
	s_nop 0
	v_add_f32 v35, v35, v35 row_shr:4 bound_ctrl:0 
	;;#ASMEND
	s_nop 0
	;; [unrolled: 49-line block ×3, first 2 shown]
	;;#ASMSTART
	s_nop 0
	v_add_f32 v45, v45, v45 wave_shr:1 bound_ctrl:0
	;;#ASMEND
	;;#ASMSTART
	s_nop 0
	v_add_f32 v25, v25, v25 wave_shr:1 bound_ctrl:0
	;;#ASMEND
	;; [unrolled: 4-line block ×12, first 2 shown]
	s_nop 0
	;;#ASMSTART
	s_nop 0
	v_add_f32 v45, v45, v45 row_bcast:15 bound_ctrl:0
	;;#ASMEND
	;;#ASMSTART
	s_nop 0
	v_add_f32 v25, v25, v25 row_bcast:15 bound_ctrl:0
	;;#ASMEND
	;; [unrolled: 4-line block ×12, first 2 shown]
	s_nop 0
	;;#ASMSTART
	s_nop 0
	v_add_f32 v45, v45, v45 row_bcast:31 bound_ctrl:0
	;;#ASMEND
	;;#ASMSTART
	s_nop 0
	v_add_f32 v25, v25, v25 row_bcast:31 bound_ctrl:0
	;;#ASMEND
	;;#ASMSTART
	s_nop 0
	v_add_f32 v44, v44, v44 row_bcast:31 bound_ctrl:0
	;;#ASMEND
	;;#ASMSTART
	s_nop 0
	v_add_f32 v43, v43, v43 row_bcast:31 bound_ctrl:0
	;;#ASMEND
	;;#ASMSTART
	s_nop 0
	v_add_f32 v42, v42, v42 row_bcast:31 bound_ctrl:0
	;;#ASMEND
	;;#ASMSTART
	s_nop 0
	v_add_f32 v41, v41, v41 row_bcast:31 bound_ctrl:0
	;;#ASMEND
	;;#ASMSTART
	s_nop 0
	v_add_f32 v40, v40, v40 row_bcast:31 bound_ctrl:0
	;;#ASMEND
	;;#ASMSTART
	s_nop 0
	v_add_f32 v39, v39, v39 row_bcast:31 bound_ctrl:0
	;;#ASMEND
	;;#ASMSTART
	s_nop 0
	v_add_f32 v38, v38, v38 row_bcast:31 bound_ctrl:0
	;;#ASMEND
	;;#ASMSTART
	s_nop 0
	v_add_f32 v37, v37, v37 row_bcast:31 bound_ctrl:0
	;;#ASMEND
	;;#ASMSTART
	s_nop 0
	v_add_f32 v36, v36, v36 row_bcast:31 bound_ctrl:0
	;;#ASMEND
	;;#ASMSTART
	s_nop 0
	v_add_f32 v35, v35, v35 row_bcast:31 bound_ctrl:0
	;;#ASMEND
	s_and_saveexec_b64 s[16:17], s[0:1]
	s_cbranch_execz .LBB48_9
; %bb.16:                               ;   in Loop: Header=BB48_10 Depth=1
	v_cvt_f16_f32_e32 v3, v44
	v_cvt_f16_f32_e32 v4, v43
	v_cvt_f16_f32_e32 v2, v45
	v_cvt_f16_f32_e32 v5, v25
	v_mov_b32_e32 v25, v27
	v_pack_b32_f16 v3, v3, v4
	v_cvt_f16_f32_e32 v4, v42
	s_waitcnt lgkmcnt(0)
	v_lshl_add_u64 v[0:1], v[24:25], 1, s[8:9]
	v_pack_b32_f16 v2, v2, v5
	global_store_dwordx2 v[0:1], v[2:3], off
	v_add_u32_e32 v26, s5, v24
	v_cvt_f16_f32_e32 v2, v41
	v_lshl_add_u64 v[0:1], v[26:27], 1, s[8:9]
	global_store_short v[0:1], v4, off
	v_add_u32_e32 v0, 1, v26
	v_mov_b32_e32 v1, v27
	v_lshl_add_u64 v[0:1], v[0:1], 1, s[8:9]
	global_store_short v[0:1], v2, off
	v_cvt_f16_f32_e32 v2, v40
	v_add_u32_e32 v0, 2, v26
	v_mov_b32_e32 v1, v27
	v_lshl_add_u64 v[0:1], v[0:1], 1, s[8:9]
	global_store_short v[0:1], v2, off
	v_cvt_f16_f32_e32 v2, v39
	v_cvt_f16_f32_e32 v3, v38
	;; [unrolled: 1-line block ×3, first 2 shown]
	v_add_u32_e32 v0, 3, v26
	v_mov_b32_e32 v1, v27
	v_lshl_add_u64 v[0:1], v[0:1], 1, s[8:9]
	v_add_u32_e32 v26, s5, v26
	global_store_short v[0:1], v2, off
	v_lshl_add_u64 v[0:1], v[26:27], 1, s[8:9]
	v_pack_b32_f16 v2, v3, v4
	global_store_dword v[0:1], v2, off
	v_cvt_f16_f32_e32 v2, v36
	v_cvt_f16_f32_e32 v3, v35
	v_add_u32_e32 v0, 2, v26
	v_mov_b32_e32 v1, v27
	v_lshl_add_u64 v[0:1], v[0:1], 1, s[8:9]
	v_add_u32_e32 v26, 3, v26
	global_store_short v[0:1], v2, off
	v_lshl_add_u64 v[0:1], v[26:27], 1, s[8:9]
	global_store_short v[0:1], v3, off
	s_branch .LBB48_9
.LBB48_17:
	s_endpgm
	.section	.rodata,"a",@progbits
	.p2align	6, 0x0
	.amdhsa_kernel _ZN5aiter16wvSplitK_hf_sml_I6__halfLi64ELi4ELi16ELi8ELi1ELi3EEEviiPKT_S4_PS2_ii
		.amdhsa_group_segment_fixed_size 65536
		.amdhsa_private_segment_fixed_size 0
		.amdhsa_kernarg_size 40
		.amdhsa_user_sgpr_count 2
		.amdhsa_user_sgpr_dispatch_ptr 0
		.amdhsa_user_sgpr_queue_ptr 0
		.amdhsa_user_sgpr_kernarg_segment_ptr 1
		.amdhsa_user_sgpr_dispatch_id 0
		.amdhsa_user_sgpr_kernarg_preload_length 0
		.amdhsa_user_sgpr_kernarg_preload_offset 0
		.amdhsa_user_sgpr_private_segment_size 0
		.amdhsa_uses_dynamic_stack 0
		.amdhsa_enable_private_segment 0
		.amdhsa_system_sgpr_workgroup_id_x 1
		.amdhsa_system_sgpr_workgroup_id_y 0
		.amdhsa_system_sgpr_workgroup_id_z 0
		.amdhsa_system_sgpr_workgroup_info 0
		.amdhsa_system_vgpr_workitem_id 1
		.amdhsa_next_free_vgpr 47
		.amdhsa_next_free_sgpr 23
		.amdhsa_accum_offset 48
		.amdhsa_reserve_vcc 1
		.amdhsa_float_round_mode_32 0
		.amdhsa_float_round_mode_16_64 0
		.amdhsa_float_denorm_mode_32 3
		.amdhsa_float_denorm_mode_16_64 3
		.amdhsa_dx10_clamp 1
		.amdhsa_ieee_mode 1
		.amdhsa_fp16_overflow 0
		.amdhsa_tg_split 0
		.amdhsa_exception_fp_ieee_invalid_op 0
		.amdhsa_exception_fp_denorm_src 0
		.amdhsa_exception_fp_ieee_div_zero 0
		.amdhsa_exception_fp_ieee_overflow 0
		.amdhsa_exception_fp_ieee_underflow 0
		.amdhsa_exception_fp_ieee_inexact 0
		.amdhsa_exception_int_div_zero 0
	.end_amdhsa_kernel
	.section	.text._ZN5aiter16wvSplitK_hf_sml_I6__halfLi64ELi4ELi16ELi8ELi1ELi3EEEviiPKT_S4_PS2_ii,"axG",@progbits,_ZN5aiter16wvSplitK_hf_sml_I6__halfLi64ELi4ELi16ELi8ELi1ELi3EEEviiPKT_S4_PS2_ii,comdat
.Lfunc_end48:
	.size	_ZN5aiter16wvSplitK_hf_sml_I6__halfLi64ELi4ELi16ELi8ELi1ELi3EEEviiPKT_S4_PS2_ii, .Lfunc_end48-_ZN5aiter16wvSplitK_hf_sml_I6__halfLi64ELi4ELi16ELi8ELi1ELi3EEEviiPKT_S4_PS2_ii
                                        ; -- End function
	.section	.AMDGPU.csdata,"",@progbits
; Kernel info:
; codeLenInByte = 2536
; NumSgprs: 29
; NumVgprs: 47
; NumAgprs: 0
; TotalNumVgprs: 47
; ScratchSize: 0
; MemoryBound: 0
; FloatMode: 240
; IeeeMode: 1
; LDSByteSize: 65536 bytes/workgroup (compile time only)
; SGPRBlocks: 3
; VGPRBlocks: 5
; NumSGPRsForWavesPerEU: 29
; NumVGPRsForWavesPerEU: 47
; AccumOffset: 48
; Occupancy: 4
; WaveLimiterHint : 0
; COMPUTE_PGM_RSRC2:SCRATCH_EN: 0
; COMPUTE_PGM_RSRC2:USER_SGPR: 2
; COMPUTE_PGM_RSRC2:TRAP_HANDLER: 0
; COMPUTE_PGM_RSRC2:TGID_X_EN: 1
; COMPUTE_PGM_RSRC2:TGID_Y_EN: 0
; COMPUTE_PGM_RSRC2:TGID_Z_EN: 0
; COMPUTE_PGM_RSRC2:TIDIG_COMP_CNT: 1
; COMPUTE_PGM_RSRC3_GFX90A:ACCUM_OFFSET: 11
; COMPUTE_PGM_RSRC3_GFX90A:TG_SPLIT: 0
	.section	.text._ZN5aiter12wvSplitK_hf_I6__halfLi64ELi7ELi16ELi8ELi1ELi3EEEviiPKT_S4_PS2_ii,"axG",@progbits,_ZN5aiter12wvSplitK_hf_I6__halfLi64ELi7ELi16ELi8ELi1ELi3EEEviiPKT_S4_PS2_ii,comdat
	.protected	_ZN5aiter12wvSplitK_hf_I6__halfLi64ELi7ELi16ELi8ELi1ELi3EEEviiPKT_S4_PS2_ii ; -- Begin function _ZN5aiter12wvSplitK_hf_I6__halfLi64ELi7ELi16ELi8ELi1ELi3EEEviiPKT_S4_PS2_ii
	.globl	_ZN5aiter12wvSplitK_hf_I6__halfLi64ELi7ELi16ELi8ELi1ELi3EEEviiPKT_S4_PS2_ii
	.p2align	8
	.type	_ZN5aiter12wvSplitK_hf_I6__halfLi64ELi7ELi16ELi8ELi1ELi3EEEviiPKT_S4_PS2_ii,@function
_ZN5aiter12wvSplitK_hf_I6__halfLi64ELi7ELi16ELi8ELi1ELi3EEEviiPKT_S4_PS2_ii: ; @_ZN5aiter12wvSplitK_hf_I6__halfLi64ELi7ELi16ELi8ELi1ELi3EEEviiPKT_S4_PS2_ii
; %bb.0:
	s_load_dwordx2 s[12:13], s[0:1], 0x20
	s_load_dwordx2 s[16:17], s[0:1], 0x0
	;; [unrolled: 1-line block ×3, first 2 shown]
	v_bfe_u32 v11, v0, 10, 10
	s_mov_b32 s4, 1
	s_waitcnt lgkmcnt(0)
	s_mul_i32 s2, s2, s12
	v_add_u32_e32 v1, s2, v11
	v_mul_lo_u32 v50, v1, 7
	v_add_u32_e32 v1, 7, v50
	v_cmp_gt_u32_e32 vcc, s17, v50
	v_cmp_le_u32_e64 s[2:3], s17, v1
	s_mov_b32 s5, s4
	s_mov_b32 s6, s4
	;; [unrolled: 1-line block ×6, first 2 shown]
	v_mov_b32_e32 v2, s4
	s_and_b64 s[14:15], vcc, s[2:3]
	v_mov_b32_e32 v3, s5
	v_mov_b32_e32 v4, s6
	;; [unrolled: 1-line block ×6, first 2 shown]
	s_and_saveexec_b64 s[2:3], s[14:15]
	s_cbranch_execz .LBB49_6
; %bb.1:
	s_add_i32 s11, s17, -7
	v_mov_b32_e32 v2, s4
	v_cmp_ne_u32_e32 vcc, s11, v50
	v_mov_b32_e32 v3, s5
	v_mov_b32_e32 v4, s6
	;; [unrolled: 1-line block ×6, first 2 shown]
	s_and_saveexec_b64 s[14:15], vcc
	s_cbranch_execz .LBB49_5
; %bb.2:
	v_subrev_u32_e32 v1, s11, v50
	v_cmp_lt_u32_e32 vcc, 1, v1
	s_mov_b64 s[20:21], 0
	s_mov_b64 s[22:23], 0
	v_cndmask_b32_e32 v10, 1, v1, vcc
	s_mov_b32 s5, s4
	s_mov_b32 s6, s4
	;; [unrolled: 1-line block ×6, first 2 shown]
.LBB49_3:                               ; =>This Inner Loop Header: Depth=1
	s_cmp_lg_u32 s22, 6
	s_cselect_b32 s10, s10, 0
	s_cmp_lg_u32 s22, 5
	s_cselect_b32 s9, s9, 0
	;; [unrolled: 2-line block ×7, first 2 shown]
	s_add_u32 s22, s22, 1
	s_addc_u32 s23, s23, 0
	v_cmp_eq_u32_e32 vcc, s22, v10
	v_mov_b32_e32 v2, s4
	s_or_b64 s[20:21], vcc, s[20:21]
	v_mov_b32_e32 v3, s5
	v_mov_b32_e32 v4, s6
	;; [unrolled: 1-line block ×6, first 2 shown]
	s_andn2_b64 exec, exec, s[20:21]
	s_cbranch_execnz .LBB49_3
; %bb.4:
	s_or_b64 exec, exec, s[20:21]
	v_mov_b32_e32 v50, s11
.LBB49_5:
	s_or_b64 exec, exec, s[14:15]
.LBB49_6:
	s_or_b64 exec, exec, s[2:3]
	v_and_b32_e32 v10, 0x3ff, v0
	s_cmp_lg_u32 s16, 0
	v_lshlrev_b32_e32 v9, 3, v10
	s_cselect_b64 s[4:5], -1, 0
	s_cmp_eq_u32 s16, 0
	s_mov_b32 s10, 0
	s_cbranch_scc1 .LBB49_12
; %bb.7:
	s_mul_i32 s2, s16, 3
	v_lshlrev_b32_e32 v0, 4, v10
	s_min_i32 s11, s2, 0x8000
	v_lshl_add_u32 v12, v11, 10, v0
	v_lshl_add_u32 v13, v11, 9, v9
	s_mov_b64 s[2:3], 0
	v_mov_b32_e32 v1, 0
                                        ; implicit-def: $sgpr6_sgpr7
	s_branch .LBB49_9
.LBB49_8:                               ;   in Loop: Header=BB49_9 Depth=1
	s_or_b64 exec, exec, s[8:9]
	s_and_b64 s[8:9], exec, s[6:7]
	s_or_b64 s[2:3], s[8:9], s[2:3]
	s_andn2_b64 exec, exec, s[2:3]
	s_cbranch_execz .LBB49_11
.LBB49_9:                               ; =>This Inner Loop Header: Depth=1
	v_add_u32_e32 v0, s10, v13
	v_cmp_gt_u32_e32 vcc, s11, v0
	s_or_b64 s[6:7], s[6:7], exec
	s_and_saveexec_b64 s[8:9], vcc
	s_cbranch_execz .LBB49_8
; %bb.10:                               ;   in Loop: Header=BB49_9 Depth=1
	v_lshl_add_u64 v[14:15], v[0:1], 1, s[18:19]
	global_load_dwordx4 v[14:17], v[14:15], off
	s_addk_i32 s10, 0x2000
	s_cmp_ge_u32 s10, s11
	s_cselect_b64 s[14:15], -1, 0
	s_andn2_b64 s[6:7], s[6:7], exec
	s_and_b64 s[14:15], s[14:15], exec
	s_or_b64 s[6:7], s[6:7], s[14:15]
	s_waitcnt vmcnt(0)
	ds_write_b128 v12, v[14:17]
	v_add_u32_e32 v12, 0x4000, v12
	s_branch .LBB49_8
.LBB49_11:
	s_or_b64 exec, exec, s[2:3]
.LBB49_12:
	v_cmp_gt_u32_e32 vcc, s12, v11
	v_cmp_gt_u32_e64 s[2:3], s17, v50
	s_and_b64 s[2:3], vcc, s[2:3]
	s_waitcnt lgkmcnt(0)
	s_barrier
	s_and_saveexec_b64 s[6:7], s[2:3]
	s_cbranch_execz .LBB49_88
; %bb.13:
	s_load_dwordx2 s[20:21], s[0:1], 0x8
	s_load_dwordx2 s[22:23], s[0:1], 0x18
	s_mul_i32 s33, s12, s13
	s_ashr_i32 s25, s16, 31
	s_mov_b32 s24, s16
	v_cndmask_b32_e64 v0, 0, 1, s[4:5]
	v_cmp_eq_u32_e64 s[0:1], 63, v10
	s_mul_i32 s33, s33, 7
	s_add_i32 s36, s17, -7
	s_lshl_b64 s[26:27], s[24:25], 1
	s_mov_b64 s[28:29], 0
	v_cmp_ne_u32_e64 s[2:3], 1, v0
	v_mov_b32_e32 v1, 0
	s_movk_i32 s37, 0x7fff
                                        ; implicit-def: $vgpr34_vgpr35_vgpr36_vgpr37
                                        ; implicit-def: $vgpr30_vgpr31_vgpr32_vgpr33
                                        ; implicit-def: $vgpr26_vgpr27_vgpr28_vgpr29
                                        ; implicit-def: $vgpr22_vgpr23_vgpr24_vgpr25
                                        ; implicit-def: $vgpr18_vgpr19_vgpr20_vgpr21
                                        ; implicit-def: $vgpr14_vgpr15_vgpr16_vgpr17
                                        ; implicit-def: $vgpr10_vgpr11_vgpr12_vgpr13
                                        ; implicit-def: $vgpr40_vgpr41
                                        ; implicit-def: $vgpr44_vgpr45
                                        ; implicit-def: $vgpr48_vgpr49
	s_branch .LBB49_16
.LBB49_14:                              ;   in Loop: Header=BB49_16 Depth=1
	s_or_b64 exec, exec, s[8:9]
	v_mov_b32_e32 v50, s36
.LBB49_15:                              ;   in Loop: Header=BB49_16 Depth=1
	s_or_b64 exec, exec, s[6:7]
	v_cmp_le_u32_e32 vcc, s17, v50
	s_or_b64 s[28:29], vcc, s[28:29]
	s_andn2_b64 exec, exec, s[28:29]
	s_cbranch_execz .LBB49_88
.LBB49_16:                              ; =>This Loop Header: Depth=1
                                        ;     Child Loop BB49_19 Depth 2
                                        ;     Child Loop BB49_66 Depth 2
	s_and_b64 vcc, exec, s[2:3]
	s_mov_b32 s8, 0
	s_cbranch_vccnz .LBB49_39
; %bb.17:                               ;   in Loop: Header=BB49_16 Depth=1
	v_mul_lo_u32 v74, v50, s16
	v_mov_b32_e32 v54, 0
	v_mov_b32_e32 v55, 0
	;; [unrolled: 1-line block ×21, first 2 shown]
	s_branch .LBB49_19
.LBB49_18:                              ;   in Loop: Header=BB49_19 Depth=2
	s_or_b64 exec, exec, s[4:5]
	s_addk_i32 s8, 0x200
	s_cmp_ge_u32 s8, s16
	s_cbranch_scc1 .LBB49_40
.LBB49_19:                              ;   Parent Loop BB49_16 Depth=1
                                        ; =>  This Inner Loop Header: Depth=2
	v_add_u32_e32 v52, s8, v9
	v_cmp_gt_u32_e32 vcc, s16, v52
	s_and_saveexec_b64 s[6:7], vcc
	s_cbranch_execnz .LBB49_23
; %bb.20:                               ;   in Loop: Header=BB49_19 Depth=2
	s_or_b64 exec, exec, s[6:7]
	s_and_saveexec_b64 s[4:5], vcc
	s_cbranch_execnz .LBB49_36
.LBB49_21:                              ;   in Loop: Header=BB49_19 Depth=2
	s_or_b64 exec, exec, s[4:5]
	s_and_saveexec_b64 s[4:5], vcc
	s_cbranch_execnz .LBB49_37
.LBB49_22:                              ;   in Loop: Header=BB49_19 Depth=2
	s_or_b64 exec, exec, s[4:5]
	s_and_saveexec_b64 s[4:5], vcc
	s_cbranch_execz .LBB49_18
	s_branch .LBB49_38
.LBB49_23:                              ;   in Loop: Header=BB49_19 Depth=2
	v_add_u32_e32 v0, v52, v74
	s_waitcnt vmcnt(4) lgkmcnt(0)
	v_lshl_add_u64 v[18:19], v[0:1], 1, s[20:21]
	v_lshl_add_u64 v[20:21], s[24:25], 1, v[18:19]
	s_waitcnt vmcnt(2)
	v_lshl_add_u64 v[26:27], v[20:21], 0, s[26:27]
	v_lshl_add_u64 v[28:29], v[26:27], 0, s[26:27]
	s_waitcnt vmcnt(0)
	v_lshl_add_u64 v[34:35], v[28:29], 0, s[26:27]
	v_lshl_add_u64 v[36:37], v[34:35], 0, s[26:27]
	global_load_dwordx4 v[10:13], v[18:19], off nt
	global_load_dwordx4 v[14:17], v[20:21], off nt
	s_nop 0
	global_load_dwordx4 v[18:21], v[26:27], off nt
	global_load_dwordx4 v[22:25], v[28:29], off nt
	s_nop 0
	global_load_dwordx4 v[26:29], v[34:35], off nt
	global_load_dwordx4 v[30:33], v[36:37], off nt
	v_lshl_add_u64 v[34:35], v[36:37], 0, s[26:27]
	global_load_dwordx4 v[34:37], v[34:35], off nt
	v_cmp_lt_u32_e64 s[4:5], s37, v52
                                        ; implicit-def: $vgpr38_vgpr39
	s_and_saveexec_b64 s[10:11], s[4:5]
	s_xor_b64 s[4:5], exec, s[10:11]
	s_cbranch_execz .LBB49_25
; %bb.24:                               ;   in Loop: Header=BB49_19 Depth=2
	v_mov_b32_e32 v53, v1
	v_lshl_add_u64 v[38:39], v[52:53], 1, s[18:19]
	global_load_dwordx4 v[38:41], v[38:39], off
.LBB49_25:                              ;   in Loop: Header=BB49_19 Depth=2
	s_andn2_saveexec_b64 s[4:5], s[4:5]
	s_cbranch_execz .LBB49_27
; %bb.26:                               ;   in Loop: Header=BB49_19 Depth=2
	v_lshlrev_b32_e32 v0, 1, v52
	s_waitcnt vmcnt(0)
	ds_read_b128 v[38:41], v0
.LBB49_27:                              ;   in Loop: Header=BB49_19 Depth=2
	s_or_b64 exec, exec, s[4:5]
	v_add_u32_e32 v0, s16, v52
	v_cmp_lt_u32_e64 s[4:5], s37, v0
                                        ; implicit-def: $vgpr42_vgpr43
	s_and_saveexec_b64 s[10:11], s[4:5]
	s_xor_b64 s[4:5], exec, s[10:11]
	s_cbranch_execz .LBB49_29
; %bb.28:                               ;   in Loop: Header=BB49_19 Depth=2
	v_lshl_add_u64 v[42:43], v[0:1], 1, s[18:19]
	global_load_dwordx4 v[42:45], v[42:43], off
.LBB49_29:                              ;   in Loop: Header=BB49_19 Depth=2
	s_andn2_saveexec_b64 s[4:5], s[4:5]
	s_cbranch_execz .LBB49_31
; %bb.30:                               ;   in Loop: Header=BB49_19 Depth=2
	s_waitcnt vmcnt(0)
	v_lshlrev_b32_e32 v42, 1, v0
	ds_read_b128 v[42:45], v42
.LBB49_31:                              ;   in Loop: Header=BB49_19 Depth=2
	s_or_b64 exec, exec, s[4:5]
	v_add_u32_e32 v0, s16, v0
	v_cmp_lt_u32_e64 s[4:5], s37, v0
                                        ; implicit-def: $vgpr46_vgpr47
	s_and_saveexec_b64 s[10:11], s[4:5]
	s_xor_b64 s[4:5], exec, s[10:11]
	s_cbranch_execz .LBB49_33
; %bb.32:                               ;   in Loop: Header=BB49_19 Depth=2
	v_lshl_add_u64 v[46:47], v[0:1], 1, s[18:19]
	global_load_dwordx4 v[46:49], v[46:47], off
.LBB49_33:                              ;   in Loop: Header=BB49_19 Depth=2
	s_andn2_saveexec_b64 s[4:5], s[4:5]
	s_cbranch_execz .LBB49_35
; %bb.34:                               ;   in Loop: Header=BB49_19 Depth=2
	v_lshlrev_b32_e32 v0, 1, v0
	s_waitcnt vmcnt(0)
	ds_read2_b32 v[46:47], v0 offset1:1
	ds_read2_b32 v[48:49], v0 offset0:2 offset1:3
.LBB49_35:                              ;   in Loop: Header=BB49_19 Depth=2
	s_or_b64 exec, exec, s[4:5]
	s_or_b64 exec, exec, s[6:7]
	s_and_saveexec_b64 s[4:5], vcc
	s_cbranch_execz .LBB49_21
.LBB49_36:                              ;   in Loop: Header=BB49_19 Depth=2
	s_waitcnt vmcnt(0) lgkmcnt(0)
	;;#ASMSTART
	v_dot2c_f32_f16 v51, v38, v10
	;;#ASMEND
	;;#ASMSTART
	v_dot2c_f32_f16 v73, v38, v14
	;;#ASMEND
	;;#ASMSTART
	v_dot2c_f32_f16 v72, v38, v18
	;;#ASMEND
	;;#ASMSTART
	v_dot2c_f32_f16 v71, v38, v22
	;;#ASMEND
	;;#ASMSTART
	v_dot2c_f32_f16 v70, v38, v26
	;;#ASMEND
	;;#ASMSTART
	v_dot2c_f32_f16 v69, v38, v30
	;;#ASMEND
	;;#ASMSTART
	v_dot2c_f32_f16 v68, v38, v34
	;;#ASMEND
	s_nop 0
	;;#ASMSTART
	v_dot2c_f32_f16 v51, v39, v11
	;;#ASMEND
	;;#ASMSTART
	v_dot2c_f32_f16 v73, v39, v15
	;;#ASMEND
	;;#ASMSTART
	v_dot2c_f32_f16 v72, v39, v19
	;;#ASMEND
	;;#ASMSTART
	v_dot2c_f32_f16 v71, v39, v23
	;;#ASMEND
	;;#ASMSTART
	v_dot2c_f32_f16 v70, v39, v27
	;;#ASMEND
	;;#ASMSTART
	v_dot2c_f32_f16 v69, v39, v31
	;;#ASMEND
	;;#ASMSTART
	v_dot2c_f32_f16 v68, v39, v35
	;;#ASMEND
	s_nop 0
	;; [unrolled: 22-line block ×3, first 2 shown]
	;;#ASMSTART
	v_dot2c_f32_f16 v51, v41, v13
	;;#ASMEND
	;;#ASMSTART
	v_dot2c_f32_f16 v73, v41, v17
	;;#ASMEND
	;; [unrolled: 3-line block ×7, first 2 shown]
	s_or_b64 exec, exec, s[4:5]
	s_and_saveexec_b64 s[4:5], vcc
	s_cbranch_execz .LBB49_22
.LBB49_37:                              ;   in Loop: Header=BB49_19 Depth=2
	s_waitcnt vmcnt(0) lgkmcnt(0)
	;;#ASMSTART
	v_dot2c_f32_f16 v67, v42, v10
	;;#ASMEND
	;;#ASMSTART
	v_dot2c_f32_f16 v66, v42, v14
	;;#ASMEND
	;;#ASMSTART
	v_dot2c_f32_f16 v65, v42, v18
	;;#ASMEND
	;;#ASMSTART
	v_dot2c_f32_f16 v64, v42, v22
	;;#ASMEND
	;;#ASMSTART
	v_dot2c_f32_f16 v63, v42, v26
	;;#ASMEND
	;;#ASMSTART
	v_dot2c_f32_f16 v62, v42, v30
	;;#ASMEND
	;;#ASMSTART
	v_dot2c_f32_f16 v61, v42, v34
	;;#ASMEND
	s_nop 0
	;;#ASMSTART
	v_dot2c_f32_f16 v67, v43, v11
	;;#ASMEND
	;;#ASMSTART
	v_dot2c_f32_f16 v66, v43, v15
	;;#ASMEND
	;;#ASMSTART
	v_dot2c_f32_f16 v65, v43, v19
	;;#ASMEND
	;;#ASMSTART
	v_dot2c_f32_f16 v64, v43, v23
	;;#ASMEND
	;;#ASMSTART
	v_dot2c_f32_f16 v63, v43, v27
	;;#ASMEND
	;;#ASMSTART
	v_dot2c_f32_f16 v62, v43, v31
	;;#ASMEND
	;;#ASMSTART
	v_dot2c_f32_f16 v61, v43, v35
	;;#ASMEND
	s_nop 0
	;; [unrolled: 22-line block ×3, first 2 shown]
	;;#ASMSTART
	v_dot2c_f32_f16 v67, v45, v13
	;;#ASMEND
	;;#ASMSTART
	v_dot2c_f32_f16 v66, v45, v17
	;;#ASMEND
	;; [unrolled: 3-line block ×7, first 2 shown]
	s_or_b64 exec, exec, s[4:5]
	s_and_saveexec_b64 s[4:5], vcc
	s_cbranch_execz .LBB49_18
.LBB49_38:                              ;   in Loop: Header=BB49_19 Depth=2
	s_waitcnt vmcnt(0) lgkmcnt(0)
	;;#ASMSTART
	v_dot2c_f32_f16 v60, v46, v10
	;;#ASMEND
	;;#ASMSTART
	v_dot2c_f32_f16 v59, v46, v14
	;;#ASMEND
	;;#ASMSTART
	v_dot2c_f32_f16 v58, v46, v18
	;;#ASMEND
	;;#ASMSTART
	v_dot2c_f32_f16 v57, v46, v22
	;;#ASMEND
	;;#ASMSTART
	v_dot2c_f32_f16 v56, v46, v26
	;;#ASMEND
	;;#ASMSTART
	v_dot2c_f32_f16 v55, v46, v30
	;;#ASMEND
	;;#ASMSTART
	v_dot2c_f32_f16 v54, v46, v34
	;;#ASMEND
	s_nop 0
	;;#ASMSTART
	v_dot2c_f32_f16 v60, v47, v11
	;;#ASMEND
	;;#ASMSTART
	v_dot2c_f32_f16 v59, v47, v15
	;;#ASMEND
	;;#ASMSTART
	v_dot2c_f32_f16 v58, v47, v19
	;;#ASMEND
	;;#ASMSTART
	v_dot2c_f32_f16 v57, v47, v23
	;;#ASMEND
	;;#ASMSTART
	v_dot2c_f32_f16 v56, v47, v27
	;;#ASMEND
	;;#ASMSTART
	v_dot2c_f32_f16 v55, v47, v31
	;;#ASMEND
	;;#ASMSTART
	v_dot2c_f32_f16 v54, v47, v35
	;;#ASMEND
	s_nop 0
	;; [unrolled: 22-line block ×3, first 2 shown]
	;;#ASMSTART
	v_dot2c_f32_f16 v60, v49, v13
	;;#ASMEND
	;;#ASMSTART
	v_dot2c_f32_f16 v59, v49, v17
	;;#ASMEND
	;; [unrolled: 3-line block ×7, first 2 shown]
	s_branch .LBB49_18
.LBB49_39:                              ;   in Loop: Header=BB49_16 Depth=1
	v_mov_b32_e32 v51, v1
	v_mov_b32_e32 v73, v1
	;; [unrolled: 1-line block ×21, first 2 shown]
.LBB49_40:                              ;   in Loop: Header=BB49_16 Depth=1
	;;#ASMSTART
	s_nop 0
	v_add_f32 v51, v51, v51 row_shr:8 bound_ctrl:0 
	;;#ASMEND
	;;#ASMSTART
	s_nop 0
	v_add_f32 v73, v73, v73 row_shr:8 bound_ctrl:0 
	;;#ASMEND
	;; [unrolled: 4-line block ×21, first 2 shown]
	s_nop 0
	;;#ASMSTART
	s_nop 0
	v_add_f32 v51, v51, v51 row_shr:4 bound_ctrl:0 
	;;#ASMEND
	;;#ASMSTART
	s_nop 0
	v_add_f32 v73, v73, v73 row_shr:4 bound_ctrl:0 
	;;#ASMEND
	;; [unrolled: 4-line block ×21, first 2 shown]
	s_nop 0
	;;#ASMSTART
	s_nop 0
	v_add_f32 v51, v51, v51 row_shr:2 bound_ctrl:0 
	;;#ASMEND
	;;#ASMSTART
	s_nop 0
	v_add_f32 v73, v73, v73 row_shr:2 bound_ctrl:0 
	;;#ASMEND
	;; [unrolled: 4-line block ×21, first 2 shown]
	s_nop 0
	;;#ASMSTART
	s_nop 0
	v_add_f32 v51, v51, v51 wave_shr:1 bound_ctrl:0
	;;#ASMEND
	;;#ASMSTART
	s_nop 0
	v_add_f32 v73, v73, v73 wave_shr:1 bound_ctrl:0
	;;#ASMEND
	;; [unrolled: 4-line block ×21, first 2 shown]
	s_nop 0
	;;#ASMSTART
	s_nop 0
	v_add_f32 v51, v51, v51 row_bcast:15 bound_ctrl:0
	;;#ASMEND
	;;#ASMSTART
	s_nop 0
	v_add_f32 v73, v73, v73 row_bcast:15 bound_ctrl:0
	;;#ASMEND
	;; [unrolled: 4-line block ×21, first 2 shown]
	s_nop 0
	;;#ASMSTART
	s_nop 0
	v_add_f32 v51, v51, v51 row_bcast:31 bound_ctrl:0
	;;#ASMEND
	;;#ASMSTART
	s_nop 0
	v_add_f32 v73, v73, v73 row_bcast:31 bound_ctrl:0
	;;#ASMEND
	;; [unrolled: 4-line block ×21, first 2 shown]
	s_and_saveexec_b64 s[30:31], s[0:1]
	s_cbranch_execz .LBB49_63
; %bb.41:                               ;   in Loop: Header=BB49_16 Depth=1
	v_cmp_ne_u32_e32 vcc, 0, v2
	s_and_saveexec_b64 s[4:5], vcc
	s_cbranch_execnz .LBB49_68
; %bb.42:                               ;   in Loop: Header=BB49_16 Depth=1
	s_or_b64 exec, exec, s[4:5]
	v_cmp_ne_u32_e64 s[4:5], 0, v3
	s_and_saveexec_b64 s[6:7], s[4:5]
	s_cbranch_execnz .LBB49_69
.LBB49_43:                              ;   in Loop: Header=BB49_16 Depth=1
	s_or_b64 exec, exec, s[6:7]
	v_cmp_ne_u32_e64 s[6:7], 0, v4
	s_and_saveexec_b64 s[8:9], s[6:7]
	s_cbranch_execnz .LBB49_70
.LBB49_44:                              ;   in Loop: Header=BB49_16 Depth=1
	s_or_b64 exec, exec, s[8:9]
	v_cmp_ne_u32_e64 s[8:9], 0, v5
	s_and_saveexec_b64 s[10:11], s[8:9]
	s_cbranch_execnz .LBB49_71
.LBB49_45:                              ;   in Loop: Header=BB49_16 Depth=1
	s_or_b64 exec, exec, s[10:11]
	v_cmp_ne_u32_e64 s[10:11], 0, v6
	s_and_saveexec_b64 s[12:13], s[10:11]
	s_cbranch_execnz .LBB49_72
.LBB49_46:                              ;   in Loop: Header=BB49_16 Depth=1
	s_or_b64 exec, exec, s[12:13]
	v_cmp_ne_u32_e64 s[12:13], 0, v7
	s_and_saveexec_b64 s[14:15], s[12:13]
	s_cbranch_execnz .LBB49_73
.LBB49_47:                              ;   in Loop: Header=BB49_16 Depth=1
	s_or_b64 exec, exec, s[14:15]
	v_cmp_ne_u32_e64 s[14:15], 0, v8
	s_and_saveexec_b64 s[34:35], s[14:15]
	s_cbranch_execnz .LBB49_74
.LBB49_48:                              ;   in Loop: Header=BB49_16 Depth=1
	s_or_b64 exec, exec, s[34:35]
	v_add_u32_e32 v0, s17, v50
	s_and_saveexec_b64 s[34:35], vcc
	s_cbranch_execnz .LBB49_75
.LBB49_49:                              ;   in Loop: Header=BB49_16 Depth=1
	s_or_b64 exec, exec, s[34:35]
	s_and_saveexec_b64 s[34:35], s[4:5]
	s_cbranch_execnz .LBB49_76
.LBB49_50:                              ;   in Loop: Header=BB49_16 Depth=1
	s_or_b64 exec, exec, s[34:35]
	s_and_saveexec_b64 s[34:35], s[6:7]
	s_cbranch_execnz .LBB49_77
.LBB49_51:                              ;   in Loop: Header=BB49_16 Depth=1
	s_or_b64 exec, exec, s[34:35]
	s_and_saveexec_b64 s[34:35], s[8:9]
	s_cbranch_execnz .LBB49_78
.LBB49_52:                              ;   in Loop: Header=BB49_16 Depth=1
	s_or_b64 exec, exec, s[34:35]
	s_and_saveexec_b64 s[34:35], s[10:11]
	s_cbranch_execnz .LBB49_79
.LBB49_53:                              ;   in Loop: Header=BB49_16 Depth=1
	s_or_b64 exec, exec, s[34:35]
	s_and_saveexec_b64 s[34:35], s[12:13]
	s_cbranch_execnz .LBB49_80
.LBB49_54:                              ;   in Loop: Header=BB49_16 Depth=1
	s_or_b64 exec, exec, s[34:35]
	s_and_saveexec_b64 s[34:35], s[14:15]
	s_cbranch_execnz .LBB49_81
.LBB49_55:                              ;   in Loop: Header=BB49_16 Depth=1
	s_or_b64 exec, exec, s[34:35]
	v_add_u32_e32 v0, s17, v0
	s_and_saveexec_b64 s[34:35], vcc
	s_cbranch_execnz .LBB49_82
.LBB49_56:                              ;   in Loop: Header=BB49_16 Depth=1
	s_or_b64 exec, exec, s[34:35]
	s_and_saveexec_b64 s[34:35], s[4:5]
	s_cbranch_execnz .LBB49_83
.LBB49_57:                              ;   in Loop: Header=BB49_16 Depth=1
	s_or_b64 exec, exec, s[34:35]
	s_and_saveexec_b64 s[4:5], s[6:7]
	s_cbranch_execnz .LBB49_84
.LBB49_58:                              ;   in Loop: Header=BB49_16 Depth=1
	s_or_b64 exec, exec, s[4:5]
	s_and_saveexec_b64 s[4:5], s[8:9]
	s_cbranch_execnz .LBB49_85
.LBB49_59:                              ;   in Loop: Header=BB49_16 Depth=1
	s_or_b64 exec, exec, s[4:5]
	s_and_saveexec_b64 s[4:5], s[10:11]
	s_cbranch_execnz .LBB49_86
.LBB49_60:                              ;   in Loop: Header=BB49_16 Depth=1
	s_or_b64 exec, exec, s[4:5]
	s_and_saveexec_b64 s[4:5], s[12:13]
	s_cbranch_execnz .LBB49_87
.LBB49_61:                              ;   in Loop: Header=BB49_16 Depth=1
	s_or_b64 exec, exec, s[4:5]
	s_and_b64 exec, exec, s[14:15]
	s_cbranch_execz .LBB49_63
.LBB49_62:                              ;   in Loop: Header=BB49_16 Depth=1
	v_cvt_f16_f32_e32 v51, v54
	v_add_u32_e32 v0, 6, v0
	s_waitcnt lgkmcnt(0)
	v_lshl_add_u64 v[52:53], v[0:1], 1, s[22:23]
	global_store_short v[52:53], v51, off
.LBB49_63:                              ;   in Loop: Header=BB49_16 Depth=1
	s_or_b64 exec, exec, s[30:31]
	v_add_u32_e32 v50, s33, v50
	v_add_u32_e32 v0, 7, v50
	v_cmp_gt_u32_e32 vcc, s17, v50
	v_cmp_le_u32_e64 s[4:5], s17, v0
	s_and_b64 s[4:5], vcc, s[4:5]
	s_and_saveexec_b64 s[6:7], s[4:5]
	s_cbranch_execz .LBB49_15
; %bb.64:                               ;   in Loop: Header=BB49_16 Depth=1
	v_cmp_ne_u32_e32 vcc, s36, v50
	s_and_saveexec_b64 s[8:9], vcc
	s_cbranch_execz .LBB49_14
; %bb.65:                               ;   in Loop: Header=BB49_16 Depth=1
	v_subrev_u32_e32 v0, s36, v50
	v_cmp_lt_u32_e32 vcc, 1, v0
	s_mov_b64 s[10:11], 0
	s_mov_b64 s[12:13], 0
	v_cndmask_b32_e32 v0, 1, v0, vcc
.LBB49_66:                              ;   Parent Loop BB49_16 Depth=1
                                        ; =>  This Inner Loop Header: Depth=2
	s_cmp_lg_u32 s12, 6
	s_cselect_b64 vcc, -1, 0
	s_cmp_lg_u32 s12, 5
	v_cndmask_b32_e32 v8, 0, v8, vcc
	s_cselect_b64 vcc, -1, 0
	s_cmp_lg_u32 s12, 4
	v_cndmask_b32_e32 v7, 0, v7, vcc
	;; [unrolled: 3-line block ×6, first 2 shown]
	s_cselect_b64 vcc, -1, 0
	s_add_u32 s12, s12, 1
	s_addc_u32 s13, s13, 0
	v_cmp_eq_u32_e64 s[4:5], s12, v0
	s_or_b64 s[10:11], s[4:5], s[10:11]
	v_cndmask_b32_e32 v2, 0, v2, vcc
	s_andn2_b64 exec, exec, s[10:11]
	s_cbranch_execnz .LBB49_66
; %bb.67:                               ;   in Loop: Header=BB49_16 Depth=1
	s_or_b64 exec, exec, s[10:11]
	s_branch .LBB49_14
.LBB49_68:                              ;   in Loop: Header=BB49_16 Depth=1
	v_cvt_f16_f32_e32 v0, v51
	v_mov_b32_e32 v51, v1
	s_waitcnt lgkmcnt(0)
	v_lshl_add_u64 v[52:53], v[50:51], 1, s[22:23]
	global_store_short v[52:53], v0, off
	s_or_b64 exec, exec, s[4:5]
	v_cmp_ne_u32_e64 s[4:5], 0, v3
	s_and_saveexec_b64 s[6:7], s[4:5]
	s_cbranch_execz .LBB49_43
.LBB49_69:                              ;   in Loop: Header=BB49_16 Depth=1
	v_cvt_f16_f32_e32 v51, v73
	v_add_u32_e32 v0, 1, v50
	s_waitcnt lgkmcnt(0)
	v_lshl_add_u64 v[52:53], v[0:1], 1, s[22:23]
	global_store_short v[52:53], v51, off
	s_or_b64 exec, exec, s[6:7]
	v_cmp_ne_u32_e64 s[6:7], 0, v4
	s_and_saveexec_b64 s[8:9], s[6:7]
	s_cbranch_execz .LBB49_44
.LBB49_70:                              ;   in Loop: Header=BB49_16 Depth=1
	v_cvt_f16_f32_e32 v51, v72
	v_add_u32_e32 v0, 2, v50
	s_waitcnt lgkmcnt(0)
	v_lshl_add_u64 v[52:53], v[0:1], 1, s[22:23]
	global_store_short v[52:53], v51, off
	s_or_b64 exec, exec, s[8:9]
	v_cmp_ne_u32_e64 s[8:9], 0, v5
	s_and_saveexec_b64 s[10:11], s[8:9]
	s_cbranch_execz .LBB49_45
.LBB49_71:                              ;   in Loop: Header=BB49_16 Depth=1
	v_cvt_f16_f32_e32 v51, v71
	v_add_u32_e32 v0, 3, v50
	s_waitcnt lgkmcnt(0)
	v_lshl_add_u64 v[52:53], v[0:1], 1, s[22:23]
	global_store_short v[52:53], v51, off
	s_or_b64 exec, exec, s[10:11]
	v_cmp_ne_u32_e64 s[10:11], 0, v6
	s_and_saveexec_b64 s[12:13], s[10:11]
	s_cbranch_execz .LBB49_46
.LBB49_72:                              ;   in Loop: Header=BB49_16 Depth=1
	v_cvt_f16_f32_e32 v51, v70
	v_add_u32_e32 v0, 4, v50
	s_waitcnt lgkmcnt(0)
	v_lshl_add_u64 v[52:53], v[0:1], 1, s[22:23]
	global_store_short v[52:53], v51, off
	s_or_b64 exec, exec, s[12:13]
	v_cmp_ne_u32_e64 s[12:13], 0, v7
	s_and_saveexec_b64 s[14:15], s[12:13]
	s_cbranch_execz .LBB49_47
.LBB49_73:                              ;   in Loop: Header=BB49_16 Depth=1
	v_cvt_f16_f32_e32 v51, v69
	v_add_u32_e32 v0, 5, v50
	s_waitcnt lgkmcnt(0)
	v_lshl_add_u64 v[52:53], v[0:1], 1, s[22:23]
	global_store_short v[52:53], v51, off
	s_or_b64 exec, exec, s[14:15]
	v_cmp_ne_u32_e64 s[14:15], 0, v8
	s_and_saveexec_b64 s[34:35], s[14:15]
	s_cbranch_execz .LBB49_48
.LBB49_74:                              ;   in Loop: Header=BB49_16 Depth=1
	v_cvt_f16_f32_e32 v51, v68
	v_add_u32_e32 v0, 6, v50
	s_waitcnt lgkmcnt(0)
	v_lshl_add_u64 v[52:53], v[0:1], 1, s[22:23]
	global_store_short v[52:53], v51, off
	s_or_b64 exec, exec, s[34:35]
	v_add_u32_e32 v0, s17, v50
	s_and_saveexec_b64 s[34:35], vcc
	s_cbranch_execz .LBB49_49
.LBB49_75:                              ;   in Loop: Header=BB49_16 Depth=1
	v_cvt_f16_f32_e32 v51, v67
	s_waitcnt lgkmcnt(0)
	v_lshl_add_u64 v[52:53], v[0:1], 1, s[22:23]
	global_store_short v[52:53], v51, off
	s_or_b64 exec, exec, s[34:35]
	s_and_saveexec_b64 s[34:35], s[4:5]
	s_cbranch_execz .LBB49_50
.LBB49_76:                              ;   in Loop: Header=BB49_16 Depth=1
	v_cvt_f16_f32_e32 v51, v66
	v_add_u32_e32 v52, 1, v0
	v_mov_b32_e32 v53, v1
	s_waitcnt lgkmcnt(0)
	v_lshl_add_u64 v[52:53], v[52:53], 1, s[22:23]
	global_store_short v[52:53], v51, off
	s_or_b64 exec, exec, s[34:35]
	s_and_saveexec_b64 s[34:35], s[6:7]
	s_cbranch_execz .LBB49_51
.LBB49_77:                              ;   in Loop: Header=BB49_16 Depth=1
	v_cvt_f16_f32_e32 v51, v65
	v_add_u32_e32 v52, 2, v0
	v_mov_b32_e32 v53, v1
	s_waitcnt lgkmcnt(0)
	v_lshl_add_u64 v[52:53], v[52:53], 1, s[22:23]
	global_store_short v[52:53], v51, off
	s_or_b64 exec, exec, s[34:35]
	s_and_saveexec_b64 s[34:35], s[8:9]
	s_cbranch_execz .LBB49_52
.LBB49_78:                              ;   in Loop: Header=BB49_16 Depth=1
	v_cvt_f16_f32_e32 v51, v64
	v_add_u32_e32 v52, 3, v0
	v_mov_b32_e32 v53, v1
	s_waitcnt lgkmcnt(0)
	v_lshl_add_u64 v[52:53], v[52:53], 1, s[22:23]
	global_store_short v[52:53], v51, off
	s_or_b64 exec, exec, s[34:35]
	s_and_saveexec_b64 s[34:35], s[10:11]
	s_cbranch_execz .LBB49_53
.LBB49_79:                              ;   in Loop: Header=BB49_16 Depth=1
	v_cvt_f16_f32_e32 v51, v63
	v_add_u32_e32 v52, 4, v0
	v_mov_b32_e32 v53, v1
	s_waitcnt lgkmcnt(0)
	v_lshl_add_u64 v[52:53], v[52:53], 1, s[22:23]
	global_store_short v[52:53], v51, off
	s_or_b64 exec, exec, s[34:35]
	s_and_saveexec_b64 s[34:35], s[12:13]
	s_cbranch_execz .LBB49_54
.LBB49_80:                              ;   in Loop: Header=BB49_16 Depth=1
	v_cvt_f16_f32_e32 v51, v62
	v_add_u32_e32 v52, 5, v0
	v_mov_b32_e32 v53, v1
	s_waitcnt lgkmcnt(0)
	v_lshl_add_u64 v[52:53], v[52:53], 1, s[22:23]
	global_store_short v[52:53], v51, off
	s_or_b64 exec, exec, s[34:35]
	s_and_saveexec_b64 s[34:35], s[14:15]
	s_cbranch_execz .LBB49_55
.LBB49_81:                              ;   in Loop: Header=BB49_16 Depth=1
	v_cvt_f16_f32_e32 v51, v61
	v_add_u32_e32 v52, 6, v0
	v_mov_b32_e32 v53, v1
	s_waitcnt lgkmcnt(0)
	v_lshl_add_u64 v[52:53], v[52:53], 1, s[22:23]
	global_store_short v[52:53], v51, off
	s_or_b64 exec, exec, s[34:35]
	v_add_u32_e32 v0, s17, v0
	s_and_saveexec_b64 s[34:35], vcc
	s_cbranch_execz .LBB49_56
.LBB49_82:                              ;   in Loop: Header=BB49_16 Depth=1
	v_cvt_f16_f32_e32 v51, v60
	s_waitcnt lgkmcnt(0)
	v_lshl_add_u64 v[52:53], v[0:1], 1, s[22:23]
	global_store_short v[52:53], v51, off
	s_or_b64 exec, exec, s[34:35]
	s_and_saveexec_b64 s[34:35], s[4:5]
	s_cbranch_execz .LBB49_57
.LBB49_83:                              ;   in Loop: Header=BB49_16 Depth=1
	v_cvt_f16_f32_e32 v51, v59
	v_add_u32_e32 v52, 1, v0
	v_mov_b32_e32 v53, v1
	s_waitcnt lgkmcnt(0)
	v_lshl_add_u64 v[52:53], v[52:53], 1, s[22:23]
	global_store_short v[52:53], v51, off
	s_or_b64 exec, exec, s[34:35]
	s_and_saveexec_b64 s[4:5], s[6:7]
	s_cbranch_execz .LBB49_58
.LBB49_84:                              ;   in Loop: Header=BB49_16 Depth=1
	v_cvt_f16_f32_e32 v51, v58
	v_add_u32_e32 v52, 2, v0
	v_mov_b32_e32 v53, v1
	s_waitcnt lgkmcnt(0)
	v_lshl_add_u64 v[52:53], v[52:53], 1, s[22:23]
	global_store_short v[52:53], v51, off
	s_or_b64 exec, exec, s[4:5]
	s_and_saveexec_b64 s[4:5], s[8:9]
	s_cbranch_execz .LBB49_59
.LBB49_85:                              ;   in Loop: Header=BB49_16 Depth=1
	v_cvt_f16_f32_e32 v51, v57
	v_add_u32_e32 v52, 3, v0
	v_mov_b32_e32 v53, v1
	s_waitcnt lgkmcnt(0)
	v_lshl_add_u64 v[52:53], v[52:53], 1, s[22:23]
	global_store_short v[52:53], v51, off
	s_or_b64 exec, exec, s[4:5]
	s_and_saveexec_b64 s[4:5], s[10:11]
	s_cbranch_execz .LBB49_60
.LBB49_86:                              ;   in Loop: Header=BB49_16 Depth=1
	v_cvt_f16_f32_e32 v51, v56
	v_add_u32_e32 v52, 4, v0
	v_mov_b32_e32 v53, v1
	s_waitcnt lgkmcnt(0)
	v_lshl_add_u64 v[52:53], v[52:53], 1, s[22:23]
	global_store_short v[52:53], v51, off
	s_or_b64 exec, exec, s[4:5]
	s_and_saveexec_b64 s[4:5], s[12:13]
	s_cbranch_execz .LBB49_61
.LBB49_87:                              ;   in Loop: Header=BB49_16 Depth=1
	v_cvt_f16_f32_e32 v51, v55
	v_add_u32_e32 v52, 5, v0
	v_mov_b32_e32 v53, v1
	s_waitcnt lgkmcnt(0)
	v_lshl_add_u64 v[52:53], v[52:53], 1, s[22:23]
	global_store_short v[52:53], v51, off
	s_or_b64 exec, exec, s[4:5]
	s_and_b64 exec, exec, s[14:15]
	s_cbranch_execnz .LBB49_62
	s_branch .LBB49_63
.LBB49_88:
	s_endpgm
	.section	.rodata,"a",@progbits
	.p2align	6, 0x0
	.amdhsa_kernel _ZN5aiter12wvSplitK_hf_I6__halfLi64ELi7ELi16ELi8ELi1ELi3EEEviiPKT_S4_PS2_ii
		.amdhsa_group_segment_fixed_size 65536
		.amdhsa_private_segment_fixed_size 0
		.amdhsa_kernarg_size 40
		.amdhsa_user_sgpr_count 2
		.amdhsa_user_sgpr_dispatch_ptr 0
		.amdhsa_user_sgpr_queue_ptr 0
		.amdhsa_user_sgpr_kernarg_segment_ptr 1
		.amdhsa_user_sgpr_dispatch_id 0
		.amdhsa_user_sgpr_kernarg_preload_length 0
		.amdhsa_user_sgpr_kernarg_preload_offset 0
		.amdhsa_user_sgpr_private_segment_size 0
		.amdhsa_uses_dynamic_stack 0
		.amdhsa_enable_private_segment 0
		.amdhsa_system_sgpr_workgroup_id_x 1
		.amdhsa_system_sgpr_workgroup_id_y 0
		.amdhsa_system_sgpr_workgroup_id_z 0
		.amdhsa_system_sgpr_workgroup_info 0
		.amdhsa_system_vgpr_workitem_id 1
		.amdhsa_next_free_vgpr 75
		.amdhsa_next_free_sgpr 38
		.amdhsa_accum_offset 76
		.amdhsa_reserve_vcc 1
		.amdhsa_float_round_mode_32 0
		.amdhsa_float_round_mode_16_64 0
		.amdhsa_float_denorm_mode_32 3
		.amdhsa_float_denorm_mode_16_64 3
		.amdhsa_dx10_clamp 1
		.amdhsa_ieee_mode 1
		.amdhsa_fp16_overflow 0
		.amdhsa_tg_split 0
		.amdhsa_exception_fp_ieee_invalid_op 0
		.amdhsa_exception_fp_denorm_src 0
		.amdhsa_exception_fp_ieee_div_zero 0
		.amdhsa_exception_fp_ieee_overflow 0
		.amdhsa_exception_fp_ieee_underflow 0
		.amdhsa_exception_fp_ieee_inexact 0
		.amdhsa_exception_int_div_zero 0
	.end_amdhsa_kernel
	.section	.text._ZN5aiter12wvSplitK_hf_I6__halfLi64ELi7ELi16ELi8ELi1ELi3EEEviiPKT_S4_PS2_ii,"axG",@progbits,_ZN5aiter12wvSplitK_hf_I6__halfLi64ELi7ELi16ELi8ELi1ELi3EEEviiPKT_S4_PS2_ii,comdat
.Lfunc_end49:
	.size	_ZN5aiter12wvSplitK_hf_I6__halfLi64ELi7ELi16ELi8ELi1ELi3EEEviiPKT_S4_PS2_ii, .Lfunc_end49-_ZN5aiter12wvSplitK_hf_I6__halfLi64ELi7ELi16ELi8ELi1ELi3EEEviiPKT_S4_PS2_ii
                                        ; -- End function
	.section	.AMDGPU.csdata,"",@progbits
; Kernel info:
; codeLenInByte = 5512
; NumSgprs: 44
; NumVgprs: 75
; NumAgprs: 0
; TotalNumVgprs: 75
; ScratchSize: 0
; MemoryBound: 1
; FloatMode: 240
; IeeeMode: 1
; LDSByteSize: 65536 bytes/workgroup (compile time only)
; SGPRBlocks: 5
; VGPRBlocks: 9
; NumSGPRsForWavesPerEU: 44
; NumVGPRsForWavesPerEU: 75
; AccumOffset: 76
; Occupancy: 4
; WaveLimiterHint : 0
; COMPUTE_PGM_RSRC2:SCRATCH_EN: 0
; COMPUTE_PGM_RSRC2:USER_SGPR: 2
; COMPUTE_PGM_RSRC2:TRAP_HANDLER: 0
; COMPUTE_PGM_RSRC2:TGID_X_EN: 1
; COMPUTE_PGM_RSRC2:TGID_Y_EN: 0
; COMPUTE_PGM_RSRC2:TGID_Z_EN: 0
; COMPUTE_PGM_RSRC2:TIDIG_COMP_CNT: 1
; COMPUTE_PGM_RSRC3_GFX90A:ACCUM_OFFSET: 18
; COMPUTE_PGM_RSRC3_GFX90A:TG_SPLIT: 0
	.section	.text._ZN5aiter16wvSplitK_hf_big_I6__halfLi64ELi7ELi16ELi8ELi1ELi3EEEviiPKT_S4_PS2_ii,"axG",@progbits,_ZN5aiter16wvSplitK_hf_big_I6__halfLi64ELi7ELi16ELi8ELi1ELi3EEEviiPKT_S4_PS2_ii,comdat
	.protected	_ZN5aiter16wvSplitK_hf_big_I6__halfLi64ELi7ELi16ELi8ELi1ELi3EEEviiPKT_S4_PS2_ii ; -- Begin function _ZN5aiter16wvSplitK_hf_big_I6__halfLi64ELi7ELi16ELi8ELi1ELi3EEEviiPKT_S4_PS2_ii
	.globl	_ZN5aiter16wvSplitK_hf_big_I6__halfLi64ELi7ELi16ELi8ELi1ELi3EEEviiPKT_S4_PS2_ii
	.p2align	8
	.type	_ZN5aiter16wvSplitK_hf_big_I6__halfLi64ELi7ELi16ELi8ELi1ELi3EEEviiPKT_S4_PS2_ii,@function
_ZN5aiter16wvSplitK_hf_big_I6__halfLi64ELi7ELi16ELi8ELi1ELi3EEEviiPKT_S4_PS2_ii: ; @_ZN5aiter16wvSplitK_hf_big_I6__halfLi64ELi7ELi16ELi8ELi1ELi3EEEviiPKT_S4_PS2_ii
; %bb.0:
	s_load_dwordx2 s[12:13], s[0:1], 0x20
	v_bfe_u32 v1, v0, 10, 10
	s_waitcnt lgkmcnt(0)
	v_cmp_gt_u32_e32 vcc, s12, v1
	s_and_saveexec_b64 s[4:5], vcc
	s_cbranch_execz .LBB50_78
; %bb.1:
	s_load_dwordx2 s[18:19], s[0:1], 0x0
	s_mul_i32 s2, s2, s12
	v_add_u32_e32 v2, s2, v1
	v_mul_lo_u32 v50, v2, 7
	v_add_u32_e32 v2, 7, v50
	s_mov_b32 s4, 1
	s_waitcnt lgkmcnt(0)
	v_cmp_gt_u32_e32 vcc, s19, v50
	v_cmp_le_u32_e64 s[2:3], s19, v2
	s_mov_b32 s5, s4
	s_mov_b32 s6, s4
	;; [unrolled: 1-line block ×6, first 2 shown]
	v_mov_b32_e32 v2, s4
	s_and_b64 s[14:15], vcc, s[2:3]
	v_mov_b32_e32 v3, s5
	v_mov_b32_e32 v4, s6
	;; [unrolled: 1-line block ×6, first 2 shown]
	s_and_saveexec_b64 s[2:3], s[14:15]
	s_cbranch_execz .LBB50_7
; %bb.2:
	s_add_i32 s11, s19, -7
	v_mov_b32_e32 v2, s4
	v_cmp_ne_u32_e32 vcc, s11, v50
	v_mov_b32_e32 v3, s5
	v_mov_b32_e32 v4, s6
	;; [unrolled: 1-line block ×6, first 2 shown]
	s_and_saveexec_b64 s[14:15], vcc
	s_cbranch_execz .LBB50_6
; %bb.3:
	v_subrev_u32_e32 v2, s11, v50
	v_cmp_lt_u32_e32 vcc, 1, v2
	s_mov_b64 s[16:17], 0
	s_mov_b64 s[20:21], 0
	v_cndmask_b32_e32 v10, 1, v2, vcc
	s_mov_b32 s5, s4
	s_mov_b32 s6, s4
	s_mov_b32 s7, s4
	s_mov_b32 s8, s4
	s_mov_b32 s9, s4
	s_mov_b32 s10, s4
.LBB50_4:                               ; =>This Inner Loop Header: Depth=1
	s_cmp_lg_u32 s20, 6
	s_cselect_b32 s10, s10, 0
	s_cmp_lg_u32 s20, 5
	s_cselect_b32 s9, s9, 0
	;; [unrolled: 2-line block ×7, first 2 shown]
	s_add_u32 s20, s20, 1
	s_addc_u32 s21, s21, 0
	v_cmp_eq_u32_e32 vcc, s20, v10
	v_mov_b32_e32 v2, s4
	s_or_b64 s[16:17], vcc, s[16:17]
	v_mov_b32_e32 v3, s5
	v_mov_b32_e32 v4, s6
	v_mov_b32_e32 v5, s7
	v_mov_b32_e32 v6, s8
	v_mov_b32_e32 v7, s9
	v_mov_b32_e32 v8, s10
	s_andn2_b64 exec, exec, s[16:17]
	s_cbranch_execnz .LBB50_4
; %bb.5:
	s_or_b64 exec, exec, s[16:17]
	v_mov_b32_e32 v50, s11
.LBB50_6:
	s_or_b64 exec, exec, s[14:15]
.LBB50_7:
	s_or_b64 exec, exec, s[2:3]
	s_mul_i32 s44, s12, 7
	s_abs_i32 s2, s44
	v_cvt_f32_u32_e32 v9, s2
	s_sub_i32 s5, 0, s2
	s_abs_i32 s4, s19
	s_ashr_i32 s3, s19, 31
	v_rcp_iflag_f32_e32 v9, v9
	s_nop 0
	v_mul_f32_e32 v9, 0x4f7ffffe, v9
	v_cvt_u32_f32_e32 v9, v9
	s_nop 0
	v_readfirstlane_b32 s6, v9
	s_mul_i32 s5, s5, s6
	s_mul_hi_u32 s5, s6, s5
	s_add_i32 s6, s6, s5
	s_mul_hi_u32 s5, s4, s6
	s_mul_i32 s5, s5, s2
	s_sub_i32 s4, s4, s5
	s_sub_i32 s5, s4, s2
	s_cmp_ge_u32 s4, s2
	s_cselect_b32 s4, s5, s4
	s_sub_i32 s5, s4, s2
	s_cmp_ge_u32 s4, s2
	s_cselect_b32 s2, s5, s4
	s_xor_b32 s2, s2, s3
	s_sub_i32 s2, s2, s3
	s_add_i32 s3, s44, s19
	s_sub_i32 s3, s3, s2
	s_cmp_eq_u32 s2, 0
	s_cselect_b32 s33, s19, s3
	v_cmp_gt_u32_e32 vcc, s33, v50
	s_and_b64 exec, exec, vcc
	s_cbranch_execz .LBB50_78
; %bb.8:
	s_mov_b32 s2, 0
	s_load_dwordx4 s[20:23], s[0:1], 0x8
	s_load_dwordx2 s[24:25], s[0:1], 0x18
	v_cvt_f64_i32_e32 v[10:11], s18
	s_mov_b32 s3, 0x40c50000
	v_min_f64 v[10:11], v[10:11], s[2:3]
	s_cmp_lg_u32 s18, 0
	v_and_b32_e32 v0, 0x3ff, v0
	v_cvt_u32_f64_e32 v10, v[10:11]
	v_lshlrev_b32_e32 v9, 3, v0
	s_cselect_b64 s[2:3], -1, 0
	s_ashr_i32 s27, s18, 31
	s_mov_b32 s26, s18
	v_cmp_eq_u32_e64 s[0:1], 63, v0
	v_lshlrev_b32_e32 v0, 4, v0
	s_lshl_b32 s43, s12, 9
	s_add_i32 s45, s19, -7
	s_lshl_b64 s[28:29], s[26:27], 1
	v_lshl_add_u32 v53, v1, 10, v0
	v_cndmask_b32_e64 v0, 0, 1, s[2:3]
	v_cmp_ne_u32_e32 vcc, 0, v10
	v_readfirstlane_b32 s42, v10
	s_waitcnt lgkmcnt(0)
	s_add_u32 s30, s24, 2
	v_lshl_add_u32 v55, v1, 9, v9
	v_cmp_ne_u32_e64 s[2:3], 1, v0
	v_cndmask_b32_e64 v0, 0, 1, vcc
	s_mul_i32 s44, s44, s13
	s_addc_u32 s31, s25, 0
	v_lshlrev_b32_e32 v52, 2, v10
	s_lshl_b32 s46, s12, 10
	v_lshlrev_b32_e32 v54, 1, v10
	v_lshl_add_u32 v56, s18, 1, v55
	v_add_u32_e32 v57, s18, v55
	s_mov_b64 s[34:35], 0
	v_cmp_ne_u32_e64 s[4:5], 1, v0
	v_mov_b32_e32 v1, 0
	s_lshl_b32 s47, s42, 1
	s_branch .LBB50_12
.LBB50_9:                               ;   in Loop: Header=BB50_12 Depth=1
	s_or_b64 exec, exec, s[10:11]
	v_mov_b32_e32 v50, s45
.LBB50_10:                              ;   in Loop: Header=BB50_12 Depth=1
	s_or_b64 exec, exec, s[8:9]
.LBB50_11:                              ;   in Loop: Header=BB50_12 Depth=1
	s_or_b64 exec, exec, s[36:37]
	v_cmp_le_u32_e32 vcc, s33, v50
	s_or_b64 s[34:35], vcc, s[34:35]
	s_andn2_b64 exec, exec, s[34:35]
	s_cbranch_execz .LBB50_78
.LBB50_12:                              ; =>This Loop Header: Depth=1
                                        ;     Child Loop BB50_16 Depth 2
                                        ;       Child Loop BB50_21 Depth 3
                                        ;     Child Loop BB50_56 Depth 2
	s_mov_b32 s14, 0
	s_and_b64 vcc, exec, s[2:3]
	v_mov_b32_e32 v58, v1
	v_mov_b32_e32 v59, v1
	;; [unrolled: 1-line block ×21, first 2 shown]
	s_cbranch_vccnz .LBB50_27
; %bb.13:                               ;   in Loop: Header=BB50_12 Depth=1
	v_cmp_gt_u32_e64 s[6:7], s19, v50
	v_mul_lo_u32 v78, v50, s18
	v_mov_b32_e32 v77, 0
	v_mov_b32_e32 v51, 0
	;; [unrolled: 1-line block ×21, first 2 shown]
	s_mov_b32 s15, 0
	s_branch .LBB50_16
.LBB50_14:                              ;   in Loop: Header=BB50_16 Depth=2
	s_or_b64 exec, exec, s[10:11]
.LBB50_15:                              ;   in Loop: Header=BB50_16 Depth=2
	s_or_b64 exec, exec, s[8:9]
	s_addk_i32 s15, 0x200
	s_cmp_ge_u32 s15, s18
	s_cbranch_scc1 .LBB50_27
.LBB50_16:                              ;   Parent Loop BB50_12 Depth=1
                                        ; =>  This Loop Header: Depth=2
                                        ;       Child Loop BB50_21 Depth 3
	s_cmp_eq_u32 s15, 0
	s_cselect_b64 s[8:9], -1, 0
	s_add_i32 s10, s14, s42
	s_cmp_eq_u32 s15, s10
	s_cselect_b64 s[12:13], -1, 0
	s_or_b64 s[12:13], s[8:9], s[12:13]
	s_andn2_b64 vcc, exec, s[12:13]
	s_cbranch_vccz .LBB50_18
; %bb.17:                               ;   in Loop: Header=BB50_16 Depth=2
	s_and_saveexec_b64 s[8:9], s[6:7]
	s_cbranch_execz .LBB50_15
	s_branch .LBB50_25
.LBB50_18:                              ;   in Loop: Header=BB50_16 Depth=2
	s_and_b64 s[8:9], s[8:9], exec
	s_cselect_b32 s14, s14, s10
	s_and_b64 vcc, exec, s[4:5]
	s_barrier
	s_cbranch_vccnz .LBB50_24
; %bb.19:                               ;   in Loop: Header=BB50_16 Depth=2
	v_add_u32_e32 v10, s14, v56
	v_add_u32_e32 v11, s14, v57
	;; [unrolled: 1-line block ×3, first 2 shown]
	s_mov_b32 s16, 0
	s_mov_b64 s[10:11], 0
	v_mov_b32_e32 v13, v53
                                        ; implicit-def: $sgpr12_sgpr13
	s_branch .LBB50_21
.LBB50_20:                              ;   in Loop: Header=BB50_21 Depth=3
	s_or_b64 exec, exec, s[8:9]
	s_and_b64 s[8:9], exec, s[12:13]
	s_or_b64 s[10:11], s[8:9], s[10:11]
	s_andn2_b64 exec, exec, s[10:11]
	s_cbranch_execz .LBB50_23
.LBB50_21:                              ;   Parent Loop BB50_12 Depth=1
                                        ;     Parent Loop BB50_16 Depth=2
                                        ; =>    This Inner Loop Header: Depth=3
	v_add_u32_e32 v14, s16, v55
	v_add_u32_e32 v0, s16, v12
	v_cmp_gt_u32_e32 vcc, s18, v0
	v_cmp_gt_u32_e64 s[8:9], s42, v14
	s_and_b64 s[36:37], vcc, s[8:9]
	s_or_b64 s[12:13], s[12:13], exec
	s_and_saveexec_b64 s[8:9], s[36:37]
	s_cbranch_execz .LBB50_20
; %bb.22:                               ;   in Loop: Header=BB50_21 Depth=3
	v_lshl_add_u64 v[22:23], v[0:1], 1, s[22:23]
	v_add_u32_e32 v0, s16, v11
	v_lshl_add_u64 v[24:25], v[0:1], 1, s[22:23]
	v_add_u32_e32 v0, s16, v10
	global_load_dwordx4 v[14:17], v[22:23], off
	global_load_dwordx4 v[18:21], v[24:25], off
	v_lshl_add_u64 v[22:23], v[0:1], 1, s[22:23]
	global_load_dwordx4 v[22:25], v[22:23], off
	s_add_i32 s16, s16, s43
	s_cmp_ge_u32 s16, s42
	s_cselect_b64 s[36:37], -1, 0
	s_andn2_b64 s[12:13], s[12:13], exec
	s_and_b64 s[36:37], s[36:37], exec
	v_add_u32_e32 v0, v13, v54
	v_add_u32_e32 v26, v13, v52
	s_or_b64 s[12:13], s[12:13], s[36:37]
	s_waitcnt vmcnt(2)
	ds_write_b128 v13, v[14:17]
	v_add_u32_e32 v13, s46, v13
	s_waitcnt vmcnt(1)
	ds_write2_b64 v0, v[18:19], v[20:21] offset1:1
	s_waitcnt vmcnt(0)
	ds_write2_b32 v26, v22, v23 offset1:1
	ds_write2_b32 v26, v24, v25 offset0:2 offset1:3
	s_branch .LBB50_20
.LBB50_23:                              ;   in Loop: Header=BB50_16 Depth=2
	s_or_b64 exec, exec, s[10:11]
.LBB50_24:                              ;   in Loop: Header=BB50_16 Depth=2
	s_waitcnt lgkmcnt(0)
	s_barrier
	s_and_saveexec_b64 s[8:9], s[6:7]
	s_cbranch_execz .LBB50_15
.LBB50_25:                              ;   in Loop: Header=BB50_16 Depth=2
	v_add_u32_e32 v38, s15, v9
	v_cmp_gt_u32_e32 vcc, s18, v38
	s_and_saveexec_b64 s[10:11], vcc
	s_cbranch_execz .LBB50_14
; %bb.26:                               ;   in Loop: Header=BB50_16 Depth=2
	v_add_u32_e32 v0, v38, v78
	v_lshl_add_u64 v[10:11], v[0:1], 1, s[20:21]
	global_load_dwordx4 v[34:37], v[10:11], off nt
	v_lshl_add_u64 v[10:11], s[26:27], 1, v[10:11]
	global_load_dwordx4 v[30:33], v[10:11], off nt
	;; [unrolled: 2-line block ×5, first 2 shown]
	v_lshl_add_u64 v[10:11], v[10:11], 0, s[28:29]
	v_subrev_u32_e32 v0, s14, v38
	global_load_dwordx4 v[14:17], v[10:11], off nt
	v_lshl_add_u64 v[10:11], v[10:11], 0, s[28:29]
	v_lshlrev_b32_e32 v0, 1, v0
	global_load_dwordx4 v[10:13], v[10:11], off nt
	v_add_u32_e32 v38, s47, v0
	ds_read_b128 v[42:45], v0
	ds_read_b128 v[46:49], v38
	v_add_u32_e32 v0, s47, v38
	ds_read_b128 v[38:41], v0
	s_waitcnt vmcnt(6) lgkmcnt(2)
	;;#ASMSTART
	v_dot2c_f32_f16 v51, v42, v34
	;;#ASMEND
	s_waitcnt lgkmcnt(1)
	;;#ASMSTART
	v_dot2c_f32_f16 v71, v46, v34
	;;#ASMEND
	s_waitcnt lgkmcnt(0)
	;;#ASMSTART
	v_dot2c_f32_f16 v64, v38, v34
	;;#ASMEND
	s_waitcnt vmcnt(5)
	;;#ASMSTART
	v_dot2c_f32_f16 v77, v42, v30
	;;#ASMEND
	;;#ASMSTART
	v_dot2c_f32_f16 v70, v46, v30
	;;#ASMEND
	;;#ASMSTART
	v_dot2c_f32_f16 v63, v38, v30
	;;#ASMEND
	s_waitcnt vmcnt(4)
	;;#ASMSTART
	v_dot2c_f32_f16 v76, v42, v26
	;;#ASMEND
	;;#ASMSTART
	v_dot2c_f32_f16 v69, v46, v26
	;;#ASMEND
	;; [unrolled: 10-line block ×6, first 2 shown]
	;;#ASMSTART
	v_dot2c_f32_f16 v58, v38, v10
	;;#ASMEND
	;;#ASMSTART
	v_dot2c_f32_f16 v51, v43, v35
	;;#ASMEND
	;; [unrolled: 3-line block ×19, first 2 shown]
	s_nop 0
	;;#ASMSTART
	v_dot2c_f32_f16 v72, v43, v11
	;;#ASMEND
	;;#ASMSTART
	v_dot2c_f32_f16 v65, v47, v11
	;;#ASMEND
	;; [unrolled: 3-line block ×15, first 2 shown]
	s_nop 0
	;;#ASMSTART
	v_dot2c_f32_f16 v72, v44, v12
	;;#ASMEND
	;;#ASMSTART
	v_dot2c_f32_f16 v65, v48, v12
	;;#ASMEND
	;; [unrolled: 3-line block ×21, first 2 shown]
	s_nop 0
	;;#ASMSTART
	v_dot2c_f32_f16 v72, v45, v13
	;;#ASMEND
	;;#ASMSTART
	v_dot2c_f32_f16 v65, v49, v13
	;;#ASMEND
	;; [unrolled: 3-line block ×9, first 2 shown]
	s_branch .LBB50_14
.LBB50_27:                              ;   in Loop: Header=BB50_12 Depth=1
	v_cmp_le_u32_e32 vcc, s19, v50
	s_and_saveexec_b64 s[6:7], vcc
	s_xor_b64 s[6:7], exec, s[6:7]
; %bb.28:                               ;   in Loop: Header=BB50_12 Depth=1
	v_add_u32_e32 v50, s44, v50
                                        ; implicit-def: $vgpr58
                                        ; implicit-def: $vgpr59
                                        ; implicit-def: $vgpr60
                                        ; implicit-def: $vgpr61
                                        ; implicit-def: $vgpr62
                                        ; implicit-def: $vgpr63
                                        ; implicit-def: $vgpr64
                                        ; implicit-def: $vgpr65
                                        ; implicit-def: $vgpr66
                                        ; implicit-def: $vgpr67
                                        ; implicit-def: $vgpr68
                                        ; implicit-def: $vgpr69
                                        ; implicit-def: $vgpr70
                                        ; implicit-def: $vgpr71
                                        ; implicit-def: $vgpr72
                                        ; implicit-def: $vgpr73
                                        ; implicit-def: $vgpr74
                                        ; implicit-def: $vgpr75
                                        ; implicit-def: $vgpr76
                                        ; implicit-def: $vgpr51
                                        ; implicit-def: $vgpr77
; %bb.29:                               ;   in Loop: Header=BB50_12 Depth=1
	s_andn2_saveexec_b64 s[36:37], s[6:7]
	s_cbranch_execz .LBB50_11
; %bb.30:                               ;   in Loop: Header=BB50_12 Depth=1
	;;#ASMSTART
	s_nop 0
	v_add_f32 v51, v51, v51 row_shr:8 bound_ctrl:0 
	;;#ASMEND
	;;#ASMSTART
	s_nop 0
	v_add_f32 v77, v77, v77 row_shr:8 bound_ctrl:0 
	;;#ASMEND
	;; [unrolled: 4-line block ×21, first 2 shown]
	s_nop 0
	;;#ASMSTART
	s_nop 0
	v_add_f32 v51, v51, v51 row_shr:4 bound_ctrl:0 
	;;#ASMEND
	;;#ASMSTART
	s_nop 0
	v_add_f32 v77, v77, v77 row_shr:4 bound_ctrl:0 
	;;#ASMEND
	;; [unrolled: 4-line block ×21, first 2 shown]
	s_nop 0
	;;#ASMSTART
	s_nop 0
	v_add_f32 v51, v51, v51 row_shr:2 bound_ctrl:0 
	;;#ASMEND
	;;#ASMSTART
	s_nop 0
	v_add_f32 v77, v77, v77 row_shr:2 bound_ctrl:0 
	;;#ASMEND
	;; [unrolled: 4-line block ×21, first 2 shown]
	s_nop 0
	;;#ASMSTART
	s_nop 0
	v_add_f32 v51, v51, v51 wave_shr:1 bound_ctrl:0
	;;#ASMEND
	;;#ASMSTART
	s_nop 0
	v_add_f32 v77, v77, v77 wave_shr:1 bound_ctrl:0
	;;#ASMEND
	;; [unrolled: 4-line block ×21, first 2 shown]
	s_nop 0
	;;#ASMSTART
	s_nop 0
	v_add_f32 v51, v51, v51 row_bcast:15 bound_ctrl:0
	;;#ASMEND
	;;#ASMSTART
	s_nop 0
	v_add_f32 v77, v77, v77 row_bcast:15 bound_ctrl:0
	;;#ASMEND
	;; [unrolled: 4-line block ×21, first 2 shown]
	s_nop 0
	;;#ASMSTART
	s_nop 0
	v_add_f32 v51, v51, v51 row_bcast:31 bound_ctrl:0
	;;#ASMEND
	;;#ASMSTART
	s_nop 0
	v_add_f32 v77, v77, v77 row_bcast:31 bound_ctrl:0
	;;#ASMEND
	;; [unrolled: 4-line block ×21, first 2 shown]
	s_and_saveexec_b64 s[38:39], s[0:1]
	s_cbranch_execz .LBB50_53
; %bb.31:                               ;   in Loop: Header=BB50_12 Depth=1
	v_cmp_ne_u32_e32 vcc, 0, v2
	s_and_saveexec_b64 s[6:7], vcc
	s_cbranch_execnz .LBB50_58
; %bb.32:                               ;   in Loop: Header=BB50_12 Depth=1
	s_or_b64 exec, exec, s[6:7]
	v_cmp_ne_u32_e64 s[6:7], 0, v3
	s_and_saveexec_b64 s[8:9], s[6:7]
	s_cbranch_execnz .LBB50_59
.LBB50_33:                              ;   in Loop: Header=BB50_12 Depth=1
	s_or_b64 exec, exec, s[8:9]
	v_cmp_ne_u32_e64 s[8:9], 0, v4
	s_and_saveexec_b64 s[10:11], s[8:9]
	s_cbranch_execnz .LBB50_60
.LBB50_34:                              ;   in Loop: Header=BB50_12 Depth=1
	s_or_b64 exec, exec, s[10:11]
	v_cmp_ne_u32_e64 s[10:11], 0, v5
	s_and_saveexec_b64 s[12:13], s[10:11]
	s_cbranch_execnz .LBB50_61
.LBB50_35:                              ;   in Loop: Header=BB50_12 Depth=1
	s_or_b64 exec, exec, s[12:13]
	v_cmp_ne_u32_e64 s[12:13], 0, v6
	s_and_saveexec_b64 s[14:15], s[12:13]
	s_cbranch_execnz .LBB50_62
.LBB50_36:                              ;   in Loop: Header=BB50_12 Depth=1
	s_or_b64 exec, exec, s[14:15]
	v_cmp_ne_u32_e64 s[14:15], 0, v7
	s_and_saveexec_b64 s[16:17], s[14:15]
	s_cbranch_execnz .LBB50_63
.LBB50_37:                              ;   in Loop: Header=BB50_12 Depth=1
	s_or_b64 exec, exec, s[16:17]
	v_cmp_ne_u32_e64 s[16:17], 0, v8
	s_and_saveexec_b64 s[40:41], s[16:17]
	s_cbranch_execnz .LBB50_64
.LBB50_38:                              ;   in Loop: Header=BB50_12 Depth=1
	s_or_b64 exec, exec, s[40:41]
	v_add_u32_e32 v0, s19, v50
	s_and_saveexec_b64 s[40:41], vcc
	s_cbranch_execnz .LBB50_65
.LBB50_39:                              ;   in Loop: Header=BB50_12 Depth=1
	s_or_b64 exec, exec, s[40:41]
	s_and_saveexec_b64 s[40:41], s[6:7]
	s_cbranch_execnz .LBB50_66
.LBB50_40:                              ;   in Loop: Header=BB50_12 Depth=1
	s_or_b64 exec, exec, s[40:41]
	s_and_saveexec_b64 s[40:41], s[8:9]
	s_cbranch_execnz .LBB50_67
.LBB50_41:                              ;   in Loop: Header=BB50_12 Depth=1
	s_or_b64 exec, exec, s[40:41]
	s_and_saveexec_b64 s[40:41], s[10:11]
	s_cbranch_execnz .LBB50_68
.LBB50_42:                              ;   in Loop: Header=BB50_12 Depth=1
	s_or_b64 exec, exec, s[40:41]
	s_and_saveexec_b64 s[40:41], s[12:13]
	s_cbranch_execnz .LBB50_69
.LBB50_43:                              ;   in Loop: Header=BB50_12 Depth=1
	s_or_b64 exec, exec, s[40:41]
	s_and_saveexec_b64 s[40:41], s[14:15]
	s_cbranch_execnz .LBB50_70
.LBB50_44:                              ;   in Loop: Header=BB50_12 Depth=1
	s_or_b64 exec, exec, s[40:41]
	s_and_saveexec_b64 s[40:41], s[16:17]
	s_cbranch_execnz .LBB50_71
.LBB50_45:                              ;   in Loop: Header=BB50_12 Depth=1
	s_or_b64 exec, exec, s[40:41]
	v_add_u32_e32 v0, s19, v0
	s_and_saveexec_b64 s[40:41], vcc
	s_cbranch_execnz .LBB50_72
.LBB50_46:                              ;   in Loop: Header=BB50_12 Depth=1
	s_or_b64 exec, exec, s[40:41]
	s_and_saveexec_b64 s[40:41], s[6:7]
	s_cbranch_execnz .LBB50_73
.LBB50_47:                              ;   in Loop: Header=BB50_12 Depth=1
	s_or_b64 exec, exec, s[40:41]
	s_and_saveexec_b64 s[6:7], s[8:9]
	s_cbranch_execnz .LBB50_74
.LBB50_48:                              ;   in Loop: Header=BB50_12 Depth=1
	s_or_b64 exec, exec, s[6:7]
	s_and_saveexec_b64 s[6:7], s[10:11]
	s_cbranch_execnz .LBB50_75
.LBB50_49:                              ;   in Loop: Header=BB50_12 Depth=1
	s_or_b64 exec, exec, s[6:7]
	s_and_saveexec_b64 s[6:7], s[12:13]
	s_cbranch_execnz .LBB50_76
.LBB50_50:                              ;   in Loop: Header=BB50_12 Depth=1
	s_or_b64 exec, exec, s[6:7]
	s_and_saveexec_b64 s[6:7], s[14:15]
	s_cbranch_execnz .LBB50_77
.LBB50_51:                              ;   in Loop: Header=BB50_12 Depth=1
	s_or_b64 exec, exec, s[6:7]
	s_and_b64 exec, exec, s[16:17]
	s_cbranch_execz .LBB50_53
.LBB50_52:                              ;   in Loop: Header=BB50_12 Depth=1
	v_cvt_f16_f32_e32 v12, v58
	v_add_u32_e32 v0, 6, v0
	v_lshl_add_u64 v[10:11], v[0:1], 1, s[24:25]
	global_store_short v[10:11], v12, off
.LBB50_53:                              ;   in Loop: Header=BB50_12 Depth=1
	s_or_b64 exec, exec, s[38:39]
	v_add_u32_e32 v50, s44, v50
	v_add_u32_e32 v0, 7, v50
	v_cmp_gt_u32_e32 vcc, s19, v50
	v_cmp_le_u32_e64 s[6:7], s19, v0
	s_and_b64 s[6:7], vcc, s[6:7]
	s_and_saveexec_b64 s[8:9], s[6:7]
	s_cbranch_execz .LBB50_10
; %bb.54:                               ;   in Loop: Header=BB50_12 Depth=1
	v_cmp_ne_u32_e32 vcc, s45, v50
	s_and_saveexec_b64 s[10:11], vcc
	s_cbranch_execz .LBB50_9
; %bb.55:                               ;   in Loop: Header=BB50_12 Depth=1
	v_subrev_u32_e32 v0, s45, v50
	v_cmp_lt_u32_e32 vcc, 1, v0
	s_mov_b64 s[12:13], 0
	s_mov_b64 s[14:15], 0
	v_cndmask_b32_e32 v0, 1, v0, vcc
.LBB50_56:                              ;   Parent Loop BB50_12 Depth=1
                                        ; =>  This Inner Loop Header: Depth=2
	s_cmp_lg_u32 s14, 6
	s_cselect_b64 vcc, -1, 0
	s_cmp_lg_u32 s14, 5
	v_cndmask_b32_e32 v8, 0, v8, vcc
	s_cselect_b64 vcc, -1, 0
	s_cmp_lg_u32 s14, 4
	v_cndmask_b32_e32 v7, 0, v7, vcc
	;; [unrolled: 3-line block ×6, first 2 shown]
	s_cselect_b64 vcc, -1, 0
	s_add_u32 s14, s14, 1
	s_addc_u32 s15, s15, 0
	v_cmp_eq_u32_e64 s[6:7], s14, v0
	s_or_b64 s[12:13], s[6:7], s[12:13]
	v_cndmask_b32_e32 v2, 0, v2, vcc
	s_andn2_b64 exec, exec, s[12:13]
	s_cbranch_execnz .LBB50_56
; %bb.57:                               ;   in Loop: Header=BB50_12 Depth=1
	s_or_b64 exec, exec, s[12:13]
	s_branch .LBB50_9
.LBB50_58:                              ;   in Loop: Header=BB50_12 Depth=1
	v_cvt_f16_f32_e32 v0, v51
	v_mov_b32_e32 v51, v1
	v_lshl_add_u64 v[10:11], v[50:51], 1, s[24:25]
	global_store_short v[10:11], v0, off
	s_or_b64 exec, exec, s[6:7]
	v_cmp_ne_u32_e64 s[6:7], 0, v3
	s_and_saveexec_b64 s[8:9], s[6:7]
	s_cbranch_execz .LBB50_33
.LBB50_59:                              ;   in Loop: Header=BB50_12 Depth=1
	v_cvt_f16_f32_e32 v0, v77
	v_mov_b32_e32 v51, v1
	v_lshl_add_u64 v[10:11], v[50:51], 1, s[30:31]
	global_store_short v[10:11], v0, off
	s_or_b64 exec, exec, s[8:9]
	v_cmp_ne_u32_e64 s[8:9], 0, v4
	s_and_saveexec_b64 s[10:11], s[8:9]
	s_cbranch_execz .LBB50_34
.LBB50_60:                              ;   in Loop: Header=BB50_12 Depth=1
	v_cvt_f16_f32_e32 v12, v76
	v_add_u32_e32 v0, 2, v50
	v_lshl_add_u64 v[10:11], v[0:1], 1, s[24:25]
	global_store_short v[10:11], v12, off
	s_or_b64 exec, exec, s[10:11]
	v_cmp_ne_u32_e64 s[10:11], 0, v5
	s_and_saveexec_b64 s[12:13], s[10:11]
	s_cbranch_execz .LBB50_35
.LBB50_61:                              ;   in Loop: Header=BB50_12 Depth=1
	v_cvt_f16_f32_e32 v12, v75
	v_add_u32_e32 v0, 3, v50
	v_lshl_add_u64 v[10:11], v[0:1], 1, s[24:25]
	global_store_short v[10:11], v12, off
	s_or_b64 exec, exec, s[12:13]
	v_cmp_ne_u32_e64 s[12:13], 0, v6
	s_and_saveexec_b64 s[14:15], s[12:13]
	s_cbranch_execz .LBB50_36
.LBB50_62:                              ;   in Loop: Header=BB50_12 Depth=1
	v_cvt_f16_f32_e32 v12, v74
	v_add_u32_e32 v0, 4, v50
	v_lshl_add_u64 v[10:11], v[0:1], 1, s[24:25]
	global_store_short v[10:11], v12, off
	s_or_b64 exec, exec, s[14:15]
	v_cmp_ne_u32_e64 s[14:15], 0, v7
	s_and_saveexec_b64 s[16:17], s[14:15]
	s_cbranch_execz .LBB50_37
.LBB50_63:                              ;   in Loop: Header=BB50_12 Depth=1
	v_cvt_f16_f32_e32 v12, v73
	v_add_u32_e32 v0, 5, v50
	v_lshl_add_u64 v[10:11], v[0:1], 1, s[24:25]
	global_store_short v[10:11], v12, off
	s_or_b64 exec, exec, s[16:17]
	v_cmp_ne_u32_e64 s[16:17], 0, v8
	s_and_saveexec_b64 s[40:41], s[16:17]
	s_cbranch_execz .LBB50_38
.LBB50_64:                              ;   in Loop: Header=BB50_12 Depth=1
	v_cvt_f16_f32_e32 v12, v72
	v_add_u32_e32 v0, 6, v50
	v_lshl_add_u64 v[10:11], v[0:1], 1, s[24:25]
	global_store_short v[10:11], v12, off
	s_or_b64 exec, exec, s[40:41]
	v_add_u32_e32 v0, s19, v50
	s_and_saveexec_b64 s[40:41], vcc
	s_cbranch_execz .LBB50_39
.LBB50_65:                              ;   in Loop: Header=BB50_12 Depth=1
	v_cvt_f16_f32_e32 v12, v71
	v_lshl_add_u64 v[10:11], v[0:1], 1, s[24:25]
	global_store_short v[10:11], v12, off
	s_or_b64 exec, exec, s[40:41]
	s_and_saveexec_b64 s[40:41], s[6:7]
	s_cbranch_execz .LBB50_40
.LBB50_66:                              ;   in Loop: Header=BB50_12 Depth=1
	v_cvt_f16_f32_e32 v12, v70
	v_add_u32_e32 v10, 1, v0
	v_mov_b32_e32 v11, v1
	v_lshl_add_u64 v[10:11], v[10:11], 1, s[24:25]
	global_store_short v[10:11], v12, off
	s_or_b64 exec, exec, s[40:41]
	s_and_saveexec_b64 s[40:41], s[8:9]
	s_cbranch_execz .LBB50_41
.LBB50_67:                              ;   in Loop: Header=BB50_12 Depth=1
	v_cvt_f16_f32_e32 v12, v69
	v_add_u32_e32 v10, 2, v0
	v_mov_b32_e32 v11, v1
	v_lshl_add_u64 v[10:11], v[10:11], 1, s[24:25]
	global_store_short v[10:11], v12, off
	s_or_b64 exec, exec, s[40:41]
	s_and_saveexec_b64 s[40:41], s[10:11]
	s_cbranch_execz .LBB50_42
.LBB50_68:                              ;   in Loop: Header=BB50_12 Depth=1
	v_cvt_f16_f32_e32 v12, v68
	v_add_u32_e32 v10, 3, v0
	v_mov_b32_e32 v11, v1
	v_lshl_add_u64 v[10:11], v[10:11], 1, s[24:25]
	global_store_short v[10:11], v12, off
	s_or_b64 exec, exec, s[40:41]
	s_and_saveexec_b64 s[40:41], s[12:13]
	s_cbranch_execz .LBB50_43
.LBB50_69:                              ;   in Loop: Header=BB50_12 Depth=1
	v_cvt_f16_f32_e32 v12, v67
	v_add_u32_e32 v10, 4, v0
	v_mov_b32_e32 v11, v1
	v_lshl_add_u64 v[10:11], v[10:11], 1, s[24:25]
	global_store_short v[10:11], v12, off
	s_or_b64 exec, exec, s[40:41]
	s_and_saveexec_b64 s[40:41], s[14:15]
	s_cbranch_execz .LBB50_44
.LBB50_70:                              ;   in Loop: Header=BB50_12 Depth=1
	v_cvt_f16_f32_e32 v12, v66
	v_add_u32_e32 v10, 5, v0
	v_mov_b32_e32 v11, v1
	v_lshl_add_u64 v[10:11], v[10:11], 1, s[24:25]
	global_store_short v[10:11], v12, off
	s_or_b64 exec, exec, s[40:41]
	s_and_saveexec_b64 s[40:41], s[16:17]
	s_cbranch_execz .LBB50_45
.LBB50_71:                              ;   in Loop: Header=BB50_12 Depth=1
	v_cvt_f16_f32_e32 v12, v65
	v_add_u32_e32 v10, 6, v0
	v_mov_b32_e32 v11, v1
	v_lshl_add_u64 v[10:11], v[10:11], 1, s[24:25]
	global_store_short v[10:11], v12, off
	s_or_b64 exec, exec, s[40:41]
	v_add_u32_e32 v0, s19, v0
	s_and_saveexec_b64 s[40:41], vcc
	s_cbranch_execz .LBB50_46
.LBB50_72:                              ;   in Loop: Header=BB50_12 Depth=1
	v_cvt_f16_f32_e32 v12, v64
	v_lshl_add_u64 v[10:11], v[0:1], 1, s[24:25]
	global_store_short v[10:11], v12, off
	s_or_b64 exec, exec, s[40:41]
	s_and_saveexec_b64 s[40:41], s[6:7]
	s_cbranch_execz .LBB50_47
.LBB50_73:                              ;   in Loop: Header=BB50_12 Depth=1
	v_cvt_f16_f32_e32 v12, v63
	v_add_u32_e32 v10, 1, v0
	v_mov_b32_e32 v11, v1
	v_lshl_add_u64 v[10:11], v[10:11], 1, s[24:25]
	global_store_short v[10:11], v12, off
	s_or_b64 exec, exec, s[40:41]
	s_and_saveexec_b64 s[6:7], s[8:9]
	s_cbranch_execz .LBB50_48
.LBB50_74:                              ;   in Loop: Header=BB50_12 Depth=1
	v_cvt_f16_f32_e32 v12, v62
	v_add_u32_e32 v10, 2, v0
	v_mov_b32_e32 v11, v1
	v_lshl_add_u64 v[10:11], v[10:11], 1, s[24:25]
	global_store_short v[10:11], v12, off
	s_or_b64 exec, exec, s[6:7]
	s_and_saveexec_b64 s[6:7], s[10:11]
	s_cbranch_execz .LBB50_49
.LBB50_75:                              ;   in Loop: Header=BB50_12 Depth=1
	v_cvt_f16_f32_e32 v12, v61
	v_add_u32_e32 v10, 3, v0
	v_mov_b32_e32 v11, v1
	v_lshl_add_u64 v[10:11], v[10:11], 1, s[24:25]
	global_store_short v[10:11], v12, off
	s_or_b64 exec, exec, s[6:7]
	s_and_saveexec_b64 s[6:7], s[12:13]
	s_cbranch_execz .LBB50_50
.LBB50_76:                              ;   in Loop: Header=BB50_12 Depth=1
	v_cvt_f16_f32_e32 v12, v60
	v_add_u32_e32 v10, 4, v0
	v_mov_b32_e32 v11, v1
	v_lshl_add_u64 v[10:11], v[10:11], 1, s[24:25]
	global_store_short v[10:11], v12, off
	s_or_b64 exec, exec, s[6:7]
	s_and_saveexec_b64 s[6:7], s[14:15]
	s_cbranch_execz .LBB50_51
.LBB50_77:                              ;   in Loop: Header=BB50_12 Depth=1
	v_cvt_f16_f32_e32 v12, v59
	v_add_u32_e32 v10, 5, v0
	v_mov_b32_e32 v11, v1
	v_lshl_add_u64 v[10:11], v[10:11], 1, s[24:25]
	global_store_short v[10:11], v12, off
	s_or_b64 exec, exec, s[6:7]
	s_and_b64 exec, exec, s[16:17]
	s_cbranch_execnz .LBB50_52
	s_branch .LBB50_53
.LBB50_78:
	s_endpgm
	.section	.rodata,"a",@progbits
	.p2align	6, 0x0
	.amdhsa_kernel _ZN5aiter16wvSplitK_hf_big_I6__halfLi64ELi7ELi16ELi8ELi1ELi3EEEviiPKT_S4_PS2_ii
		.amdhsa_group_segment_fixed_size 65536
		.amdhsa_private_segment_fixed_size 0
		.amdhsa_kernarg_size 40
		.amdhsa_user_sgpr_count 2
		.amdhsa_user_sgpr_dispatch_ptr 0
		.amdhsa_user_sgpr_queue_ptr 0
		.amdhsa_user_sgpr_kernarg_segment_ptr 1
		.amdhsa_user_sgpr_dispatch_id 0
		.amdhsa_user_sgpr_kernarg_preload_length 0
		.amdhsa_user_sgpr_kernarg_preload_offset 0
		.amdhsa_user_sgpr_private_segment_size 0
		.amdhsa_uses_dynamic_stack 0
		.amdhsa_enable_private_segment 0
		.amdhsa_system_sgpr_workgroup_id_x 1
		.amdhsa_system_sgpr_workgroup_id_y 0
		.amdhsa_system_sgpr_workgroup_id_z 0
		.amdhsa_system_sgpr_workgroup_info 0
		.amdhsa_system_vgpr_workitem_id 1
		.amdhsa_next_free_vgpr 79
		.amdhsa_next_free_sgpr 48
		.amdhsa_accum_offset 80
		.amdhsa_reserve_vcc 1
		.amdhsa_float_round_mode_32 0
		.amdhsa_float_round_mode_16_64 0
		.amdhsa_float_denorm_mode_32 3
		.amdhsa_float_denorm_mode_16_64 3
		.amdhsa_dx10_clamp 1
		.amdhsa_ieee_mode 1
		.amdhsa_fp16_overflow 0
		.amdhsa_tg_split 0
		.amdhsa_exception_fp_ieee_invalid_op 0
		.amdhsa_exception_fp_denorm_src 0
		.amdhsa_exception_fp_ieee_div_zero 0
		.amdhsa_exception_fp_ieee_overflow 0
		.amdhsa_exception_fp_ieee_underflow 0
		.amdhsa_exception_fp_ieee_inexact 0
		.amdhsa_exception_int_div_zero 0
	.end_amdhsa_kernel
	.section	.text._ZN5aiter16wvSplitK_hf_big_I6__halfLi64ELi7ELi16ELi8ELi1ELi3EEEviiPKT_S4_PS2_ii,"axG",@progbits,_ZN5aiter16wvSplitK_hf_big_I6__halfLi64ELi7ELi16ELi8ELi1ELi3EEEviiPKT_S4_PS2_ii,comdat
.Lfunc_end50:
	.size	_ZN5aiter16wvSplitK_hf_big_I6__halfLi64ELi7ELi16ELi8ELi1ELi3EEEviiPKT_S4_PS2_ii, .Lfunc_end50-_ZN5aiter16wvSplitK_hf_big_I6__halfLi64ELi7ELi16ELi8ELi1ELi3EEEviiPKT_S4_PS2_ii
                                        ; -- End function
	.section	.AMDGPU.csdata,"",@progbits
; Kernel info:
; codeLenInByte = 5568
; NumSgprs: 54
; NumVgprs: 79
; NumAgprs: 0
; TotalNumVgprs: 79
; ScratchSize: 0
; MemoryBound: 0
; FloatMode: 240
; IeeeMode: 1
; LDSByteSize: 65536 bytes/workgroup (compile time only)
; SGPRBlocks: 6
; VGPRBlocks: 9
; NumSGPRsForWavesPerEU: 54
; NumVGPRsForWavesPerEU: 79
; AccumOffset: 80
; Occupancy: 4
; WaveLimiterHint : 0
; COMPUTE_PGM_RSRC2:SCRATCH_EN: 0
; COMPUTE_PGM_RSRC2:USER_SGPR: 2
; COMPUTE_PGM_RSRC2:TRAP_HANDLER: 0
; COMPUTE_PGM_RSRC2:TGID_X_EN: 1
; COMPUTE_PGM_RSRC2:TGID_Y_EN: 0
; COMPUTE_PGM_RSRC2:TGID_Z_EN: 0
; COMPUTE_PGM_RSRC2:TIDIG_COMP_CNT: 1
; COMPUTE_PGM_RSRC3_GFX90A:ACCUM_OFFSET: 19
; COMPUTE_PGM_RSRC3_GFX90A:TG_SPLIT: 0
	.section	.text._ZN5aiter16wvSplitK_hf_sml_I6__halfLi64ELi4ELi16ELi8ELi1ELi4EEEviiPKT_S4_PS2_ii,"axG",@progbits,_ZN5aiter16wvSplitK_hf_sml_I6__halfLi64ELi4ELi16ELi8ELi1ELi4EEEviiPKT_S4_PS2_ii,comdat
	.protected	_ZN5aiter16wvSplitK_hf_sml_I6__halfLi64ELi4ELi16ELi8ELi1ELi4EEEviiPKT_S4_PS2_ii ; -- Begin function _ZN5aiter16wvSplitK_hf_sml_I6__halfLi64ELi4ELi16ELi8ELi1ELi4EEEviiPKT_S4_PS2_ii
	.globl	_ZN5aiter16wvSplitK_hf_sml_I6__halfLi64ELi4ELi16ELi8ELi1ELi4EEEviiPKT_S4_PS2_ii
	.p2align	8
	.type	_ZN5aiter16wvSplitK_hf_sml_I6__halfLi64ELi4ELi16ELi8ELi1ELi4EEEviiPKT_S4_PS2_ii,@function
_ZN5aiter16wvSplitK_hf_sml_I6__halfLi64ELi4ELi16ELi8ELi1ELi4EEEviiPKT_S4_PS2_ii: ; @_ZN5aiter16wvSplitK_hf_sml_I6__halfLi64ELi4ELi16ELi8ELi1ELi4EEEviiPKT_S4_PS2_ii
; %bb.0:
	s_load_dwordx2 s[4:5], s[0:1], 0x0
	v_and_b32_e32 v2, 0x3ff, v0
	v_bfe_u32 v3, v0, 10, 10
	v_lshlrev_b32_e32 v36, 3, v2
	s_mov_b32 s3, 0
	s_waitcnt lgkmcnt(0)
	s_lshl_b32 s18, s4, 2
	s_cmp_lg_u32 s4, 0
	s_cselect_b64 s[16:17], -1, 0
	s_cmp_eq_u32 s4, 0
	s_cbranch_scc1 .LBB51_6
; %bb.1:
	s_load_dwordx2 s[6:7], s[0:1], 0x10
	v_lshlrev_b32_e32 v0, 4, v2
	s_min_i32 s14, s18, 0x8000
	v_lshl_add_u32 v4, v3, 10, v0
	v_lshl_add_u32 v5, v3, 9, v36
	s_mov_b64 s[8:9], 0
	v_mov_b32_e32 v1, 0
                                        ; implicit-def: $sgpr10_sgpr11
	s_branch .LBB51_3
.LBB51_2:                               ;   in Loop: Header=BB51_3 Depth=1
	s_or_b64 exec, exec, s[12:13]
	s_and_b64 s[12:13], exec, s[10:11]
	s_or_b64 s[8:9], s[12:13], s[8:9]
	s_andn2_b64 exec, exec, s[8:9]
	s_cbranch_execz .LBB51_5
.LBB51_3:                               ; =>This Inner Loop Header: Depth=1
	v_add_u32_e32 v0, s3, v5
	v_cmp_gt_u32_e32 vcc, s14, v0
	s_or_b64 s[10:11], s[10:11], exec
	s_and_saveexec_b64 s[12:13], vcc
	s_cbranch_execz .LBB51_2
; %bb.4:                                ;   in Loop: Header=BB51_3 Depth=1
	s_waitcnt lgkmcnt(0)
	v_lshl_add_u64 v[6:7], v[0:1], 1, s[6:7]
	global_load_dwordx4 v[6:9], v[6:7], off
	s_addk_i32 s3, 0x2000
	s_cmp_ge_u32 s3, s14
	s_cselect_b64 s[20:21], -1, 0
	s_andn2_b64 s[10:11], s[10:11], exec
	s_and_b64 s[20:21], s[20:21], exec
	s_or_b64 s[10:11], s[10:11], s[20:21]
	s_waitcnt vmcnt(0)
	ds_write_b128 v4, v[6:9]
	v_add_u32_e32 v4, 0x4000, v4
	s_branch .LBB51_2
.LBB51_5:
	s_or_b64 exec, exec, s[8:9]
.LBB51_6:
	s_load_dwordx2 s[10:11], s[0:1], 0x20
	s_waitcnt lgkmcnt(0)
	s_barrier
	v_cmp_gt_u32_e32 vcc, s10, v3
	s_and_saveexec_b64 s[6:7], vcc
	s_cbranch_execz .LBB51_17
; %bb.7:
	s_mul_i32 s2, s2, s10
	v_add_u32_e32 v0, s2, v3
	v_lshlrev_b32_e32 v28, 2, v0
	v_cmp_gt_u32_e32 vcc, s5, v28
	s_and_b64 exec, exec, vcc
	s_cbranch_execz .LBB51_17
; %bb.8:
	s_load_dwordx2 s[6:7], s[0:1], 0x8
	s_load_dwordx2 s[8:9], s[0:1], 0x18
	s_mul_i32 s2, s10, s11
	v_mul_lo_u32 v0, s4, v0
	s_ashr_i32 s11, s4, 31
	s_mov_b32 s10, s4
	s_lshl_b32 s19, s2, 2
	v_lshl_add_u32 v38, v0, 2, v36
	s_mul_i32 s2, s2, s4
	v_cndmask_b32_e64 v0, 0, 1, s[16:17]
	v_cmp_eq_u32_e64 s[0:1], 63, v2
	s_lshl_b64 s[12:13], s[10:11], 1
	s_mul_i32 s20, s4, 6
	v_lshlrev_b32_e32 v37, 4, v2
	s_lshl_b32 s21, s4, 1
	s_lshl_b32 s22, s2, 2
	s_mov_b64 s[14:15], 0
	v_cmp_ne_u32_e64 s[2:3], 1, v0
	v_mov_b32_e32 v31, 0
	s_branch .LBB51_10
.LBB51_9:                               ;   in Loop: Header=BB51_10 Depth=1
	s_or_b64 exec, exec, s[16:17]
	v_add_u32_e32 v28, s19, v28
	v_cmp_le_u32_e32 vcc, s5, v28
	s_or_b64 s[14:15], vcc, s[14:15]
	v_add_u32_e32 v38, s22, v38
	s_andn2_b64 exec, exec, s[14:15]
	s_cbranch_execz .LBB51_17
.LBB51_10:                              ; =>This Loop Header: Depth=1
                                        ;     Child Loop BB51_13 Depth 2
	s_mov_b32 s23, 0
	s_and_b64 vcc, exec, s[2:3]
	v_mov_b32_e32 v39, v31
	v_mov_b32_e32 v40, v31
	v_mov_b32_e32 v41, v31
	v_mov_b32_e32 v42, v31
	v_mov_b32_e32 v43, v31
	v_mov_b32_e32 v44, v31
	v_mov_b32_e32 v45, v31
	v_mov_b32_e32 v46, v31
	v_mov_b32_e32 v47, v31
	v_mov_b32_e32 v48, v31
	v_mov_b32_e32 v49, v31
	v_mov_b32_e32 v50, v31
	v_mov_b32_e32 v51, v31
	v_mov_b32_e32 v52, v31
	v_mov_b32_e32 v29, v31
	v_mov_b32_e32 v53, v31
	s_cbranch_vccnz .LBB51_15
; %bb.11:                               ;   in Loop: Header=BB51_10 Depth=1
	v_mov_b32_e32 v53, 0
	v_mov_b32_e32 v54, v37
	;; [unrolled: 1-line block ×17, first 2 shown]
	s_branch .LBB51_13
.LBB51_12:                              ;   in Loop: Header=BB51_13 Depth=2
	s_or_b64 exec, exec, s[16:17]
	s_addk_i32 s23, 0x200
	s_cmp_ge_u32 s23, s4
	v_add_u32_e32 v54, 0x400, v54
	s_cbranch_scc1 .LBB51_15
.LBB51_13:                              ;   Parent Loop BB51_10 Depth=1
                                        ; =>  This Inner Loop Header: Depth=2
	v_add_u32_e32 v0, s23, v36
	v_cmp_gt_u32_e32 vcc, s4, v0
	s_and_saveexec_b64 s[16:17], vcc
	s_cbranch_execz .LBB51_12
; %bb.14:                               ;   in Loop: Header=BB51_13 Depth=2
	v_add_u32_e32 v30, s23, v38
	s_waitcnt lgkmcnt(0)
	v_lshl_add_u64 v[0:1], v[30:31], 1, s[6:7]
	global_load_dwordx4 v[24:27], v[0:1], off nt
	v_lshl_add_u64 v[0:1], s[10:11], 1, v[0:1]
	global_load_dwordx4 v[12:15], v[0:1], off nt
	;; [unrolled: 2-line block ×3, first 2 shown]
	v_lshl_add_u64 v[0:1], v[0:1], 0, s[12:13]
	v_add_u32_e32 v16, s21, v54
	v_add_u32_e32 v17, s20, v54
	global_load_dwordx4 v[0:3], v[0:1], off nt
	ds_read_b128 v[8:11], v54
	v_add_u32_e32 v30, s18, v54
	ds_read_b128 v[20:23], v16
	ds_read2_b32 v[34:35], v30 offset1:1
	ds_read_b128 v[16:19], v17
	ds_read2_b32 v[32:33], v30 offset0:2 offset1:3
	s_waitcnt vmcnt(3) lgkmcnt(4)
	;;#ASMSTART
	v_dot2c_f32_f16 v53, v8, v24
	;;#ASMEND
	s_waitcnt lgkmcnt(3)
	;;#ASMSTART
	v_dot2c_f32_f16 v50, v20, v24
	;;#ASMEND
	s_waitcnt lgkmcnt(2)
	;; [unrolled: 4-line block ×3, first 2 shown]
	;;#ASMSTART
	v_dot2c_f32_f16 v42, v16, v24
	;;#ASMEND
	s_waitcnt vmcnt(2)
	;;#ASMSTART
	v_dot2c_f32_f16 v29, v8, v12
	;;#ASMEND
	;;#ASMSTART
	v_dot2c_f32_f16 v49, v20, v12
	;;#ASMEND
	;;#ASMSTART
	v_dot2c_f32_f16 v45, v34, v12
	;;#ASMEND
	;;#ASMSTART
	v_dot2c_f32_f16 v41, v16, v12
	;;#ASMEND
	s_waitcnt vmcnt(1)
	;;#ASMSTART
	v_dot2c_f32_f16 v52, v8, v4
	;;#ASMEND
	;;#ASMSTART
	v_dot2c_f32_f16 v48, v20, v4
	;;#ASMEND
	;;#ASMSTART
	v_dot2c_f32_f16 v44, v34, v4
	;;#ASMEND
	;; [unrolled: 13-line block ×3, first 2 shown]
	;;#ASMSTART
	v_dot2c_f32_f16 v39, v16, v0
	;;#ASMEND
	;;#ASMSTART
	v_dot2c_f32_f16 v53, v9, v25
	;;#ASMEND
	;;#ASMSTART
	v_dot2c_f32_f16 v50, v21, v25
	;;#ASMEND
	;;#ASMSTART
	v_dot2c_f32_f16 v46, v35, v25
	;;#ASMEND
	;;#ASMSTART
	v_dot2c_f32_f16 v42, v17, v25
	;;#ASMEND
	;;#ASMSTART
	v_dot2c_f32_f16 v29, v9, v13
	;;#ASMEND
	;;#ASMSTART
	v_dot2c_f32_f16 v49, v21, v13
	;;#ASMEND
	;;#ASMSTART
	v_dot2c_f32_f16 v45, v35, v13
	;;#ASMEND
	;;#ASMSTART
	v_dot2c_f32_f16 v41, v17, v13
	;;#ASMEND
	;;#ASMSTART
	v_dot2c_f32_f16 v52, v9, v5
	;;#ASMEND
	;;#ASMSTART
	v_dot2c_f32_f16 v48, v21, v5
	;;#ASMEND
	;;#ASMSTART
	v_dot2c_f32_f16 v44, v35, v5
	;;#ASMEND
	;;#ASMSTART
	v_dot2c_f32_f16 v40, v17, v5
	;;#ASMEND
	s_nop 0
	;;#ASMSTART
	v_dot2c_f32_f16 v51, v9, v1
	;;#ASMEND
	;;#ASMSTART
	v_dot2c_f32_f16 v47, v21, v1
	;;#ASMEND
	;; [unrolled: 3-line block ×6, first 2 shown]
	s_waitcnt lgkmcnt(0)
	;;#ASMSTART
	v_dot2c_f32_f16 v46, v32, v26
	;;#ASMEND
	;;#ASMSTART
	v_dot2c_f32_f16 v42, v18, v26
	;;#ASMEND
	;; [unrolled: 3-line block ×16, first 2 shown]
	s_nop 0
	;;#ASMSTART
	v_dot2c_f32_f16 v46, v33, v27
	;;#ASMEND
	;;#ASMSTART
	v_dot2c_f32_f16 v42, v19, v27
	;;#ASMEND
	;; [unrolled: 3-line block ×14, first 2 shown]
	s_branch .LBB51_12
.LBB51_15:                              ;   in Loop: Header=BB51_10 Depth=1
	;;#ASMSTART
	s_nop 0
	v_add_f32 v53, v53, v53 row_shr:8 bound_ctrl:0 
	;;#ASMEND
	;;#ASMSTART
	s_nop 0
	v_add_f32 v29, v29, v29 row_shr:8 bound_ctrl:0 
	;;#ASMEND
	;; [unrolled: 4-line block ×16, first 2 shown]
	s_nop 0
	;;#ASMSTART
	s_nop 0
	v_add_f32 v53, v53, v53 row_shr:4 bound_ctrl:0 
	;;#ASMEND
	;;#ASMSTART
	s_nop 0
	v_add_f32 v29, v29, v29 row_shr:4 bound_ctrl:0 
	;;#ASMEND
	;; [unrolled: 4-line block ×16, first 2 shown]
	s_nop 0
	;;#ASMSTART
	s_nop 0
	v_add_f32 v53, v53, v53 row_shr:2 bound_ctrl:0 
	;;#ASMEND
	;;#ASMSTART
	s_nop 0
	v_add_f32 v29, v29, v29 row_shr:2 bound_ctrl:0 
	;;#ASMEND
	;; [unrolled: 4-line block ×16, first 2 shown]
	s_nop 0
	;;#ASMSTART
	s_nop 0
	v_add_f32 v53, v53, v53 wave_shr:1 bound_ctrl:0
	;;#ASMEND
	;;#ASMSTART
	s_nop 0
	v_add_f32 v29, v29, v29 wave_shr:1 bound_ctrl:0
	;;#ASMEND
	;; [unrolled: 4-line block ×16, first 2 shown]
	s_nop 0
	;;#ASMSTART
	s_nop 0
	v_add_f32 v53, v53, v53 row_bcast:15 bound_ctrl:0
	;;#ASMEND
	;;#ASMSTART
	s_nop 0
	v_add_f32 v29, v29, v29 row_bcast:15 bound_ctrl:0
	;;#ASMEND
	;; [unrolled: 4-line block ×16, first 2 shown]
	s_nop 0
	;;#ASMSTART
	s_nop 0
	v_add_f32 v53, v53, v53 row_bcast:31 bound_ctrl:0
	;;#ASMEND
	;;#ASMSTART
	s_nop 0
	v_add_f32 v29, v29, v29 row_bcast:31 bound_ctrl:0
	;;#ASMEND
	;; [unrolled: 4-line block ×16, first 2 shown]
	s_and_saveexec_b64 s[16:17], s[0:1]
	s_cbranch_execz .LBB51_9
; %bb.16:                               ;   in Loop: Header=BB51_10 Depth=1
	v_cvt_f16_f32_e32 v3, v52
	v_cvt_f16_f32_e32 v4, v51
	;; [unrolled: 1-line block ×4, first 2 shown]
	v_mov_b32_e32 v29, v31
	v_pack_b32_f16 v3, v3, v4
	v_cvt_f16_f32_e32 v4, v50
	s_waitcnt lgkmcnt(0)
	v_lshl_add_u64 v[0:1], v[28:29], 1, s[8:9]
	v_pack_b32_f16 v2, v2, v5
	global_store_dwordx2 v[0:1], v[2:3], off
	v_add_u32_e32 v30, s5, v28
	v_cvt_f16_f32_e32 v2, v49
	v_lshl_add_u64 v[0:1], v[30:31], 1, s[8:9]
	global_store_short v[0:1], v4, off
	v_add_u32_e32 v0, 1, v30
	v_mov_b32_e32 v1, v31
	v_lshl_add_u64 v[0:1], v[0:1], 1, s[8:9]
	global_store_short v[0:1], v2, off
	v_cvt_f16_f32_e32 v2, v48
	v_add_u32_e32 v0, 2, v30
	v_mov_b32_e32 v1, v31
	v_lshl_add_u64 v[0:1], v[0:1], 1, s[8:9]
	global_store_short v[0:1], v2, off
	v_cvt_f16_f32_e32 v2, v47
	v_cvt_f16_f32_e32 v3, v46
	;; [unrolled: 1-line block ×3, first 2 shown]
	v_add_u32_e32 v0, 3, v30
	v_mov_b32_e32 v1, v31
	v_lshl_add_u64 v[0:1], v[0:1], 1, s[8:9]
	v_add_u32_e32 v30, s5, v30
	global_store_short v[0:1], v2, off
	v_lshl_add_u64 v[0:1], v[30:31], 1, s[8:9]
	v_pack_b32_f16 v2, v3, v4
	global_store_dword v[0:1], v2, off
	v_cvt_f16_f32_e32 v2, v44
	v_add_u32_e32 v0, 2, v30
	v_mov_b32_e32 v1, v31
	v_lshl_add_u64 v[0:1], v[0:1], 1, s[8:9]
	global_store_short v[0:1], v2, off
	v_cvt_f16_f32_e32 v2, v43
	v_add_u32_e32 v0, 3, v30
	v_mov_b32_e32 v1, v31
	v_cvt_f16_f32_e32 v3, v42
	v_lshl_add_u64 v[0:1], v[0:1], 1, s[8:9]
	global_store_short v[0:1], v2, off
	v_add_u32_e32 v30, s5, v30
	v_cvt_f16_f32_e32 v2, v41
	v_lshl_add_u64 v[0:1], v[30:31], 1, s[8:9]
	global_store_short v[0:1], v3, off
	v_add_u32_e32 v0, 1, v30
	v_mov_b32_e32 v1, v31
	v_lshl_add_u64 v[0:1], v[0:1], 1, s[8:9]
	global_store_short v[0:1], v2, off
	v_cvt_f16_f32_e32 v2, v40
	v_cvt_f16_f32_e32 v3, v39
	v_add_u32_e32 v0, 2, v30
	v_mov_b32_e32 v1, v31
	v_lshl_add_u64 v[0:1], v[0:1], 1, s[8:9]
	v_add_u32_e32 v30, 3, v30
	global_store_short v[0:1], v2, off
	v_lshl_add_u64 v[0:1], v[30:31], 1, s[8:9]
	global_store_short v[0:1], v3, off
	s_branch .LBB51_9
.LBB51_17:
	s_endpgm
	.section	.rodata,"a",@progbits
	.p2align	6, 0x0
	.amdhsa_kernel _ZN5aiter16wvSplitK_hf_sml_I6__halfLi64ELi4ELi16ELi8ELi1ELi4EEEviiPKT_S4_PS2_ii
		.amdhsa_group_segment_fixed_size 65536
		.amdhsa_private_segment_fixed_size 0
		.amdhsa_kernarg_size 40
		.amdhsa_user_sgpr_count 2
		.amdhsa_user_sgpr_dispatch_ptr 0
		.amdhsa_user_sgpr_queue_ptr 0
		.amdhsa_user_sgpr_kernarg_segment_ptr 1
		.amdhsa_user_sgpr_dispatch_id 0
		.amdhsa_user_sgpr_kernarg_preload_length 0
		.amdhsa_user_sgpr_kernarg_preload_offset 0
		.amdhsa_user_sgpr_private_segment_size 0
		.amdhsa_uses_dynamic_stack 0
		.amdhsa_enable_private_segment 0
		.amdhsa_system_sgpr_workgroup_id_x 1
		.amdhsa_system_sgpr_workgroup_id_y 0
		.amdhsa_system_sgpr_workgroup_id_z 0
		.amdhsa_system_sgpr_workgroup_info 0
		.amdhsa_system_vgpr_workitem_id 1
		.amdhsa_next_free_vgpr 55
		.amdhsa_next_free_sgpr 24
		.amdhsa_accum_offset 56
		.amdhsa_reserve_vcc 1
		.amdhsa_float_round_mode_32 0
		.amdhsa_float_round_mode_16_64 0
		.amdhsa_float_denorm_mode_32 3
		.amdhsa_float_denorm_mode_16_64 3
		.amdhsa_dx10_clamp 1
		.amdhsa_ieee_mode 1
		.amdhsa_fp16_overflow 0
		.amdhsa_tg_split 0
		.amdhsa_exception_fp_ieee_invalid_op 0
		.amdhsa_exception_fp_denorm_src 0
		.amdhsa_exception_fp_ieee_div_zero 0
		.amdhsa_exception_fp_ieee_overflow 0
		.amdhsa_exception_fp_ieee_underflow 0
		.amdhsa_exception_fp_ieee_inexact 0
		.amdhsa_exception_int_div_zero 0
	.end_amdhsa_kernel
	.section	.text._ZN5aiter16wvSplitK_hf_sml_I6__halfLi64ELi4ELi16ELi8ELi1ELi4EEEviiPKT_S4_PS2_ii,"axG",@progbits,_ZN5aiter16wvSplitK_hf_sml_I6__halfLi64ELi4ELi16ELi8ELi1ELi4EEEviiPKT_S4_PS2_ii,comdat
.Lfunc_end51:
	.size	_ZN5aiter16wvSplitK_hf_sml_I6__halfLi64ELi4ELi16ELi8ELi1ELi4EEEviiPKT_S4_PS2_ii, .Lfunc_end51-_ZN5aiter16wvSplitK_hf_sml_I6__halfLi64ELi4ELi16ELi8ELi1ELi4EEEviiPKT_S4_PS2_ii
                                        ; -- End function
	.section	.AMDGPU.csdata,"",@progbits
; Kernel info:
; codeLenInByte = 3204
; NumSgprs: 30
; NumVgprs: 55
; NumAgprs: 0
; TotalNumVgprs: 55
; ScratchSize: 0
; MemoryBound: 0
; FloatMode: 240
; IeeeMode: 1
; LDSByteSize: 65536 bytes/workgroup (compile time only)
; SGPRBlocks: 3
; VGPRBlocks: 6
; NumSGPRsForWavesPerEU: 30
; NumVGPRsForWavesPerEU: 55
; AccumOffset: 56
; Occupancy: 4
; WaveLimiterHint : 0
; COMPUTE_PGM_RSRC2:SCRATCH_EN: 0
; COMPUTE_PGM_RSRC2:USER_SGPR: 2
; COMPUTE_PGM_RSRC2:TRAP_HANDLER: 0
; COMPUTE_PGM_RSRC2:TGID_X_EN: 1
; COMPUTE_PGM_RSRC2:TGID_Y_EN: 0
; COMPUTE_PGM_RSRC2:TGID_Z_EN: 0
; COMPUTE_PGM_RSRC2:TIDIG_COMP_CNT: 1
; COMPUTE_PGM_RSRC3_GFX90A:ACCUM_OFFSET: 13
; COMPUTE_PGM_RSRC3_GFX90A:TG_SPLIT: 0
	.section	.text._ZN5aiter12wvSplitK_hf_I6__halfLi64ELi7ELi16ELi8ELi1ELi4EEEviiPKT_S4_PS2_ii,"axG",@progbits,_ZN5aiter12wvSplitK_hf_I6__halfLi64ELi7ELi16ELi8ELi1ELi4EEEviiPKT_S4_PS2_ii,comdat
	.protected	_ZN5aiter12wvSplitK_hf_I6__halfLi64ELi7ELi16ELi8ELi1ELi4EEEviiPKT_S4_PS2_ii ; -- Begin function _ZN5aiter12wvSplitK_hf_I6__halfLi64ELi7ELi16ELi8ELi1ELi4EEEviiPKT_S4_PS2_ii
	.globl	_ZN5aiter12wvSplitK_hf_I6__halfLi64ELi7ELi16ELi8ELi1ELi4EEEviiPKT_S4_PS2_ii
	.p2align	8
	.type	_ZN5aiter12wvSplitK_hf_I6__halfLi64ELi7ELi16ELi8ELi1ELi4EEEviiPKT_S4_PS2_ii,@function
_ZN5aiter12wvSplitK_hf_I6__halfLi64ELi7ELi16ELi8ELi1ELi4EEEviiPKT_S4_PS2_ii: ; @_ZN5aiter12wvSplitK_hf_I6__halfLi64ELi7ELi16ELi8ELi1ELi4EEEviiPKT_S4_PS2_ii
; %bb.0:
	s_load_dwordx2 s[12:13], s[0:1], 0x20
	s_load_dwordx2 s[16:17], s[0:1], 0x0
	;; [unrolled: 1-line block ×3, first 2 shown]
	v_bfe_u32 v9, v0, 10, 10
	s_mov_b32 s4, 1
	s_waitcnt lgkmcnt(0)
	s_mul_i32 s2, s2, s12
	v_add_u32_e32 v1, s2, v9
	v_mul_lo_u32 v54, v1, 7
	v_add_u32_e32 v1, 7, v54
	v_cmp_gt_u32_e32 vcc, s17, v54
	v_cmp_le_u32_e64 s[2:3], s17, v1
	s_mov_b32 s5, s4
	s_mov_b32 s6, s4
	;; [unrolled: 1-line block ×6, first 2 shown]
	v_mov_b32_e32 v2, s4
	s_and_b64 s[14:15], vcc, s[2:3]
	v_mov_b32_e32 v3, s5
	v_mov_b32_e32 v4, s6
	;; [unrolled: 1-line block ×6, first 2 shown]
	s_and_saveexec_b64 s[2:3], s[14:15]
	s_cbranch_execz .LBB52_6
; %bb.1:
	s_add_i32 s11, s17, -7
	v_mov_b32_e32 v2, s4
	v_cmp_ne_u32_e32 vcc, s11, v54
	v_mov_b32_e32 v3, s5
	v_mov_b32_e32 v4, s6
	;; [unrolled: 1-line block ×6, first 2 shown]
	s_and_saveexec_b64 s[14:15], vcc
	s_cbranch_execz .LBB52_5
; %bb.2:
	v_subrev_u32_e32 v1, s11, v54
	v_cmp_lt_u32_e32 vcc, 1, v1
	s_mov_b64 s[20:21], 0
	s_mov_b64 s[22:23], 0
	v_cndmask_b32_e32 v10, 1, v1, vcc
	s_mov_b32 s5, s4
	s_mov_b32 s6, s4
	;; [unrolled: 1-line block ×6, first 2 shown]
.LBB52_3:                               ; =>This Inner Loop Header: Depth=1
	s_cmp_lg_u32 s22, 6
	s_cselect_b32 s10, s10, 0
	s_cmp_lg_u32 s22, 5
	s_cselect_b32 s9, s9, 0
	;; [unrolled: 2-line block ×7, first 2 shown]
	s_add_u32 s22, s22, 1
	s_addc_u32 s23, s23, 0
	v_cmp_eq_u32_e32 vcc, s22, v10
	v_mov_b32_e32 v2, s4
	s_or_b64 s[20:21], vcc, s[20:21]
	v_mov_b32_e32 v3, s5
	v_mov_b32_e32 v4, s6
	;; [unrolled: 1-line block ×6, first 2 shown]
	s_andn2_b64 exec, exec, s[20:21]
	s_cbranch_execnz .LBB52_3
; %bb.4:
	s_or_b64 exec, exec, s[20:21]
	v_mov_b32_e32 v54, s11
.LBB52_5:
	s_or_b64 exec, exec, s[14:15]
.LBB52_6:
	s_or_b64 exec, exec, s[2:3]
	s_lshl_b32 s33, s16, 2
	v_and_b32_e32 v12, 0x3ff, v0
	s_cmp_lg_u32 s16, 0
	v_lshlrev_b32_e32 v0, 3, v12
	s_mov_b32 s10, 0
	s_cselect_b64 s[4:5], -1, 0
	s_cmp_eq_u32 s16, 0
	v_lshlrev_b32_e32 v1, 4, v12
	s_cbranch_scc1 .LBB52_12
; %bb.7:
	v_lshlrev_b32_e32 v10, 4, v12
	s_min_i32 s11, s33, 0x8000
	v_lshl_add_u32 v13, v9, 10, v10
	v_lshl_add_u32 v14, v9, 9, v0
	s_mov_b64 s[2:3], 0
	v_mov_b32_e32 v11, 0
                                        ; implicit-def: $sgpr6_sgpr7
	s_branch .LBB52_9
.LBB52_8:                               ;   in Loop: Header=BB52_9 Depth=1
	s_or_b64 exec, exec, s[8:9]
	s_and_b64 s[8:9], exec, s[6:7]
	s_or_b64 s[2:3], s[8:9], s[2:3]
	s_andn2_b64 exec, exec, s[2:3]
	s_cbranch_execz .LBB52_11
.LBB52_9:                               ; =>This Inner Loop Header: Depth=1
	v_add_u32_e32 v10, s10, v14
	v_cmp_gt_u32_e32 vcc, s11, v10
	s_or_b64 s[6:7], s[6:7], exec
	s_and_saveexec_b64 s[8:9], vcc
	s_cbranch_execz .LBB52_8
; %bb.10:                               ;   in Loop: Header=BB52_9 Depth=1
	v_lshl_add_u64 v[16:17], v[10:11], 1, s[18:19]
	global_load_dwordx4 v[16:19], v[16:17], off
	s_addk_i32 s10, 0x2000
	s_cmp_ge_u32 s10, s11
	s_cselect_b64 s[14:15], -1, 0
	s_andn2_b64 s[6:7], s[6:7], exec
	s_and_b64 s[14:15], s[14:15], exec
	s_or_b64 s[6:7], s[6:7], s[14:15]
	s_waitcnt vmcnt(0)
	ds_write_b128 v13, v[16:19]
	v_add_u32_e32 v13, 0x4000, v13
	s_branch .LBB52_8
.LBB52_11:
	s_or_b64 exec, exec, s[2:3]
.LBB52_12:
	v_cmp_gt_u32_e32 vcc, s12, v9
	v_cmp_gt_u32_e64 s[2:3], s17, v54
	s_and_b64 s[2:3], vcc, s[2:3]
	s_waitcnt lgkmcnt(0)
	s_barrier
	s_and_saveexec_b64 s[6:7], s[2:3]
	s_cbranch_execz .LBB52_108
; %bb.13:
	s_load_dwordx2 s[20:21], s[0:1], 0x8
	s_load_dwordx2 s[22:23], s[0:1], 0x18
	s_mul_i32 s36, s12, s13
	s_ashr_i32 s25, s16, 31
	s_mov_b32 s24, s16
	s_lshl_b32 s38, s16, 1
	v_mad_u64_u32 v[56:57], s[2:3], s16, 3, v[0:1]
	v_cndmask_b32_e64 v10, 0, 1, s[4:5]
	v_cmp_eq_u32_e64 s[0:1], 63, v12
	s_mul_i32 s36, s36, 7
	s_add_i32 s37, s17, -7
	s_lshl_b64 s[26:27], s[24:25], 1
	v_add_u32_e32 v9, s38, v0
	s_mul_i32 s39, s16, 6
	v_add_u32_e32 v57, s16, v0
	s_mov_b64 s[28:29], 0
	v_cmp_ne_u32_e64 s[2:3], 1, v10
	v_mov_b32_e32 v59, 0
	s_movk_i32 s40, 0x7fff
                                        ; implicit-def: $vgpr34_vgpr35_vgpr36_vgpr37
                                        ; implicit-def: $vgpr30_vgpr31_vgpr32_vgpr33
                                        ; implicit-def: $vgpr26_vgpr27_vgpr28_vgpr29
                                        ; implicit-def: $vgpr22_vgpr23_vgpr24_vgpr25
                                        ; implicit-def: $vgpr18_vgpr19_vgpr20_vgpr21
                                        ; implicit-def: $vgpr14_vgpr15_vgpr16_vgpr17
                                        ; implicit-def: $vgpr10_vgpr11_vgpr12_vgpr13
                                        ; implicit-def: $vgpr40_vgpr41
                                        ; implicit-def: $vgpr44_vgpr45
                                        ; implicit-def: $vgpr48_vgpr49
                                        ; implicit-def: $vgpr52_vgpr53
	s_branch .LBB52_16
.LBB52_14:                              ;   in Loop: Header=BB52_16 Depth=1
	s_or_b64 exec, exec, s[8:9]
	v_mov_b32_e32 v54, s37
.LBB52_15:                              ;   in Loop: Header=BB52_16 Depth=1
	s_or_b64 exec, exec, s[6:7]
	v_cmp_le_u32_e32 vcc, s17, v54
	s_or_b64 s[28:29], vcc, s[28:29]
	s_andn2_b64 exec, exec, s[28:29]
	s_cbranch_execz .LBB52_108
.LBB52_16:                              ; =>This Loop Header: Depth=1
                                        ;     Child Loop BB52_19 Depth 2
                                        ;     Child Loop BB52_79 Depth 2
	s_and_b64 vcc, exec, s[2:3]
	s_mov_b32 s8, 0
	s_cbranch_vccnz .LBB52_45
; %bb.17:                               ;   in Loop: Header=BB52_16 Depth=1
	v_mad_u64_u32 v[60:61], s[4:5], v54, s16, v[0:1]
	v_mov_b32_e32 v61, 0
	v_mov_b32_e32 v90, v1
	;; [unrolled: 1-line block ×29, first 2 shown]
	s_branch .LBB52_19
.LBB52_18:                              ;   in Loop: Header=BB52_19 Depth=2
	s_or_b64 exec, exec, s[4:5]
	s_addk_i32 s8, 0x200
	s_cmp_ge_u32 s8, s16
	v_add_u32_e32 v90, 0x400, v90
	s_cbranch_scc1 .LBB52_46
.LBB52_19:                              ;   Parent Loop BB52_16 Depth=1
                                        ; =>  This Inner Loop Header: Depth=2
	v_add_u32_e32 v62, s8, v0
	v_cmp_gt_u32_e32 vcc, s16, v62
	s_and_saveexec_b64 s[6:7], vcc
	s_cbranch_execnz .LBB52_24
; %bb.20:                               ;   in Loop: Header=BB52_19 Depth=2
	s_or_b64 exec, exec, s[6:7]
	s_and_saveexec_b64 s[4:5], vcc
	s_cbranch_execnz .LBB52_41
.LBB52_21:                              ;   in Loop: Header=BB52_19 Depth=2
	s_or_b64 exec, exec, s[4:5]
	s_and_saveexec_b64 s[4:5], vcc
	s_cbranch_execnz .LBB52_42
.LBB52_22:                              ;   in Loop: Header=BB52_19 Depth=2
	s_or_b64 exec, exec, s[4:5]
	s_and_saveexec_b64 s[4:5], vcc
	s_cbranch_execnz .LBB52_43
.LBB52_23:                              ;   in Loop: Header=BB52_19 Depth=2
	s_or_b64 exec, exec, s[4:5]
	s_and_saveexec_b64 s[4:5], vcc
	s_cbranch_execz .LBB52_18
	s_branch .LBB52_44
.LBB52_24:                              ;   in Loop: Header=BB52_19 Depth=2
	v_add_u32_e32 v58, s8, v60
	s_waitcnt vmcnt(4) lgkmcnt(0)
	v_lshl_add_u64 v[18:19], v[58:59], 1, s[20:21]
	v_lshl_add_u64 v[20:21], s[24:25], 1, v[18:19]
	global_load_dwordx4 v[10:13], v[18:19], off nt
	global_load_dwordx4 v[14:17], v[20:21], off nt
	v_lshl_add_u64 v[18:19], v[20:21], 0, s[26:27]
	s_waitcnt vmcnt(4)
	v_lshl_add_u64 v[26:27], v[18:19], 0, s[26:27]
	global_load_dwordx4 v[18:21], v[18:19], off nt
	s_nop 0
	global_load_dwordx4 v[22:25], v[26:27], off nt
	v_lshl_add_u64 v[26:27], v[26:27], 0, s[26:27]
	s_waitcnt vmcnt(4)
	v_lshl_add_u64 v[34:35], v[26:27], 0, s[26:27]
	global_load_dwordx4 v[26:29], v[26:27], off nt
	s_nop 0
	global_load_dwordx4 v[30:33], v[34:35], off nt
	v_lshl_add_u64 v[34:35], v[34:35], 0, s[26:27]
	global_load_dwordx4 v[34:37], v[34:35], off nt
	v_cmp_lt_u32_e64 s[4:5], s40, v62
                                        ; implicit-def: $vgpr38_vgpr39
	s_and_saveexec_b64 s[10:11], s[4:5]
	s_xor_b64 s[4:5], exec, s[10:11]
	s_cbranch_execz .LBB52_26
; %bb.25:                               ;   in Loop: Header=BB52_19 Depth=2
	v_mov_b32_e32 v63, v59
	v_lshl_add_u64 v[38:39], v[62:63], 1, s[18:19]
	global_load_dwordx4 v[38:41], v[38:39], off
.LBB52_26:                              ;   in Loop: Header=BB52_19 Depth=2
	s_andn2_saveexec_b64 s[4:5], s[4:5]
	s_cbranch_execz .LBB52_28
; %bb.27:                               ;   in Loop: Header=BB52_19 Depth=2
	s_waitcnt vmcnt(0)
	ds_read_b128 v[38:41], v90
.LBB52_28:                              ;   in Loop: Header=BB52_19 Depth=2
	s_or_b64 exec, exec, s[4:5]
	v_add_u32_e32 v58, s8, v57
	v_cmp_lt_u32_e64 s[4:5], s40, v58
                                        ; implicit-def: $vgpr42_vgpr43
	s_and_saveexec_b64 s[10:11], s[4:5]
	s_xor_b64 s[4:5], exec, s[10:11]
	s_cbranch_execz .LBB52_30
; %bb.29:                               ;   in Loop: Header=BB52_19 Depth=2
	v_lshl_add_u64 v[42:43], v[58:59], 1, s[18:19]
	global_load_dwordx4 v[42:45], v[42:43], off
.LBB52_30:                              ;   in Loop: Header=BB52_19 Depth=2
	s_andn2_saveexec_b64 s[4:5], s[4:5]
	s_cbranch_execz .LBB52_32
; %bb.31:                               ;   in Loop: Header=BB52_19 Depth=2
	s_waitcnt vmcnt(0)
	v_add_u32_e32 v42, s38, v90
	ds_read_b128 v[42:45], v42
.LBB52_32:                              ;   in Loop: Header=BB52_19 Depth=2
	s_or_b64 exec, exec, s[4:5]
	v_add_u32_e32 v58, s8, v9
	v_cmp_lt_u32_e64 s[4:5], s40, v58
                                        ; implicit-def: $vgpr46_vgpr47
	s_and_saveexec_b64 s[10:11], s[4:5]
	s_xor_b64 s[4:5], exec, s[10:11]
	s_cbranch_execz .LBB52_34
; %bb.33:                               ;   in Loop: Header=BB52_19 Depth=2
	v_lshl_add_u64 v[46:47], v[58:59], 1, s[18:19]
	global_load_dwordx4 v[46:49], v[46:47], off
.LBB52_34:                              ;   in Loop: Header=BB52_19 Depth=2
	s_andn2_saveexec_b64 s[4:5], s[4:5]
	s_cbranch_execz .LBB52_36
; %bb.35:                               ;   in Loop: Header=BB52_19 Depth=2
	s_waitcnt vmcnt(0)
	v_add_u32_e32 v48, s33, v90
	ds_read2_b32 v[46:47], v48 offset1:1
	ds_read2_b32 v[48:49], v48 offset0:2 offset1:3
.LBB52_36:                              ;   in Loop: Header=BB52_19 Depth=2
	s_or_b64 exec, exec, s[4:5]
	v_add_u32_e32 v58, s8, v56
	v_cmp_lt_u32_e64 s[4:5], s40, v58
                                        ; implicit-def: $vgpr50_vgpr51
	s_and_saveexec_b64 s[10:11], s[4:5]
	s_xor_b64 s[4:5], exec, s[10:11]
	s_cbranch_execz .LBB52_38
; %bb.37:                               ;   in Loop: Header=BB52_19 Depth=2
	v_lshl_add_u64 v[50:51], v[58:59], 1, s[18:19]
	global_load_dwordx4 v[50:53], v[50:51], off
.LBB52_38:                              ;   in Loop: Header=BB52_19 Depth=2
	s_andn2_saveexec_b64 s[4:5], s[4:5]
	s_cbranch_execz .LBB52_40
; %bb.39:                               ;   in Loop: Header=BB52_19 Depth=2
	s_waitcnt vmcnt(0)
	v_add_u32_e32 v50, s39, v90
	ds_read_b128 v[50:53], v50
.LBB52_40:                              ;   in Loop: Header=BB52_19 Depth=2
	s_or_b64 exec, exec, s[4:5]
	s_or_b64 exec, exec, s[6:7]
	s_and_saveexec_b64 s[4:5], vcc
	s_cbranch_execz .LBB52_21
.LBB52_41:                              ;   in Loop: Header=BB52_19 Depth=2
	s_waitcnt vmcnt(0) lgkmcnt(0)
	;;#ASMSTART
	v_dot2c_f32_f16 v55, v38, v10
	;;#ASMEND
	;;#ASMSTART
	v_dot2c_f32_f16 v89, v38, v14
	;;#ASMEND
	;;#ASMSTART
	v_dot2c_f32_f16 v88, v38, v18
	;;#ASMEND
	;;#ASMSTART
	v_dot2c_f32_f16 v87, v38, v22
	;;#ASMEND
	;;#ASMSTART
	v_dot2c_f32_f16 v86, v38, v26
	;;#ASMEND
	;;#ASMSTART
	v_dot2c_f32_f16 v85, v38, v30
	;;#ASMEND
	;;#ASMSTART
	v_dot2c_f32_f16 v84, v38, v34
	;;#ASMEND
	s_nop 0
	;;#ASMSTART
	v_dot2c_f32_f16 v55, v39, v11
	;;#ASMEND
	;;#ASMSTART
	v_dot2c_f32_f16 v89, v39, v15
	;;#ASMEND
	;;#ASMSTART
	v_dot2c_f32_f16 v88, v39, v19
	;;#ASMEND
	;;#ASMSTART
	v_dot2c_f32_f16 v87, v39, v23
	;;#ASMEND
	;;#ASMSTART
	v_dot2c_f32_f16 v86, v39, v27
	;;#ASMEND
	;;#ASMSTART
	v_dot2c_f32_f16 v85, v39, v31
	;;#ASMEND
	;;#ASMSTART
	v_dot2c_f32_f16 v84, v39, v35
	;;#ASMEND
	s_nop 0
	;; [unrolled: 22-line block ×3, first 2 shown]
	;;#ASMSTART
	v_dot2c_f32_f16 v55, v41, v13
	;;#ASMEND
	;;#ASMSTART
	v_dot2c_f32_f16 v89, v41, v17
	;;#ASMEND
	;; [unrolled: 3-line block ×7, first 2 shown]
	s_or_b64 exec, exec, s[4:5]
	s_and_saveexec_b64 s[4:5], vcc
	s_cbranch_execz .LBB52_22
.LBB52_42:                              ;   in Loop: Header=BB52_19 Depth=2
	s_waitcnt vmcnt(0) lgkmcnt(0)
	;;#ASMSTART
	v_dot2c_f32_f16 v83, v42, v10
	;;#ASMEND
	;;#ASMSTART
	v_dot2c_f32_f16 v82, v42, v14
	;;#ASMEND
	;;#ASMSTART
	v_dot2c_f32_f16 v81, v42, v18
	;;#ASMEND
	;;#ASMSTART
	v_dot2c_f32_f16 v80, v42, v22
	;;#ASMEND
	;;#ASMSTART
	v_dot2c_f32_f16 v79, v42, v26
	;;#ASMEND
	;;#ASMSTART
	v_dot2c_f32_f16 v78, v42, v30
	;;#ASMEND
	;;#ASMSTART
	v_dot2c_f32_f16 v77, v42, v34
	;;#ASMEND
	s_nop 0
	;;#ASMSTART
	v_dot2c_f32_f16 v83, v43, v11
	;;#ASMEND
	;;#ASMSTART
	v_dot2c_f32_f16 v82, v43, v15
	;;#ASMEND
	;;#ASMSTART
	v_dot2c_f32_f16 v81, v43, v19
	;;#ASMEND
	;;#ASMSTART
	v_dot2c_f32_f16 v80, v43, v23
	;;#ASMEND
	;;#ASMSTART
	v_dot2c_f32_f16 v79, v43, v27
	;;#ASMEND
	;;#ASMSTART
	v_dot2c_f32_f16 v78, v43, v31
	;;#ASMEND
	;;#ASMSTART
	v_dot2c_f32_f16 v77, v43, v35
	;;#ASMEND
	s_nop 0
	;; [unrolled: 22-line block ×3, first 2 shown]
	;;#ASMSTART
	v_dot2c_f32_f16 v83, v45, v13
	;;#ASMEND
	;;#ASMSTART
	v_dot2c_f32_f16 v82, v45, v17
	;;#ASMEND
	;; [unrolled: 3-line block ×7, first 2 shown]
	s_or_b64 exec, exec, s[4:5]
	s_and_saveexec_b64 s[4:5], vcc
	s_cbranch_execz .LBB52_23
.LBB52_43:                              ;   in Loop: Header=BB52_19 Depth=2
	s_waitcnt vmcnt(0) lgkmcnt(0)
	;;#ASMSTART
	v_dot2c_f32_f16 v76, v46, v10
	;;#ASMEND
	;;#ASMSTART
	v_dot2c_f32_f16 v75, v46, v14
	;;#ASMEND
	;;#ASMSTART
	v_dot2c_f32_f16 v74, v46, v18
	;;#ASMEND
	;;#ASMSTART
	v_dot2c_f32_f16 v73, v46, v22
	;;#ASMEND
	;;#ASMSTART
	v_dot2c_f32_f16 v72, v46, v26
	;;#ASMEND
	;;#ASMSTART
	v_dot2c_f32_f16 v71, v46, v30
	;;#ASMEND
	;;#ASMSTART
	v_dot2c_f32_f16 v70, v46, v34
	;;#ASMEND
	s_nop 0
	;;#ASMSTART
	v_dot2c_f32_f16 v76, v47, v11
	;;#ASMEND
	;;#ASMSTART
	v_dot2c_f32_f16 v75, v47, v15
	;;#ASMEND
	;;#ASMSTART
	v_dot2c_f32_f16 v74, v47, v19
	;;#ASMEND
	;;#ASMSTART
	v_dot2c_f32_f16 v73, v47, v23
	;;#ASMEND
	;;#ASMSTART
	v_dot2c_f32_f16 v72, v47, v27
	;;#ASMEND
	;;#ASMSTART
	v_dot2c_f32_f16 v71, v47, v31
	;;#ASMEND
	;;#ASMSTART
	v_dot2c_f32_f16 v70, v47, v35
	;;#ASMEND
	s_nop 0
	;; [unrolled: 22-line block ×3, first 2 shown]
	;;#ASMSTART
	v_dot2c_f32_f16 v76, v49, v13
	;;#ASMEND
	;;#ASMSTART
	v_dot2c_f32_f16 v75, v49, v17
	;;#ASMEND
	;; [unrolled: 3-line block ×7, first 2 shown]
	s_or_b64 exec, exec, s[4:5]
	s_and_saveexec_b64 s[4:5], vcc
	s_cbranch_execz .LBB52_18
.LBB52_44:                              ;   in Loop: Header=BB52_19 Depth=2
	s_waitcnt vmcnt(0) lgkmcnt(0)
	;;#ASMSTART
	v_dot2c_f32_f16 v69, v50, v10
	;;#ASMEND
	;;#ASMSTART
	v_dot2c_f32_f16 v68, v50, v14
	;;#ASMEND
	;;#ASMSTART
	v_dot2c_f32_f16 v67, v50, v18
	;;#ASMEND
	;;#ASMSTART
	v_dot2c_f32_f16 v66, v50, v22
	;;#ASMEND
	;;#ASMSTART
	v_dot2c_f32_f16 v65, v50, v26
	;;#ASMEND
	;;#ASMSTART
	v_dot2c_f32_f16 v64, v50, v30
	;;#ASMEND
	;;#ASMSTART
	v_dot2c_f32_f16 v61, v50, v34
	;;#ASMEND
	s_nop 0
	;;#ASMSTART
	v_dot2c_f32_f16 v69, v51, v11
	;;#ASMEND
	;;#ASMSTART
	v_dot2c_f32_f16 v68, v51, v15
	;;#ASMEND
	;;#ASMSTART
	v_dot2c_f32_f16 v67, v51, v19
	;;#ASMEND
	;;#ASMSTART
	v_dot2c_f32_f16 v66, v51, v23
	;;#ASMEND
	;;#ASMSTART
	v_dot2c_f32_f16 v65, v51, v27
	;;#ASMEND
	;;#ASMSTART
	v_dot2c_f32_f16 v64, v51, v31
	;;#ASMEND
	;;#ASMSTART
	v_dot2c_f32_f16 v61, v51, v35
	;;#ASMEND
	s_nop 0
	;; [unrolled: 22-line block ×3, first 2 shown]
	;;#ASMSTART
	v_dot2c_f32_f16 v69, v53, v13
	;;#ASMEND
	;;#ASMSTART
	v_dot2c_f32_f16 v68, v53, v17
	;;#ASMEND
	;; [unrolled: 3-line block ×7, first 2 shown]
	s_branch .LBB52_18
.LBB52_45:                              ;   in Loop: Header=BB52_16 Depth=1
	v_mov_b32_e32 v55, v59
	v_mov_b32_e32 v89, v59
	;; [unrolled: 1-line block ×28, first 2 shown]
.LBB52_46:                              ;   in Loop: Header=BB52_16 Depth=1
	;;#ASMSTART
	s_nop 0
	v_add_f32 v55, v55, v55 row_shr:8 bound_ctrl:0 
	;;#ASMEND
	;;#ASMSTART
	s_nop 0
	v_add_f32 v89, v89, v89 row_shr:8 bound_ctrl:0 
	;;#ASMEND
	;; [unrolled: 4-line block ×28, first 2 shown]
	s_nop 0
	;;#ASMSTART
	s_nop 0
	v_add_f32 v55, v55, v55 row_shr:4 bound_ctrl:0 
	;;#ASMEND
	;;#ASMSTART
	s_nop 0
	v_add_f32 v89, v89, v89 row_shr:4 bound_ctrl:0 
	;;#ASMEND
	;; [unrolled: 4-line block ×28, first 2 shown]
	s_nop 0
	;;#ASMSTART
	s_nop 0
	v_add_f32 v55, v55, v55 row_shr:2 bound_ctrl:0 
	;;#ASMEND
	;;#ASMSTART
	s_nop 0
	v_add_f32 v89, v89, v89 row_shr:2 bound_ctrl:0 
	;;#ASMEND
	;; [unrolled: 4-line block ×28, first 2 shown]
	s_nop 0
	;;#ASMSTART
	s_nop 0
	v_add_f32 v55, v55, v55 wave_shr:1 bound_ctrl:0
	;;#ASMEND
	;;#ASMSTART
	s_nop 0
	v_add_f32 v89, v89, v89 wave_shr:1 bound_ctrl:0
	;;#ASMEND
	;; [unrolled: 4-line block ×28, first 2 shown]
	s_nop 0
	;;#ASMSTART
	s_nop 0
	v_add_f32 v55, v55, v55 row_bcast:15 bound_ctrl:0
	;;#ASMEND
	;;#ASMSTART
	s_nop 0
	v_add_f32 v89, v89, v89 row_bcast:15 bound_ctrl:0
	;;#ASMEND
	;; [unrolled: 4-line block ×28, first 2 shown]
	s_nop 0
	;;#ASMSTART
	s_nop 0
	v_add_f32 v55, v55, v55 row_bcast:31 bound_ctrl:0
	;;#ASMEND
	;;#ASMSTART
	s_nop 0
	v_add_f32 v89, v89, v89 row_bcast:31 bound_ctrl:0
	;;#ASMEND
	;; [unrolled: 4-line block ×28, first 2 shown]
	s_and_saveexec_b64 s[30:31], s[0:1]
	s_cbranch_execz .LBB52_76
; %bb.47:                               ;   in Loop: Header=BB52_16 Depth=1
	v_cmp_ne_u32_e32 vcc, 0, v2
	s_and_saveexec_b64 s[4:5], vcc
	s_cbranch_execnz .LBB52_81
; %bb.48:                               ;   in Loop: Header=BB52_16 Depth=1
	s_or_b64 exec, exec, s[4:5]
	v_cmp_ne_u32_e64 s[4:5], 0, v3
	s_and_saveexec_b64 s[6:7], s[4:5]
	s_cbranch_execnz .LBB52_82
.LBB52_49:                              ;   in Loop: Header=BB52_16 Depth=1
	s_or_b64 exec, exec, s[6:7]
	v_cmp_ne_u32_e64 s[6:7], 0, v4
	s_and_saveexec_b64 s[8:9], s[6:7]
	s_cbranch_execnz .LBB52_83
.LBB52_50:                              ;   in Loop: Header=BB52_16 Depth=1
	s_or_b64 exec, exec, s[8:9]
	v_cmp_ne_u32_e64 s[8:9], 0, v5
	s_and_saveexec_b64 s[10:11], s[8:9]
	s_cbranch_execnz .LBB52_84
.LBB52_51:                              ;   in Loop: Header=BB52_16 Depth=1
	s_or_b64 exec, exec, s[10:11]
	v_cmp_ne_u32_e64 s[10:11], 0, v6
	s_and_saveexec_b64 s[12:13], s[10:11]
	s_cbranch_execnz .LBB52_85
.LBB52_52:                              ;   in Loop: Header=BB52_16 Depth=1
	s_or_b64 exec, exec, s[12:13]
	v_cmp_ne_u32_e64 s[12:13], 0, v7
	s_and_saveexec_b64 s[14:15], s[12:13]
	s_cbranch_execnz .LBB52_86
.LBB52_53:                              ;   in Loop: Header=BB52_16 Depth=1
	s_or_b64 exec, exec, s[14:15]
	v_cmp_ne_u32_e64 s[14:15], 0, v8
	s_and_saveexec_b64 s[34:35], s[14:15]
	s_cbranch_execnz .LBB52_87
.LBB52_54:                              ;   in Loop: Header=BB52_16 Depth=1
	s_or_b64 exec, exec, s[34:35]
	v_add_u32_e32 v58, s17, v54
	s_and_saveexec_b64 s[34:35], vcc
	s_cbranch_execnz .LBB52_88
.LBB52_55:                              ;   in Loop: Header=BB52_16 Depth=1
	s_or_b64 exec, exec, s[34:35]
	s_and_saveexec_b64 s[34:35], s[4:5]
	s_cbranch_execnz .LBB52_89
.LBB52_56:                              ;   in Loop: Header=BB52_16 Depth=1
	s_or_b64 exec, exec, s[34:35]
	s_and_saveexec_b64 s[34:35], s[6:7]
	s_cbranch_execnz .LBB52_90
.LBB52_57:                              ;   in Loop: Header=BB52_16 Depth=1
	s_or_b64 exec, exec, s[34:35]
	s_and_saveexec_b64 s[34:35], s[8:9]
	s_cbranch_execnz .LBB52_91
.LBB52_58:                              ;   in Loop: Header=BB52_16 Depth=1
	s_or_b64 exec, exec, s[34:35]
	s_and_saveexec_b64 s[34:35], s[10:11]
	s_cbranch_execnz .LBB52_92
.LBB52_59:                              ;   in Loop: Header=BB52_16 Depth=1
	s_or_b64 exec, exec, s[34:35]
	s_and_saveexec_b64 s[34:35], s[12:13]
	s_cbranch_execnz .LBB52_93
.LBB52_60:                              ;   in Loop: Header=BB52_16 Depth=1
	s_or_b64 exec, exec, s[34:35]
	s_and_saveexec_b64 s[34:35], s[14:15]
	s_cbranch_execnz .LBB52_94
.LBB52_61:                              ;   in Loop: Header=BB52_16 Depth=1
	s_or_b64 exec, exec, s[34:35]
	v_add_u32_e32 v58, s17, v58
	s_and_saveexec_b64 s[34:35], vcc
	s_cbranch_execnz .LBB52_95
.LBB52_62:                              ;   in Loop: Header=BB52_16 Depth=1
	s_or_b64 exec, exec, s[34:35]
	s_and_saveexec_b64 s[34:35], s[4:5]
	s_cbranch_execnz .LBB52_96
.LBB52_63:                              ;   in Loop: Header=BB52_16 Depth=1
	s_or_b64 exec, exec, s[34:35]
	s_and_saveexec_b64 s[34:35], s[6:7]
	s_cbranch_execnz .LBB52_97
.LBB52_64:                              ;   in Loop: Header=BB52_16 Depth=1
	s_or_b64 exec, exec, s[34:35]
	s_and_saveexec_b64 s[34:35], s[8:9]
	s_cbranch_execnz .LBB52_98
.LBB52_65:                              ;   in Loop: Header=BB52_16 Depth=1
	s_or_b64 exec, exec, s[34:35]
	s_and_saveexec_b64 s[34:35], s[10:11]
	s_cbranch_execnz .LBB52_99
.LBB52_66:                              ;   in Loop: Header=BB52_16 Depth=1
	s_or_b64 exec, exec, s[34:35]
	s_and_saveexec_b64 s[34:35], s[12:13]
	s_cbranch_execnz .LBB52_100
.LBB52_67:                              ;   in Loop: Header=BB52_16 Depth=1
	s_or_b64 exec, exec, s[34:35]
	s_and_saveexec_b64 s[34:35], s[14:15]
	s_cbranch_execnz .LBB52_101
.LBB52_68:                              ;   in Loop: Header=BB52_16 Depth=1
	s_or_b64 exec, exec, s[34:35]
	v_add_u32_e32 v58, s17, v58
	s_and_saveexec_b64 s[34:35], vcc
	s_cbranch_execnz .LBB52_102
.LBB52_69:                              ;   in Loop: Header=BB52_16 Depth=1
	s_or_b64 exec, exec, s[34:35]
	s_and_saveexec_b64 s[34:35], s[4:5]
	s_cbranch_execnz .LBB52_103
.LBB52_70:                              ;   in Loop: Header=BB52_16 Depth=1
	s_or_b64 exec, exec, s[34:35]
	s_and_saveexec_b64 s[4:5], s[6:7]
	s_cbranch_execnz .LBB52_104
.LBB52_71:                              ;   in Loop: Header=BB52_16 Depth=1
	s_or_b64 exec, exec, s[4:5]
	s_and_saveexec_b64 s[4:5], s[8:9]
	s_cbranch_execnz .LBB52_105
.LBB52_72:                              ;   in Loop: Header=BB52_16 Depth=1
	s_or_b64 exec, exec, s[4:5]
	s_and_saveexec_b64 s[4:5], s[10:11]
	s_cbranch_execnz .LBB52_106
.LBB52_73:                              ;   in Loop: Header=BB52_16 Depth=1
	s_or_b64 exec, exec, s[4:5]
	s_and_saveexec_b64 s[4:5], s[12:13]
	s_cbranch_execnz .LBB52_107
.LBB52_74:                              ;   in Loop: Header=BB52_16 Depth=1
	s_or_b64 exec, exec, s[4:5]
	s_and_b64 exec, exec, s[14:15]
	s_cbranch_execz .LBB52_76
.LBB52_75:                              ;   in Loop: Header=BB52_16 Depth=1
	v_cvt_f16_f32_e32 v55, v61
	v_add_u32_e32 v58, 6, v58
	s_waitcnt lgkmcnt(0)
	v_lshl_add_u64 v[60:61], v[58:59], 1, s[22:23]
	global_store_short v[60:61], v55, off
.LBB52_76:                              ;   in Loop: Header=BB52_16 Depth=1
	s_or_b64 exec, exec, s[30:31]
	v_add_u32_e32 v54, s36, v54
	v_add_u32_e32 v55, 7, v54
	v_cmp_gt_u32_e32 vcc, s17, v54
	v_cmp_le_u32_e64 s[4:5], s17, v55
	s_and_b64 s[4:5], vcc, s[4:5]
	s_and_saveexec_b64 s[6:7], s[4:5]
	s_cbranch_execz .LBB52_15
; %bb.77:                               ;   in Loop: Header=BB52_16 Depth=1
	v_cmp_ne_u32_e32 vcc, s37, v54
	s_and_saveexec_b64 s[8:9], vcc
	s_cbranch_execz .LBB52_14
; %bb.78:                               ;   in Loop: Header=BB52_16 Depth=1
	v_subrev_u32_e32 v54, s37, v54
	v_cmp_lt_u32_e32 vcc, 1, v54
	s_mov_b64 s[10:11], 0
	s_mov_b64 s[12:13], 0
	v_cndmask_b32_e32 v54, 1, v54, vcc
.LBB52_79:                              ;   Parent Loop BB52_16 Depth=1
                                        ; =>  This Inner Loop Header: Depth=2
	s_cmp_lg_u32 s12, 6
	s_cselect_b64 vcc, -1, 0
	s_cmp_lg_u32 s12, 5
	v_cndmask_b32_e32 v8, 0, v8, vcc
	s_cselect_b64 vcc, -1, 0
	s_cmp_lg_u32 s12, 4
	v_cndmask_b32_e32 v7, 0, v7, vcc
	;; [unrolled: 3-line block ×6, first 2 shown]
	s_cselect_b64 vcc, -1, 0
	s_add_u32 s12, s12, 1
	s_addc_u32 s13, s13, 0
	v_cmp_eq_u32_e64 s[4:5], s12, v54
	s_or_b64 s[10:11], s[4:5], s[10:11]
	v_cndmask_b32_e32 v2, 0, v2, vcc
	s_andn2_b64 exec, exec, s[10:11]
	s_cbranch_execnz .LBB52_79
; %bb.80:                               ;   in Loop: Header=BB52_16 Depth=1
	s_or_b64 exec, exec, s[10:11]
	s_branch .LBB52_14
.LBB52_81:                              ;   in Loop: Header=BB52_16 Depth=1
	v_cvt_f16_f32_e32 v58, v55
	v_mov_b32_e32 v55, v59
	s_waitcnt lgkmcnt(0)
	v_lshl_add_u64 v[62:63], v[54:55], 1, s[22:23]
	global_store_short v[62:63], v58, off
	s_or_b64 exec, exec, s[4:5]
	v_cmp_ne_u32_e64 s[4:5], 0, v3
	s_and_saveexec_b64 s[6:7], s[4:5]
	s_cbranch_execz .LBB52_49
.LBB52_82:                              ;   in Loop: Header=BB52_16 Depth=1
	v_cvt_f16_f32_e32 v55, v89
	v_add_u32_e32 v58, 1, v54
	s_waitcnt lgkmcnt(0)
	v_lshl_add_u64 v[62:63], v[58:59], 1, s[22:23]
	global_store_short v[62:63], v55, off
	s_or_b64 exec, exec, s[6:7]
	v_cmp_ne_u32_e64 s[6:7], 0, v4
	s_and_saveexec_b64 s[8:9], s[6:7]
	s_cbranch_execz .LBB52_50
.LBB52_83:                              ;   in Loop: Header=BB52_16 Depth=1
	v_cvt_f16_f32_e32 v55, v88
	v_add_u32_e32 v58, 2, v54
	s_waitcnt lgkmcnt(0)
	v_lshl_add_u64 v[62:63], v[58:59], 1, s[22:23]
	global_store_short v[62:63], v55, off
	s_or_b64 exec, exec, s[8:9]
	v_cmp_ne_u32_e64 s[8:9], 0, v5
	s_and_saveexec_b64 s[10:11], s[8:9]
	s_cbranch_execz .LBB52_51
.LBB52_84:                              ;   in Loop: Header=BB52_16 Depth=1
	v_cvt_f16_f32_e32 v55, v87
	v_add_u32_e32 v58, 3, v54
	s_waitcnt lgkmcnt(0)
	v_lshl_add_u64 v[62:63], v[58:59], 1, s[22:23]
	global_store_short v[62:63], v55, off
	s_or_b64 exec, exec, s[10:11]
	v_cmp_ne_u32_e64 s[10:11], 0, v6
	s_and_saveexec_b64 s[12:13], s[10:11]
	s_cbranch_execz .LBB52_52
.LBB52_85:                              ;   in Loop: Header=BB52_16 Depth=1
	v_cvt_f16_f32_e32 v55, v86
	v_add_u32_e32 v58, 4, v54
	s_waitcnt lgkmcnt(0)
	v_lshl_add_u64 v[62:63], v[58:59], 1, s[22:23]
	global_store_short v[62:63], v55, off
	s_or_b64 exec, exec, s[12:13]
	v_cmp_ne_u32_e64 s[12:13], 0, v7
	s_and_saveexec_b64 s[14:15], s[12:13]
	s_cbranch_execz .LBB52_53
.LBB52_86:                              ;   in Loop: Header=BB52_16 Depth=1
	v_cvt_f16_f32_e32 v55, v85
	v_add_u32_e32 v58, 5, v54
	s_waitcnt lgkmcnt(0)
	v_lshl_add_u64 v[62:63], v[58:59], 1, s[22:23]
	global_store_short v[62:63], v55, off
	s_or_b64 exec, exec, s[14:15]
	v_cmp_ne_u32_e64 s[14:15], 0, v8
	s_and_saveexec_b64 s[34:35], s[14:15]
	s_cbranch_execz .LBB52_54
.LBB52_87:                              ;   in Loop: Header=BB52_16 Depth=1
	v_cvt_f16_f32_e32 v55, v84
	v_add_u32_e32 v58, 6, v54
	s_waitcnt lgkmcnt(0)
	v_lshl_add_u64 v[62:63], v[58:59], 1, s[22:23]
	global_store_short v[62:63], v55, off
	s_or_b64 exec, exec, s[34:35]
	v_add_u32_e32 v58, s17, v54
	s_and_saveexec_b64 s[34:35], vcc
	s_cbranch_execz .LBB52_55
.LBB52_88:                              ;   in Loop: Header=BB52_16 Depth=1
	v_cvt_f16_f32_e32 v55, v83
	s_waitcnt lgkmcnt(0)
	v_lshl_add_u64 v[62:63], v[58:59], 1, s[22:23]
	global_store_short v[62:63], v55, off
	s_or_b64 exec, exec, s[34:35]
	s_and_saveexec_b64 s[34:35], s[4:5]
	s_cbranch_execz .LBB52_56
.LBB52_89:                              ;   in Loop: Header=BB52_16 Depth=1
	v_cvt_f16_f32_e32 v55, v82
	v_add_u32_e32 v62, 1, v58
	v_mov_b32_e32 v63, v59
	s_waitcnt lgkmcnt(0)
	v_lshl_add_u64 v[62:63], v[62:63], 1, s[22:23]
	global_store_short v[62:63], v55, off
	s_or_b64 exec, exec, s[34:35]
	s_and_saveexec_b64 s[34:35], s[6:7]
	s_cbranch_execz .LBB52_57
.LBB52_90:                              ;   in Loop: Header=BB52_16 Depth=1
	v_cvt_f16_f32_e32 v55, v81
	v_add_u32_e32 v62, 2, v58
	v_mov_b32_e32 v63, v59
	s_waitcnt lgkmcnt(0)
	v_lshl_add_u64 v[62:63], v[62:63], 1, s[22:23]
	global_store_short v[62:63], v55, off
	s_or_b64 exec, exec, s[34:35]
	s_and_saveexec_b64 s[34:35], s[8:9]
	s_cbranch_execz .LBB52_58
.LBB52_91:                              ;   in Loop: Header=BB52_16 Depth=1
	v_cvt_f16_f32_e32 v55, v80
	v_add_u32_e32 v62, 3, v58
	v_mov_b32_e32 v63, v59
	s_waitcnt lgkmcnt(0)
	v_lshl_add_u64 v[62:63], v[62:63], 1, s[22:23]
	global_store_short v[62:63], v55, off
	s_or_b64 exec, exec, s[34:35]
	s_and_saveexec_b64 s[34:35], s[10:11]
	s_cbranch_execz .LBB52_59
.LBB52_92:                              ;   in Loop: Header=BB52_16 Depth=1
	v_cvt_f16_f32_e32 v55, v79
	v_add_u32_e32 v62, 4, v58
	v_mov_b32_e32 v63, v59
	s_waitcnt lgkmcnt(0)
	v_lshl_add_u64 v[62:63], v[62:63], 1, s[22:23]
	global_store_short v[62:63], v55, off
	s_or_b64 exec, exec, s[34:35]
	s_and_saveexec_b64 s[34:35], s[12:13]
	s_cbranch_execz .LBB52_60
.LBB52_93:                              ;   in Loop: Header=BB52_16 Depth=1
	v_cvt_f16_f32_e32 v55, v78
	v_add_u32_e32 v62, 5, v58
	v_mov_b32_e32 v63, v59
	s_waitcnt lgkmcnt(0)
	v_lshl_add_u64 v[62:63], v[62:63], 1, s[22:23]
	global_store_short v[62:63], v55, off
	s_or_b64 exec, exec, s[34:35]
	s_and_saveexec_b64 s[34:35], s[14:15]
	s_cbranch_execz .LBB52_61
.LBB52_94:                              ;   in Loop: Header=BB52_16 Depth=1
	v_cvt_f16_f32_e32 v55, v77
	v_add_u32_e32 v62, 6, v58
	v_mov_b32_e32 v63, v59
	s_waitcnt lgkmcnt(0)
	v_lshl_add_u64 v[62:63], v[62:63], 1, s[22:23]
	global_store_short v[62:63], v55, off
	s_or_b64 exec, exec, s[34:35]
	v_add_u32_e32 v58, s17, v58
	s_and_saveexec_b64 s[34:35], vcc
	s_cbranch_execz .LBB52_62
.LBB52_95:                              ;   in Loop: Header=BB52_16 Depth=1
	v_cvt_f16_f32_e32 v55, v76
	s_waitcnt lgkmcnt(0)
	v_lshl_add_u64 v[62:63], v[58:59], 1, s[22:23]
	global_store_short v[62:63], v55, off
	s_or_b64 exec, exec, s[34:35]
	s_and_saveexec_b64 s[34:35], s[4:5]
	s_cbranch_execz .LBB52_63
.LBB52_96:                              ;   in Loop: Header=BB52_16 Depth=1
	v_cvt_f16_f32_e32 v55, v75
	v_add_u32_e32 v62, 1, v58
	v_mov_b32_e32 v63, v59
	s_waitcnt lgkmcnt(0)
	v_lshl_add_u64 v[62:63], v[62:63], 1, s[22:23]
	global_store_short v[62:63], v55, off
	s_or_b64 exec, exec, s[34:35]
	s_and_saveexec_b64 s[34:35], s[6:7]
	s_cbranch_execz .LBB52_64
.LBB52_97:                              ;   in Loop: Header=BB52_16 Depth=1
	v_cvt_f16_f32_e32 v55, v74
	v_add_u32_e32 v62, 2, v58
	v_mov_b32_e32 v63, v59
	s_waitcnt lgkmcnt(0)
	v_lshl_add_u64 v[62:63], v[62:63], 1, s[22:23]
	global_store_short v[62:63], v55, off
	s_or_b64 exec, exec, s[34:35]
	s_and_saveexec_b64 s[34:35], s[8:9]
	s_cbranch_execz .LBB52_65
.LBB52_98:                              ;   in Loop: Header=BB52_16 Depth=1
	v_cvt_f16_f32_e32 v55, v73
	v_add_u32_e32 v62, 3, v58
	v_mov_b32_e32 v63, v59
	s_waitcnt lgkmcnt(0)
	v_lshl_add_u64 v[62:63], v[62:63], 1, s[22:23]
	global_store_short v[62:63], v55, off
	s_or_b64 exec, exec, s[34:35]
	s_and_saveexec_b64 s[34:35], s[10:11]
	s_cbranch_execz .LBB52_66
.LBB52_99:                              ;   in Loop: Header=BB52_16 Depth=1
	v_cvt_f16_f32_e32 v55, v72
	v_add_u32_e32 v62, 4, v58
	v_mov_b32_e32 v63, v59
	s_waitcnt lgkmcnt(0)
	v_lshl_add_u64 v[62:63], v[62:63], 1, s[22:23]
	global_store_short v[62:63], v55, off
	s_or_b64 exec, exec, s[34:35]
	s_and_saveexec_b64 s[34:35], s[12:13]
	s_cbranch_execz .LBB52_67
.LBB52_100:                             ;   in Loop: Header=BB52_16 Depth=1
	v_cvt_f16_f32_e32 v55, v71
	v_add_u32_e32 v62, 5, v58
	v_mov_b32_e32 v63, v59
	s_waitcnt lgkmcnt(0)
	v_lshl_add_u64 v[62:63], v[62:63], 1, s[22:23]
	global_store_short v[62:63], v55, off
	s_or_b64 exec, exec, s[34:35]
	s_and_saveexec_b64 s[34:35], s[14:15]
	s_cbranch_execz .LBB52_68
.LBB52_101:                             ;   in Loop: Header=BB52_16 Depth=1
	v_cvt_f16_f32_e32 v55, v70
	v_add_u32_e32 v62, 6, v58
	v_mov_b32_e32 v63, v59
	s_waitcnt lgkmcnt(0)
	v_lshl_add_u64 v[62:63], v[62:63], 1, s[22:23]
	global_store_short v[62:63], v55, off
	s_or_b64 exec, exec, s[34:35]
	v_add_u32_e32 v58, s17, v58
	s_and_saveexec_b64 s[34:35], vcc
	s_cbranch_execz .LBB52_69
.LBB52_102:                             ;   in Loop: Header=BB52_16 Depth=1
	v_cvt_f16_f32_e32 v55, v69
	s_waitcnt lgkmcnt(0)
	v_lshl_add_u64 v[62:63], v[58:59], 1, s[22:23]
	global_store_short v[62:63], v55, off
	s_or_b64 exec, exec, s[34:35]
	s_and_saveexec_b64 s[34:35], s[4:5]
	s_cbranch_execz .LBB52_70
.LBB52_103:                             ;   in Loop: Header=BB52_16 Depth=1
	v_cvt_f16_f32_e32 v55, v68
	v_add_u32_e32 v62, 1, v58
	v_mov_b32_e32 v63, v59
	s_waitcnt lgkmcnt(0)
	v_lshl_add_u64 v[62:63], v[62:63], 1, s[22:23]
	global_store_short v[62:63], v55, off
	s_or_b64 exec, exec, s[34:35]
	s_and_saveexec_b64 s[4:5], s[6:7]
	s_cbranch_execz .LBB52_71
.LBB52_104:                             ;   in Loop: Header=BB52_16 Depth=1
	v_cvt_f16_f32_e32 v55, v67
	v_add_u32_e32 v62, 2, v58
	v_mov_b32_e32 v63, v59
	s_waitcnt lgkmcnt(0)
	v_lshl_add_u64 v[62:63], v[62:63], 1, s[22:23]
	global_store_short v[62:63], v55, off
	s_or_b64 exec, exec, s[4:5]
	s_and_saveexec_b64 s[4:5], s[8:9]
	s_cbranch_execz .LBB52_72
.LBB52_105:                             ;   in Loop: Header=BB52_16 Depth=1
	v_cvt_f16_f32_e32 v55, v66
	v_add_u32_e32 v62, 3, v58
	v_mov_b32_e32 v63, v59
	s_waitcnt lgkmcnt(0)
	v_lshl_add_u64 v[62:63], v[62:63], 1, s[22:23]
	global_store_short v[62:63], v55, off
	s_or_b64 exec, exec, s[4:5]
	s_and_saveexec_b64 s[4:5], s[10:11]
	s_cbranch_execz .LBB52_73
.LBB52_106:                             ;   in Loop: Header=BB52_16 Depth=1
	v_cvt_f16_f32_e32 v55, v65
	v_add_u32_e32 v62, 4, v58
	v_mov_b32_e32 v63, v59
	s_waitcnt lgkmcnt(0)
	v_lshl_add_u64 v[62:63], v[62:63], 1, s[22:23]
	global_store_short v[62:63], v55, off
	s_or_b64 exec, exec, s[4:5]
	s_and_saveexec_b64 s[4:5], s[12:13]
	s_cbranch_execz .LBB52_74
.LBB52_107:                             ;   in Loop: Header=BB52_16 Depth=1
	v_cvt_f16_f32_e32 v55, v64
	v_add_u32_e32 v62, 5, v58
	v_mov_b32_e32 v63, v59
	s_waitcnt lgkmcnt(0)
	v_lshl_add_u64 v[62:63], v[62:63], 1, s[22:23]
	global_store_short v[62:63], v55, off
	s_or_b64 exec, exec, s[4:5]
	s_and_b64 exec, exec, s[14:15]
	s_cbranch_execnz .LBB52_75
	s_branch .LBB52_76
.LBB52_108:
	s_endpgm
	.section	.rodata,"a",@progbits
	.p2align	6, 0x0
	.amdhsa_kernel _ZN5aiter12wvSplitK_hf_I6__halfLi64ELi7ELi16ELi8ELi1ELi4EEEviiPKT_S4_PS2_ii
		.amdhsa_group_segment_fixed_size 65536
		.amdhsa_private_segment_fixed_size 0
		.amdhsa_kernarg_size 40
		.amdhsa_user_sgpr_count 2
		.amdhsa_user_sgpr_dispatch_ptr 0
		.amdhsa_user_sgpr_queue_ptr 0
		.amdhsa_user_sgpr_kernarg_segment_ptr 1
		.amdhsa_user_sgpr_dispatch_id 0
		.amdhsa_user_sgpr_kernarg_preload_length 0
		.amdhsa_user_sgpr_kernarg_preload_offset 0
		.amdhsa_user_sgpr_private_segment_size 0
		.amdhsa_uses_dynamic_stack 0
		.amdhsa_enable_private_segment 0
		.amdhsa_system_sgpr_workgroup_id_x 1
		.amdhsa_system_sgpr_workgroup_id_y 0
		.amdhsa_system_sgpr_workgroup_id_z 0
		.amdhsa_system_sgpr_workgroup_info 0
		.amdhsa_system_vgpr_workitem_id 1
		.amdhsa_next_free_vgpr 91
		.amdhsa_next_free_sgpr 41
		.amdhsa_accum_offset 92
		.amdhsa_reserve_vcc 1
		.amdhsa_float_round_mode_32 0
		.amdhsa_float_round_mode_16_64 0
		.amdhsa_float_denorm_mode_32 3
		.amdhsa_float_denorm_mode_16_64 3
		.amdhsa_dx10_clamp 1
		.amdhsa_ieee_mode 1
		.amdhsa_fp16_overflow 0
		.amdhsa_tg_split 0
		.amdhsa_exception_fp_ieee_invalid_op 0
		.amdhsa_exception_fp_denorm_src 0
		.amdhsa_exception_fp_ieee_div_zero 0
		.amdhsa_exception_fp_ieee_overflow 0
		.amdhsa_exception_fp_ieee_underflow 0
		.amdhsa_exception_fp_ieee_inexact 0
		.amdhsa_exception_int_div_zero 0
	.end_amdhsa_kernel
	.section	.text._ZN5aiter12wvSplitK_hf_I6__halfLi64ELi7ELi16ELi8ELi1ELi4EEEviiPKT_S4_PS2_ii,"axG",@progbits,_ZN5aiter12wvSplitK_hf_I6__halfLi64ELi7ELi16ELi8ELi1ELi4EEEviiPKT_S4_PS2_ii,comdat
.Lfunc_end52:
	.size	_ZN5aiter12wvSplitK_hf_I6__halfLi64ELi7ELi16ELi8ELi1ELi4EEEviiPKT_S4_PS2_ii, .Lfunc_end52-_ZN5aiter12wvSplitK_hf_I6__halfLi64ELi7ELi16ELi8ELi1ELi4EEEviiPKT_S4_PS2_ii
                                        ; -- End function
	.section	.AMDGPU.csdata,"",@progbits
; Kernel info:
; codeLenInByte = 7000
; NumSgprs: 47
; NumVgprs: 91
; NumAgprs: 0
; TotalNumVgprs: 91
; ScratchSize: 0
; MemoryBound: 1
; FloatMode: 240
; IeeeMode: 1
; LDSByteSize: 65536 bytes/workgroup (compile time only)
; SGPRBlocks: 5
; VGPRBlocks: 11
; NumSGPRsForWavesPerEU: 47
; NumVGPRsForWavesPerEU: 91
; AccumOffset: 92
; Occupancy: 4
; WaveLimiterHint : 0
; COMPUTE_PGM_RSRC2:SCRATCH_EN: 0
; COMPUTE_PGM_RSRC2:USER_SGPR: 2
; COMPUTE_PGM_RSRC2:TRAP_HANDLER: 0
; COMPUTE_PGM_RSRC2:TGID_X_EN: 1
; COMPUTE_PGM_RSRC2:TGID_Y_EN: 0
; COMPUTE_PGM_RSRC2:TGID_Z_EN: 0
; COMPUTE_PGM_RSRC2:TIDIG_COMP_CNT: 1
; COMPUTE_PGM_RSRC3_GFX90A:ACCUM_OFFSET: 22
; COMPUTE_PGM_RSRC3_GFX90A:TG_SPLIT: 0
	.section	.text._ZN5aiter16wvSplitK_hf_big_I6__halfLi64ELi7ELi16ELi8ELi1ELi4EEEviiPKT_S4_PS2_ii,"axG",@progbits,_ZN5aiter16wvSplitK_hf_big_I6__halfLi64ELi7ELi16ELi8ELi1ELi4EEEviiPKT_S4_PS2_ii,comdat
	.protected	_ZN5aiter16wvSplitK_hf_big_I6__halfLi64ELi7ELi16ELi8ELi1ELi4EEEviiPKT_S4_PS2_ii ; -- Begin function _ZN5aiter16wvSplitK_hf_big_I6__halfLi64ELi7ELi16ELi8ELi1ELi4EEEviiPKT_S4_PS2_ii
	.globl	_ZN5aiter16wvSplitK_hf_big_I6__halfLi64ELi7ELi16ELi8ELi1ELi4EEEviiPKT_S4_PS2_ii
	.p2align	8
	.type	_ZN5aiter16wvSplitK_hf_big_I6__halfLi64ELi7ELi16ELi8ELi1ELi4EEEviiPKT_S4_PS2_ii,@function
_ZN5aiter16wvSplitK_hf_big_I6__halfLi64ELi7ELi16ELi8ELi1ELi4EEEviiPKT_S4_PS2_ii: ; @_ZN5aiter16wvSplitK_hf_big_I6__halfLi64ELi7ELi16ELi8ELi1ELi4EEEviiPKT_S4_PS2_ii
; %bb.0:
	s_load_dwordx2 s[12:13], s[0:1], 0x20
	v_bfe_u32 v1, v0, 10, 10
	s_waitcnt lgkmcnt(0)
	v_cmp_gt_u32_e32 vcc, s12, v1
	s_and_saveexec_b64 s[4:5], vcc
	s_cbranch_execz .LBB53_92
; %bb.1:
	s_load_dwordx2 s[18:19], s[0:1], 0x0
	s_mul_i32 s2, s2, s12
	v_add_u32_e32 v2, s2, v1
	v_mul_lo_u32 v54, v2, 7
	v_add_u32_e32 v2, 7, v54
	s_mov_b32 s4, 1
	s_waitcnt lgkmcnt(0)
	v_cmp_gt_u32_e32 vcc, s19, v54
	v_cmp_le_u32_e64 s[2:3], s19, v2
	s_mov_b32 s5, s4
	s_mov_b32 s6, s4
	;; [unrolled: 1-line block ×6, first 2 shown]
	v_mov_b32_e32 v2, s4
	s_and_b64 s[14:15], vcc, s[2:3]
	v_mov_b32_e32 v3, s5
	v_mov_b32_e32 v4, s6
	;; [unrolled: 1-line block ×6, first 2 shown]
	s_and_saveexec_b64 s[2:3], s[14:15]
	s_cbranch_execz .LBB53_7
; %bb.2:
	s_add_i32 s11, s19, -7
	v_mov_b32_e32 v2, s4
	v_cmp_ne_u32_e32 vcc, s11, v54
	v_mov_b32_e32 v3, s5
	v_mov_b32_e32 v4, s6
	;; [unrolled: 1-line block ×6, first 2 shown]
	s_and_saveexec_b64 s[14:15], vcc
	s_cbranch_execz .LBB53_6
; %bb.3:
	v_subrev_u32_e32 v2, s11, v54
	v_cmp_lt_u32_e32 vcc, 1, v2
	s_mov_b64 s[16:17], 0
	s_mov_b64 s[20:21], 0
	v_cndmask_b32_e32 v10, 1, v2, vcc
	s_mov_b32 s5, s4
	s_mov_b32 s6, s4
	;; [unrolled: 1-line block ×6, first 2 shown]
.LBB53_4:                               ; =>This Inner Loop Header: Depth=1
	s_cmp_lg_u32 s20, 6
	s_cselect_b32 s10, s10, 0
	s_cmp_lg_u32 s20, 5
	s_cselect_b32 s9, s9, 0
	;; [unrolled: 2-line block ×7, first 2 shown]
	s_add_u32 s20, s20, 1
	s_addc_u32 s21, s21, 0
	v_cmp_eq_u32_e32 vcc, s20, v10
	v_mov_b32_e32 v2, s4
	s_or_b64 s[16:17], vcc, s[16:17]
	v_mov_b32_e32 v3, s5
	v_mov_b32_e32 v4, s6
	;; [unrolled: 1-line block ×6, first 2 shown]
	s_andn2_b64 exec, exec, s[16:17]
	s_cbranch_execnz .LBB53_4
; %bb.5:
	s_or_b64 exec, exec, s[16:17]
	v_mov_b32_e32 v54, s11
.LBB53_6:
	s_or_b64 exec, exec, s[14:15]
.LBB53_7:
	s_or_b64 exec, exec, s[2:3]
	s_mul_i32 s48, s12, 7
	s_abs_i32 s2, s48
	v_cvt_f32_u32_e32 v9, s2
	s_sub_i32 s5, 0, s2
	s_abs_i32 s4, s19
	s_ashr_i32 s3, s19, 31
	v_rcp_iflag_f32_e32 v9, v9
	s_nop 0
	v_mul_f32_e32 v9, 0x4f7ffffe, v9
	v_cvt_u32_f32_e32 v9, v9
	s_nop 0
	v_readfirstlane_b32 s6, v9
	s_mul_i32 s5, s5, s6
	s_mul_hi_u32 s5, s6, s5
	s_add_i32 s6, s6, s5
	s_mul_hi_u32 s5, s4, s6
	s_mul_i32 s5, s5, s2
	s_sub_i32 s4, s4, s5
	s_sub_i32 s5, s4, s2
	s_cmp_ge_u32 s4, s2
	s_cselect_b32 s4, s5, s4
	s_sub_i32 s5, s4, s2
	s_cmp_ge_u32 s4, s2
	s_cselect_b32 s2, s5, s4
	s_xor_b32 s2, s2, s3
	s_sub_i32 s2, s2, s3
	s_add_i32 s3, s48, s19
	s_sub_i32 s3, s3, s2
	s_cmp_eq_u32 s2, 0
	s_cselect_b32 s33, s19, s3
	v_cmp_gt_u32_e32 vcc, s33, v54
	s_and_b64 exec, exec, vcc
	s_cbranch_execz .LBB53_92
; %bb.8:
	s_mov_b32 s2, 0
	s_load_dwordx4 s[20:23], s[0:1], 0x8
	s_load_dwordx2 s[24:25], s[0:1], 0x18
	v_cvt_f64_i32_e32 v[10:11], s18
	s_mov_b32 s3, 0x40c00000
	v_min_f64 v[10:11], v[10:11], s[2:3]
	s_cmp_lg_u32 s18, 0
	v_and_b32_e32 v0, 0x3ff, v0
	v_cvt_u32_f64_e32 v10, v[10:11]
	v_lshlrev_b32_e32 v9, 3, v0
	s_cselect_b64 s[2:3], -1, 0
	s_ashr_i32 s27, s18, 31
	s_mov_b32 s26, s18
	s_mul_i32 s28, s18, 3
	v_cmp_eq_u32_e64 s[0:1], 63, v0
	v_lshlrev_b32_e32 v0, 4, v0
	s_lshl_b32 s47, s12, 9
	s_ashr_i32 s29, s28, 31
	s_add_i32 s49, s19, -7
	s_lshl_b64 s[30:31], s[26:27], 1
	s_lshl_b64 s[34:35], s[26:27], 2
	v_lshl_add_u32 v57, v1, 10, v0
	v_cndmask_b32_e64 v0, 0, 1, s[2:3]
	v_cmp_ne_u32_e32 vcc, 0, v10
	v_readfirstlane_b32 s46, v10
	s_waitcnt lgkmcnt(0)
	s_add_u32 s36, s24, 2
	v_lshl_add_u32 v60, v1, 9, v9
	v_cmp_ne_u32_e64 s[2:3], 1, v0
	v_cndmask_b32_e64 v0, 0, 1, vcc
	s_mul_i32 s48, s48, s13
	s_addc_u32 s37, s25, 0
	v_mul_lo_u32 v56, v10, 6
	s_lshl_b32 s50, s12, 10
	v_lshlrev_b32_e32 v58, 2, v10
	v_lshlrev_b32_e32 v59, 1, v10
	v_lshl_add_u32 v61, s18, 1, v60
	v_add_u32_e32 v62, s28, v60
	v_add_u32_e32 v63, s18, v60
	s_mov_b64 s[38:39], 0
	v_cmp_ne_u32_e64 s[4:5], 1, v0
	v_mov_b32_e32 v1, 0
	s_lshl_b32 s51, s46, 1
	s_branch .LBB53_12
.LBB53_9:                               ;   in Loop: Header=BB53_12 Depth=1
	s_or_b64 exec, exec, s[10:11]
	v_mov_b32_e32 v54, s49
.LBB53_10:                              ;   in Loop: Header=BB53_12 Depth=1
	s_or_b64 exec, exec, s[8:9]
.LBB53_11:                              ;   in Loop: Header=BB53_12 Depth=1
	s_or_b64 exec, exec, s[40:41]
	v_cmp_le_u32_e32 vcc, s33, v54
	s_or_b64 s[38:39], vcc, s[38:39]
	s_andn2_b64 exec, exec, s[38:39]
	s_cbranch_execz .LBB53_92
.LBB53_12:                              ; =>This Loop Header: Depth=1
                                        ;     Child Loop BB53_16 Depth 2
                                        ;       Child Loop BB53_21 Depth 3
                                        ;     Child Loop BB53_63 Depth 2
	s_mov_b32 s14, 0
	s_and_b64 vcc, exec, s[2:3]
	v_mov_b32_e32 v64, v1
	v_mov_b32_e32 v65, v1
	;; [unrolled: 1-line block ×28, first 2 shown]
	s_cbranch_vccnz .LBB53_27
; %bb.13:                               ;   in Loop: Header=BB53_12 Depth=1
	v_cmp_gt_u32_e64 s[6:7], s19, v54
	v_mul_lo_u32 v91, v54, s18
	v_mov_b32_e32 v87, 0
	v_mov_b32_e32 v88, 0
	v_mov_b32_e32 v89, 0
	v_mov_b32_e32 v90, 0
	v_mov_b32_e32 v55, 0
	v_mov_b32_e32 v86, 0
	v_mov_b32_e32 v85, 0
	v_mov_b32_e32 v84, 0
	v_mov_b32_e32 v83, 0
	v_mov_b32_e32 v82, 0
	v_mov_b32_e32 v81, 0
	v_mov_b32_e32 v80, 0
	v_mov_b32_e32 v79, 0
	v_mov_b32_e32 v78, 0
	v_mov_b32_e32 v77, 0
	v_mov_b32_e32 v76, 0
	v_mov_b32_e32 v75, 0
	v_mov_b32_e32 v74, 0
	v_mov_b32_e32 v73, 0
	v_mov_b32_e32 v72, 0
	v_mov_b32_e32 v71, 0
	v_mov_b32_e32 v70, 0
	v_mov_b32_e32 v69, 0
	v_mov_b32_e32 v68, 0
	v_mov_b32_e32 v67, 0
	v_mov_b32_e32 v66, 0
	v_mov_b32_e32 v65, 0
	v_mov_b32_e32 v64, 0
	s_mov_b32 s15, 0
	s_branch .LBB53_16
.LBB53_14:                              ;   in Loop: Header=BB53_16 Depth=2
	s_or_b64 exec, exec, s[10:11]
.LBB53_15:                              ;   in Loop: Header=BB53_16 Depth=2
	s_or_b64 exec, exec, s[8:9]
	s_addk_i32 s15, 0x200
	s_cmp_ge_u32 s15, s18
	s_cbranch_scc1 .LBB53_27
.LBB53_16:                              ;   Parent Loop BB53_12 Depth=1
                                        ; =>  This Loop Header: Depth=2
                                        ;       Child Loop BB53_21 Depth 3
	s_cmp_eq_u32 s15, 0
	s_cselect_b64 s[8:9], -1, 0
	s_add_i32 s10, s14, s46
	s_cmp_eq_u32 s15, s10
	s_cselect_b64 s[12:13], -1, 0
	s_or_b64 s[12:13], s[8:9], s[12:13]
	s_andn2_b64 vcc, exec, s[12:13]
	s_cbranch_vccz .LBB53_18
; %bb.17:                               ;   in Loop: Header=BB53_16 Depth=2
	s_and_saveexec_b64 s[8:9], s[6:7]
	s_cbranch_execz .LBB53_15
	s_branch .LBB53_25
.LBB53_18:                              ;   in Loop: Header=BB53_16 Depth=2
	s_and_b64 s[8:9], s[8:9], exec
	s_cselect_b32 s14, s14, s10
	s_and_b64 vcc, exec, s[4:5]
	s_barrier
	s_cbranch_vccnz .LBB53_24
; %bb.19:                               ;   in Loop: Header=BB53_16 Depth=2
	v_add_u32_e32 v10, s14, v61
	v_add_u32_e32 v11, s14, v62
	;; [unrolled: 1-line block ×4, first 2 shown]
	s_mov_b32 s16, 0
	s_mov_b64 s[10:11], 0
	v_mov_b32_e32 v14, v57
                                        ; implicit-def: $sgpr12_sgpr13
	s_branch .LBB53_21
.LBB53_20:                              ;   in Loop: Header=BB53_21 Depth=3
	s_or_b64 exec, exec, s[8:9]
	s_and_b64 s[8:9], exec, s[12:13]
	s_or_b64 s[10:11], s[8:9], s[10:11]
	s_andn2_b64 exec, exec, s[10:11]
	s_cbranch_execz .LBB53_23
.LBB53_21:                              ;   Parent Loop BB53_12 Depth=1
                                        ;     Parent Loop BB53_16 Depth=2
                                        ; =>    This Inner Loop Header: Depth=3
	v_add_u32_e32 v15, s16, v60
	v_add_u32_e32 v0, s16, v13
	v_cmp_gt_u32_e32 vcc, s18, v0
	v_cmp_gt_u32_e64 s[8:9], s46, v15
	s_and_b64 s[40:41], vcc, s[8:9]
	s_or_b64 s[12:13], s[12:13], exec
	s_and_saveexec_b64 s[8:9], s[40:41]
	s_cbranch_execz .LBB53_20
; %bb.22:                               ;   in Loop: Header=BB53_21 Depth=3
	v_lshl_add_u64 v[24:25], v[0:1], 1, s[22:23]
	v_add_u32_e32 v0, s16, v12
	v_lshl_add_u64 v[26:27], v[0:1], 1, s[22:23]
	v_add_u32_e32 v0, s16, v10
	global_load_dwordx4 v[16:19], v[24:25], off
	global_load_dwordx4 v[20:23], v[26:27], off
	v_lshl_add_u64 v[24:25], v[0:1], 1, s[22:23]
	v_add_u32_e32 v0, s16, v11
	global_load_dwordx4 v[24:27], v[24:25], off
	v_lshl_add_u64 v[28:29], v[0:1], 1, s[22:23]
	global_load_dwordx4 v[28:31], v[28:29], off
	s_add_i32 s16, s16, s47
	s_cmp_ge_u32 s16, s46
	s_cselect_b64 s[40:41], -1, 0
	s_andn2_b64 s[12:13], s[12:13], exec
	s_and_b64 s[40:41], s[40:41], exec
	v_add_u32_e32 v0, v14, v59
	v_add_u32_e32 v15, v14, v58
	;; [unrolled: 1-line block ×3, first 2 shown]
	s_or_b64 s[12:13], s[12:13], s[40:41]
	s_waitcnt vmcnt(3)
	ds_write_b128 v14, v[16:19]
	v_add_u32_e32 v14, s50, v14
	s_waitcnt vmcnt(2)
	ds_write2_b64 v0, v[20:21], v[22:23] offset1:1
	s_waitcnt vmcnt(1)
	ds_write2_b32 v15, v24, v25 offset1:1
	ds_write2_b32 v15, v26, v27 offset0:2 offset1:3
	s_waitcnt vmcnt(0)
	ds_write2_b64 v32, v[28:29], v[30:31] offset1:1
	s_branch .LBB53_20
.LBB53_23:                              ;   in Loop: Header=BB53_16 Depth=2
	s_or_b64 exec, exec, s[10:11]
.LBB53_24:                              ;   in Loop: Header=BB53_16 Depth=2
	s_waitcnt lgkmcnt(0)
	s_barrier
	s_and_saveexec_b64 s[8:9], s[6:7]
	s_cbranch_execz .LBB53_15
.LBB53_25:                              ;   in Loop: Header=BB53_16 Depth=2
	v_add_u32_e32 v38, s15, v9
	v_cmp_gt_u32_e32 vcc, s18, v38
	s_and_saveexec_b64 s[10:11], vcc
	s_cbranch_execz .LBB53_14
; %bb.26:                               ;   in Loop: Header=BB53_16 Depth=2
	v_add_u32_e32 v0, v38, v91
	v_lshl_add_u64 v[10:11], v[0:1], 1, s[20:21]
	v_lshl_add_u64 v[12:13], s[26:27], 1, v[10:11]
	global_load_dwordx4 v[34:37], v[10:11], off nt
	global_load_dwordx4 v[26:29], v[12:13], off nt
	v_lshl_add_u64 v[12:13], v[12:13], 0, s[30:31]
	v_lshl_add_u64 v[10:11], s[28:29], 1, v[10:11]
	global_load_dwordx4 v[30:33], v[12:13], off nt
	global_load_dwordx4 v[22:25], v[10:11], off nt
	v_lshl_add_u64 v[10:11], v[12:13], 0, s[34:35]
	global_load_dwordx4 v[18:21], v[10:11], off nt
	v_lshl_add_u64 v[10:11], v[10:11], 0, s[30:31]
	v_subrev_u32_e32 v0, s14, v38
	global_load_dwordx4 v[14:17], v[10:11], off nt
	v_lshl_add_u64 v[10:11], v[10:11], 0, s[30:31]
	v_lshlrev_b32_e32 v0, 1, v0
	global_load_dwordx4 v[10:13], v[10:11], off nt
	v_add_u32_e32 v38, s51, v0
	ds_read_b128 v[46:49], v0
	ds_read_b128 v[50:53], v38
	v_add_u32_e32 v0, s51, v38
	ds_read_b128 v[42:45], v0
	v_add_u32_e32 v0, s51, v0
	ds_read_b128 v[38:41], v0
	s_waitcnt vmcnt(6) lgkmcnt(3)
	;;#ASMSTART
	v_dot2c_f32_f16 v55, v46, v34
	;;#ASMEND
	s_waitcnt lgkmcnt(2)
	;;#ASMSTART
	v_dot2c_f32_f16 v84, v50, v34
	;;#ASMEND
	s_waitcnt lgkmcnt(1)
	;;#ASMSTART
	v_dot2c_f32_f16 v77, v42, v34
	;;#ASMEND
	s_waitcnt vmcnt(5)
	;;#ASMSTART
	v_dot2c_f32_f16 v90, v46, v26
	;;#ASMEND
	;;#ASMSTART
	v_dot2c_f32_f16 v83, v50, v26
	;;#ASMEND
	;;#ASMSTART
	v_dot2c_f32_f16 v76, v42, v26
	;;#ASMEND
	s_waitcnt vmcnt(2)
	;;#ASMSTART
	v_dot2c_f32_f16 v87, v46, v18
	;;#ASMEND
	;;#ASMSTART
	v_dot2c_f32_f16 v80, v50, v18
	;;#ASMEND
	;; [unrolled: 10-line block ×4, first 2 shown]
	;;#ASMSTART
	v_dot2c_f32_f16 v71, v42, v10
	;;#ASMEND
	s_waitcnt lgkmcnt(0)
	;;#ASMSTART
	v_dot2c_f32_f16 v70, v38, v34
	;;#ASMEND
	;;#ASMSTART
	v_dot2c_f32_f16 v69, v38, v26
	;;#ASMEND
	;; [unrolled: 3-line block ×20, first 2 shown]
	s_nop 0
	;;#ASMSTART
	v_dot2c_f32_f16 v70, v39, v35
	;;#ASMEND
	;;#ASMSTART
	v_dot2c_f32_f16 v69, v39, v27
	;;#ASMEND
	;; [unrolled: 3-line block ×20, first 2 shown]
	s_nop 0
	;;#ASMSTART
	v_dot2c_f32_f16 v70, v40, v36
	;;#ASMEND
	;;#ASMSTART
	v_dot2c_f32_f16 v69, v40, v28
	;;#ASMEND
	;; [unrolled: 3-line block ×14, first 2 shown]
	s_nop 0
	;;#ASMSTART
	v_dot2c_f32_f16 v89, v47, v31
	;;#ASMEND
	;;#ASMSTART
	v_dot2c_f32_f16 v88, v47, v23
	;;#ASMEND
	;; [unrolled: 3-line block ×8, first 2 shown]
	s_nop 0
	;;#ASMSTART
	v_dot2c_f32_f16 v89, v48, v32
	;;#ASMEND
	;;#ASMSTART
	v_dot2c_f32_f16 v88, v48, v24
	;;#ASMEND
	;; [unrolled: 3-line block ×11, first 2 shown]
	s_nop 0
	;;#ASMSTART
	v_dot2c_f32_f16 v89, v49, v33
	;;#ASMEND
	;;#ASMSTART
	v_dot2c_f32_f16 v88, v49, v25
	;;#ASMEND
	;; [unrolled: 3-line block ×24, first 2 shown]
	s_branch .LBB53_14
.LBB53_27:                              ;   in Loop: Header=BB53_12 Depth=1
	v_cmp_le_u32_e32 vcc, s19, v54
	s_and_saveexec_b64 s[6:7], vcc
	s_xor_b64 s[6:7], exec, s[6:7]
; %bb.28:                               ;   in Loop: Header=BB53_12 Depth=1
	v_add_u32_e32 v54, s48, v54
                                        ; implicit-def: $vgpr64
                                        ; implicit-def: $vgpr65
                                        ; implicit-def: $vgpr66
                                        ; implicit-def: $vgpr67
                                        ; implicit-def: $vgpr68
                                        ; implicit-def: $vgpr69
                                        ; implicit-def: $vgpr70
                                        ; implicit-def: $vgpr71
                                        ; implicit-def: $vgpr72
                                        ; implicit-def: $vgpr73
                                        ; implicit-def: $vgpr74
                                        ; implicit-def: $vgpr75
                                        ; implicit-def: $vgpr76
                                        ; implicit-def: $vgpr77
                                        ; implicit-def: $vgpr78
                                        ; implicit-def: $vgpr79
                                        ; implicit-def: $vgpr80
                                        ; implicit-def: $vgpr81
                                        ; implicit-def: $vgpr82
                                        ; implicit-def: $vgpr83
                                        ; implicit-def: $vgpr84
                                        ; implicit-def: $vgpr85
                                        ; implicit-def: $vgpr86
                                        ; implicit-def: $vgpr55
                                        ; implicit-def: $vgpr90
                                        ; implicit-def: $vgpr89
                                        ; implicit-def: $vgpr88
                                        ; implicit-def: $vgpr87
; %bb.29:                               ;   in Loop: Header=BB53_12 Depth=1
	s_andn2_saveexec_b64 s[40:41], s[6:7]
	s_cbranch_execz .LBB53_11
; %bb.30:                               ;   in Loop: Header=BB53_12 Depth=1
	;;#ASMSTART
	s_nop 0
	v_add_f32 v55, v55, v55 row_shr:8 bound_ctrl:0 
	;;#ASMEND
	;;#ASMSTART
	s_nop 0
	v_add_f32 v90, v90, v90 row_shr:8 bound_ctrl:0 
	;;#ASMEND
	;; [unrolled: 4-line block ×28, first 2 shown]
	s_nop 0
	;;#ASMSTART
	s_nop 0
	v_add_f32 v55, v55, v55 row_shr:4 bound_ctrl:0 
	;;#ASMEND
	;;#ASMSTART
	s_nop 0
	v_add_f32 v90, v90, v90 row_shr:4 bound_ctrl:0 
	;;#ASMEND
	;; [unrolled: 4-line block ×28, first 2 shown]
	s_nop 0
	;;#ASMSTART
	s_nop 0
	v_add_f32 v55, v55, v55 row_shr:2 bound_ctrl:0 
	;;#ASMEND
	;;#ASMSTART
	s_nop 0
	v_add_f32 v90, v90, v90 row_shr:2 bound_ctrl:0 
	;;#ASMEND
	;; [unrolled: 4-line block ×28, first 2 shown]
	s_nop 0
	;;#ASMSTART
	s_nop 0
	v_add_f32 v55, v55, v55 wave_shr:1 bound_ctrl:0
	;;#ASMEND
	;;#ASMSTART
	s_nop 0
	v_add_f32 v90, v90, v90 wave_shr:1 bound_ctrl:0
	;;#ASMEND
	;; [unrolled: 4-line block ×28, first 2 shown]
	s_nop 0
	;;#ASMSTART
	s_nop 0
	v_add_f32 v55, v55, v55 row_bcast:15 bound_ctrl:0
	;;#ASMEND
	;;#ASMSTART
	s_nop 0
	v_add_f32 v90, v90, v90 row_bcast:15 bound_ctrl:0
	;;#ASMEND
	;; [unrolled: 4-line block ×28, first 2 shown]
	s_nop 0
	;;#ASMSTART
	s_nop 0
	v_add_f32 v55, v55, v55 row_bcast:31 bound_ctrl:0
	;;#ASMEND
	;;#ASMSTART
	s_nop 0
	v_add_f32 v90, v90, v90 row_bcast:31 bound_ctrl:0
	;;#ASMEND
	;;#ASMSTART
	s_nop 0
	v_add_f32 v89, v89, v89 row_bcast:31 bound_ctrl:0
	;;#ASMEND
	;;#ASMSTART
	s_nop 0
	v_add_f32 v88, v88, v88 row_bcast:31 bound_ctrl:0
	;;#ASMEND
	;;#ASMSTART
	s_nop 0
	v_add_f32 v87, v87, v87 row_bcast:31 bound_ctrl:0
	;;#ASMEND
	;;#ASMSTART
	s_nop 0
	v_add_f32 v86, v86, v86 row_bcast:31 bound_ctrl:0
	;;#ASMEND
	;;#ASMSTART
	s_nop 0
	v_add_f32 v85, v85, v85 row_bcast:31 bound_ctrl:0
	;;#ASMEND
	;;#ASMSTART
	s_nop 0
	v_add_f32 v84, v84, v84 row_bcast:31 bound_ctrl:0
	;;#ASMEND
	;;#ASMSTART
	s_nop 0
	v_add_f32 v83, v83, v83 row_bcast:31 bound_ctrl:0
	;;#ASMEND
	;;#ASMSTART
	s_nop 0
	v_add_f32 v82, v82, v82 row_bcast:31 bound_ctrl:0
	;;#ASMEND
	;;#ASMSTART
	s_nop 0
	v_add_f32 v81, v81, v81 row_bcast:31 bound_ctrl:0
	;;#ASMEND
	;;#ASMSTART
	s_nop 0
	v_add_f32 v80, v80, v80 row_bcast:31 bound_ctrl:0
	;;#ASMEND
	;;#ASMSTART
	s_nop 0
	v_add_f32 v79, v79, v79 row_bcast:31 bound_ctrl:0
	;;#ASMEND
	;;#ASMSTART
	s_nop 0
	v_add_f32 v78, v78, v78 row_bcast:31 bound_ctrl:0
	;;#ASMEND
	;;#ASMSTART
	s_nop 0
	v_add_f32 v77, v77, v77 row_bcast:31 bound_ctrl:0
	;;#ASMEND
	;;#ASMSTART
	s_nop 0
	v_add_f32 v76, v76, v76 row_bcast:31 bound_ctrl:0
	;;#ASMEND
	;;#ASMSTART
	s_nop 0
	v_add_f32 v75, v75, v75 row_bcast:31 bound_ctrl:0
	;;#ASMEND
	;;#ASMSTART
	s_nop 0
	v_add_f32 v74, v74, v74 row_bcast:31 bound_ctrl:0
	;;#ASMEND
	;;#ASMSTART
	s_nop 0
	v_add_f32 v73, v73, v73 row_bcast:31 bound_ctrl:0
	;;#ASMEND
	;;#ASMSTART
	s_nop 0
	v_add_f32 v72, v72, v72 row_bcast:31 bound_ctrl:0
	;;#ASMEND
	;;#ASMSTART
	s_nop 0
	v_add_f32 v71, v71, v71 row_bcast:31 bound_ctrl:0
	;;#ASMEND
	;;#ASMSTART
	s_nop 0
	v_add_f32 v70, v70, v70 row_bcast:31 bound_ctrl:0
	;;#ASMEND
	;;#ASMSTART
	s_nop 0
	v_add_f32 v69, v69, v69 row_bcast:31 bound_ctrl:0
	;;#ASMEND
	;;#ASMSTART
	s_nop 0
	v_add_f32 v68, v68, v68 row_bcast:31 bound_ctrl:0
	;;#ASMEND
	;;#ASMSTART
	s_nop 0
	v_add_f32 v67, v67, v67 row_bcast:31 bound_ctrl:0
	;;#ASMEND
	;;#ASMSTART
	s_nop 0
	v_add_f32 v66, v66, v66 row_bcast:31 bound_ctrl:0
	;;#ASMEND
	;;#ASMSTART
	s_nop 0
	v_add_f32 v65, v65, v65 row_bcast:31 bound_ctrl:0
	;;#ASMEND
	;;#ASMSTART
	s_nop 0
	v_add_f32 v64, v64, v64 row_bcast:31 bound_ctrl:0
	;;#ASMEND
	s_and_saveexec_b64 s[42:43], s[0:1]
	s_cbranch_execz .LBB53_60
; %bb.31:                               ;   in Loop: Header=BB53_12 Depth=1
	v_cmp_ne_u32_e32 vcc, 0, v2
	s_and_saveexec_b64 s[6:7], vcc
	s_cbranch_execnz .LBB53_65
; %bb.32:                               ;   in Loop: Header=BB53_12 Depth=1
	s_or_b64 exec, exec, s[6:7]
	v_cmp_ne_u32_e64 s[6:7], 0, v3
	s_and_saveexec_b64 s[8:9], s[6:7]
	s_cbranch_execnz .LBB53_66
.LBB53_33:                              ;   in Loop: Header=BB53_12 Depth=1
	s_or_b64 exec, exec, s[8:9]
	v_cmp_ne_u32_e64 s[8:9], 0, v4
	s_and_saveexec_b64 s[10:11], s[8:9]
	s_cbranch_execnz .LBB53_67
.LBB53_34:                              ;   in Loop: Header=BB53_12 Depth=1
	s_or_b64 exec, exec, s[10:11]
	v_cmp_ne_u32_e64 s[10:11], 0, v5
	s_and_saveexec_b64 s[12:13], s[10:11]
	s_cbranch_execnz .LBB53_68
.LBB53_35:                              ;   in Loop: Header=BB53_12 Depth=1
	s_or_b64 exec, exec, s[12:13]
	v_cmp_ne_u32_e64 s[12:13], 0, v6
	s_and_saveexec_b64 s[14:15], s[12:13]
	s_cbranch_execnz .LBB53_69
.LBB53_36:                              ;   in Loop: Header=BB53_12 Depth=1
	s_or_b64 exec, exec, s[14:15]
	v_cmp_ne_u32_e64 s[14:15], 0, v7
	s_and_saveexec_b64 s[16:17], s[14:15]
	s_cbranch_execnz .LBB53_70
.LBB53_37:                              ;   in Loop: Header=BB53_12 Depth=1
	s_or_b64 exec, exec, s[16:17]
	v_cmp_ne_u32_e64 s[16:17], 0, v8
	s_and_saveexec_b64 s[44:45], s[16:17]
	s_cbranch_execnz .LBB53_71
.LBB53_38:                              ;   in Loop: Header=BB53_12 Depth=1
	s_or_b64 exec, exec, s[44:45]
	v_add_u32_e32 v0, s19, v54
	s_and_saveexec_b64 s[44:45], vcc
	s_cbranch_execnz .LBB53_72
.LBB53_39:                              ;   in Loop: Header=BB53_12 Depth=1
	s_or_b64 exec, exec, s[44:45]
	s_and_saveexec_b64 s[44:45], s[6:7]
	s_cbranch_execnz .LBB53_73
.LBB53_40:                              ;   in Loop: Header=BB53_12 Depth=1
	s_or_b64 exec, exec, s[44:45]
	s_and_saveexec_b64 s[44:45], s[8:9]
	s_cbranch_execnz .LBB53_74
.LBB53_41:                              ;   in Loop: Header=BB53_12 Depth=1
	s_or_b64 exec, exec, s[44:45]
	s_and_saveexec_b64 s[44:45], s[10:11]
	s_cbranch_execnz .LBB53_75
.LBB53_42:                              ;   in Loop: Header=BB53_12 Depth=1
	s_or_b64 exec, exec, s[44:45]
	s_and_saveexec_b64 s[44:45], s[12:13]
	s_cbranch_execnz .LBB53_76
.LBB53_43:                              ;   in Loop: Header=BB53_12 Depth=1
	s_or_b64 exec, exec, s[44:45]
	s_and_saveexec_b64 s[44:45], s[14:15]
	s_cbranch_execnz .LBB53_77
.LBB53_44:                              ;   in Loop: Header=BB53_12 Depth=1
	s_or_b64 exec, exec, s[44:45]
	s_and_saveexec_b64 s[44:45], s[16:17]
	s_cbranch_execnz .LBB53_78
.LBB53_45:                              ;   in Loop: Header=BB53_12 Depth=1
	s_or_b64 exec, exec, s[44:45]
	v_add_u32_e32 v0, s19, v0
	s_and_saveexec_b64 s[44:45], vcc
	s_cbranch_execnz .LBB53_79
.LBB53_46:                              ;   in Loop: Header=BB53_12 Depth=1
	s_or_b64 exec, exec, s[44:45]
	s_and_saveexec_b64 s[44:45], s[6:7]
	s_cbranch_execnz .LBB53_80
.LBB53_47:                              ;   in Loop: Header=BB53_12 Depth=1
	s_or_b64 exec, exec, s[44:45]
	s_and_saveexec_b64 s[44:45], s[8:9]
	s_cbranch_execnz .LBB53_81
.LBB53_48:                              ;   in Loop: Header=BB53_12 Depth=1
	s_or_b64 exec, exec, s[44:45]
	s_and_saveexec_b64 s[44:45], s[10:11]
	s_cbranch_execnz .LBB53_82
.LBB53_49:                              ;   in Loop: Header=BB53_12 Depth=1
	s_or_b64 exec, exec, s[44:45]
	s_and_saveexec_b64 s[44:45], s[12:13]
	s_cbranch_execnz .LBB53_83
.LBB53_50:                              ;   in Loop: Header=BB53_12 Depth=1
	s_or_b64 exec, exec, s[44:45]
	s_and_saveexec_b64 s[44:45], s[14:15]
	s_cbranch_execnz .LBB53_84
.LBB53_51:                              ;   in Loop: Header=BB53_12 Depth=1
	s_or_b64 exec, exec, s[44:45]
	s_and_saveexec_b64 s[44:45], s[16:17]
	s_cbranch_execnz .LBB53_85
.LBB53_52:                              ;   in Loop: Header=BB53_12 Depth=1
	s_or_b64 exec, exec, s[44:45]
	v_add_u32_e32 v0, s19, v0
	s_and_saveexec_b64 s[44:45], vcc
	s_cbranch_execnz .LBB53_86
.LBB53_53:                              ;   in Loop: Header=BB53_12 Depth=1
	s_or_b64 exec, exec, s[44:45]
	s_and_saveexec_b64 s[44:45], s[6:7]
	s_cbranch_execnz .LBB53_87
.LBB53_54:                              ;   in Loop: Header=BB53_12 Depth=1
	s_or_b64 exec, exec, s[44:45]
	s_and_saveexec_b64 s[6:7], s[8:9]
	s_cbranch_execnz .LBB53_88
.LBB53_55:                              ;   in Loop: Header=BB53_12 Depth=1
	s_or_b64 exec, exec, s[6:7]
	s_and_saveexec_b64 s[6:7], s[10:11]
	s_cbranch_execnz .LBB53_89
.LBB53_56:                              ;   in Loop: Header=BB53_12 Depth=1
	s_or_b64 exec, exec, s[6:7]
	s_and_saveexec_b64 s[6:7], s[12:13]
	s_cbranch_execnz .LBB53_90
.LBB53_57:                              ;   in Loop: Header=BB53_12 Depth=1
	s_or_b64 exec, exec, s[6:7]
	s_and_saveexec_b64 s[6:7], s[14:15]
	s_cbranch_execnz .LBB53_91
.LBB53_58:                              ;   in Loop: Header=BB53_12 Depth=1
	s_or_b64 exec, exec, s[6:7]
	s_and_b64 exec, exec, s[16:17]
	s_cbranch_execz .LBB53_60
.LBB53_59:                              ;   in Loop: Header=BB53_12 Depth=1
	v_cvt_f16_f32_e32 v12, v64
	v_add_u32_e32 v0, 6, v0
	v_lshl_add_u64 v[10:11], v[0:1], 1, s[24:25]
	global_store_short v[10:11], v12, off
.LBB53_60:                              ;   in Loop: Header=BB53_12 Depth=1
	s_or_b64 exec, exec, s[42:43]
	v_add_u32_e32 v54, s48, v54
	v_add_u32_e32 v0, 7, v54
	v_cmp_gt_u32_e32 vcc, s19, v54
	v_cmp_le_u32_e64 s[6:7], s19, v0
	s_and_b64 s[6:7], vcc, s[6:7]
	s_and_saveexec_b64 s[8:9], s[6:7]
	s_cbranch_execz .LBB53_10
; %bb.61:                               ;   in Loop: Header=BB53_12 Depth=1
	v_cmp_ne_u32_e32 vcc, s49, v54
	s_and_saveexec_b64 s[10:11], vcc
	s_cbranch_execz .LBB53_9
; %bb.62:                               ;   in Loop: Header=BB53_12 Depth=1
	v_subrev_u32_e32 v0, s49, v54
	v_cmp_lt_u32_e32 vcc, 1, v0
	s_mov_b64 s[12:13], 0
	s_mov_b64 s[14:15], 0
	v_cndmask_b32_e32 v0, 1, v0, vcc
.LBB53_63:                              ;   Parent Loop BB53_12 Depth=1
                                        ; =>  This Inner Loop Header: Depth=2
	s_cmp_lg_u32 s14, 6
	s_cselect_b64 vcc, -1, 0
	s_cmp_lg_u32 s14, 5
	v_cndmask_b32_e32 v8, 0, v8, vcc
	s_cselect_b64 vcc, -1, 0
	s_cmp_lg_u32 s14, 4
	v_cndmask_b32_e32 v7, 0, v7, vcc
	;; [unrolled: 3-line block ×6, first 2 shown]
	s_cselect_b64 vcc, -1, 0
	s_add_u32 s14, s14, 1
	s_addc_u32 s15, s15, 0
	v_cmp_eq_u32_e64 s[6:7], s14, v0
	s_or_b64 s[12:13], s[6:7], s[12:13]
	v_cndmask_b32_e32 v2, 0, v2, vcc
	s_andn2_b64 exec, exec, s[12:13]
	s_cbranch_execnz .LBB53_63
; %bb.64:                               ;   in Loop: Header=BB53_12 Depth=1
	s_or_b64 exec, exec, s[12:13]
	s_branch .LBB53_9
.LBB53_65:                              ;   in Loop: Header=BB53_12 Depth=1
	v_cvt_f16_f32_e32 v0, v55
	v_mov_b32_e32 v55, v1
	v_lshl_add_u64 v[10:11], v[54:55], 1, s[24:25]
	global_store_short v[10:11], v0, off
	s_or_b64 exec, exec, s[6:7]
	v_cmp_ne_u32_e64 s[6:7], 0, v3
	s_and_saveexec_b64 s[8:9], s[6:7]
	s_cbranch_execz .LBB53_33
.LBB53_66:                              ;   in Loop: Header=BB53_12 Depth=1
	v_cvt_f16_f32_e32 v0, v90
	v_mov_b32_e32 v55, v1
	v_lshl_add_u64 v[10:11], v[54:55], 1, s[36:37]
	global_store_short v[10:11], v0, off
	s_or_b64 exec, exec, s[8:9]
	v_cmp_ne_u32_e64 s[8:9], 0, v4
	s_and_saveexec_b64 s[10:11], s[8:9]
	s_cbranch_execz .LBB53_34
.LBB53_67:                              ;   in Loop: Header=BB53_12 Depth=1
	v_cvt_f16_f32_e32 v12, v89
	v_add_u32_e32 v0, 2, v54
	v_lshl_add_u64 v[10:11], v[0:1], 1, s[24:25]
	global_store_short v[10:11], v12, off
	s_or_b64 exec, exec, s[10:11]
	v_cmp_ne_u32_e64 s[10:11], 0, v5
	s_and_saveexec_b64 s[12:13], s[10:11]
	s_cbranch_execz .LBB53_35
.LBB53_68:                              ;   in Loop: Header=BB53_12 Depth=1
	v_cvt_f16_f32_e32 v12, v88
	v_add_u32_e32 v0, 3, v54
	v_lshl_add_u64 v[10:11], v[0:1], 1, s[24:25]
	global_store_short v[10:11], v12, off
	s_or_b64 exec, exec, s[12:13]
	v_cmp_ne_u32_e64 s[12:13], 0, v6
	s_and_saveexec_b64 s[14:15], s[12:13]
	s_cbranch_execz .LBB53_36
.LBB53_69:                              ;   in Loop: Header=BB53_12 Depth=1
	v_cvt_f16_f32_e32 v12, v87
	v_add_u32_e32 v0, 4, v54
	v_lshl_add_u64 v[10:11], v[0:1], 1, s[24:25]
	global_store_short v[10:11], v12, off
	s_or_b64 exec, exec, s[14:15]
	v_cmp_ne_u32_e64 s[14:15], 0, v7
	s_and_saveexec_b64 s[16:17], s[14:15]
	s_cbranch_execz .LBB53_37
.LBB53_70:                              ;   in Loop: Header=BB53_12 Depth=1
	v_cvt_f16_f32_e32 v12, v86
	v_add_u32_e32 v0, 5, v54
	v_lshl_add_u64 v[10:11], v[0:1], 1, s[24:25]
	global_store_short v[10:11], v12, off
	s_or_b64 exec, exec, s[16:17]
	v_cmp_ne_u32_e64 s[16:17], 0, v8
	s_and_saveexec_b64 s[44:45], s[16:17]
	s_cbranch_execz .LBB53_38
.LBB53_71:                              ;   in Loop: Header=BB53_12 Depth=1
	v_cvt_f16_f32_e32 v12, v85
	v_add_u32_e32 v0, 6, v54
	v_lshl_add_u64 v[10:11], v[0:1], 1, s[24:25]
	global_store_short v[10:11], v12, off
	s_or_b64 exec, exec, s[44:45]
	v_add_u32_e32 v0, s19, v54
	s_and_saveexec_b64 s[44:45], vcc
	s_cbranch_execz .LBB53_39
.LBB53_72:                              ;   in Loop: Header=BB53_12 Depth=1
	v_cvt_f16_f32_e32 v12, v84
	v_lshl_add_u64 v[10:11], v[0:1], 1, s[24:25]
	global_store_short v[10:11], v12, off
	s_or_b64 exec, exec, s[44:45]
	s_and_saveexec_b64 s[44:45], s[6:7]
	s_cbranch_execz .LBB53_40
.LBB53_73:                              ;   in Loop: Header=BB53_12 Depth=1
	v_cvt_f16_f32_e32 v12, v83
	v_add_u32_e32 v10, 1, v0
	v_mov_b32_e32 v11, v1
	v_lshl_add_u64 v[10:11], v[10:11], 1, s[24:25]
	global_store_short v[10:11], v12, off
	s_or_b64 exec, exec, s[44:45]
	s_and_saveexec_b64 s[44:45], s[8:9]
	s_cbranch_execz .LBB53_41
.LBB53_74:                              ;   in Loop: Header=BB53_12 Depth=1
	v_cvt_f16_f32_e32 v12, v82
	v_add_u32_e32 v10, 2, v0
	v_mov_b32_e32 v11, v1
	v_lshl_add_u64 v[10:11], v[10:11], 1, s[24:25]
	global_store_short v[10:11], v12, off
	s_or_b64 exec, exec, s[44:45]
	s_and_saveexec_b64 s[44:45], s[10:11]
	s_cbranch_execz .LBB53_42
.LBB53_75:                              ;   in Loop: Header=BB53_12 Depth=1
	v_cvt_f16_f32_e32 v12, v81
	v_add_u32_e32 v10, 3, v0
	v_mov_b32_e32 v11, v1
	v_lshl_add_u64 v[10:11], v[10:11], 1, s[24:25]
	global_store_short v[10:11], v12, off
	s_or_b64 exec, exec, s[44:45]
	s_and_saveexec_b64 s[44:45], s[12:13]
	s_cbranch_execz .LBB53_43
.LBB53_76:                              ;   in Loop: Header=BB53_12 Depth=1
	v_cvt_f16_f32_e32 v12, v80
	v_add_u32_e32 v10, 4, v0
	v_mov_b32_e32 v11, v1
	v_lshl_add_u64 v[10:11], v[10:11], 1, s[24:25]
	global_store_short v[10:11], v12, off
	s_or_b64 exec, exec, s[44:45]
	s_and_saveexec_b64 s[44:45], s[14:15]
	s_cbranch_execz .LBB53_44
.LBB53_77:                              ;   in Loop: Header=BB53_12 Depth=1
	v_cvt_f16_f32_e32 v12, v79
	v_add_u32_e32 v10, 5, v0
	v_mov_b32_e32 v11, v1
	v_lshl_add_u64 v[10:11], v[10:11], 1, s[24:25]
	global_store_short v[10:11], v12, off
	s_or_b64 exec, exec, s[44:45]
	s_and_saveexec_b64 s[44:45], s[16:17]
	s_cbranch_execz .LBB53_45
.LBB53_78:                              ;   in Loop: Header=BB53_12 Depth=1
	v_cvt_f16_f32_e32 v12, v78
	v_add_u32_e32 v10, 6, v0
	v_mov_b32_e32 v11, v1
	v_lshl_add_u64 v[10:11], v[10:11], 1, s[24:25]
	global_store_short v[10:11], v12, off
	s_or_b64 exec, exec, s[44:45]
	v_add_u32_e32 v0, s19, v0
	s_and_saveexec_b64 s[44:45], vcc
	s_cbranch_execz .LBB53_46
.LBB53_79:                              ;   in Loop: Header=BB53_12 Depth=1
	v_cvt_f16_f32_e32 v12, v77
	v_lshl_add_u64 v[10:11], v[0:1], 1, s[24:25]
	global_store_short v[10:11], v12, off
	s_or_b64 exec, exec, s[44:45]
	s_and_saveexec_b64 s[44:45], s[6:7]
	s_cbranch_execz .LBB53_47
.LBB53_80:                              ;   in Loop: Header=BB53_12 Depth=1
	v_cvt_f16_f32_e32 v12, v76
	v_add_u32_e32 v10, 1, v0
	v_mov_b32_e32 v11, v1
	v_lshl_add_u64 v[10:11], v[10:11], 1, s[24:25]
	global_store_short v[10:11], v12, off
	s_or_b64 exec, exec, s[44:45]
	s_and_saveexec_b64 s[44:45], s[8:9]
	s_cbranch_execz .LBB53_48
.LBB53_81:                              ;   in Loop: Header=BB53_12 Depth=1
	v_cvt_f16_f32_e32 v12, v75
	v_add_u32_e32 v10, 2, v0
	v_mov_b32_e32 v11, v1
	v_lshl_add_u64 v[10:11], v[10:11], 1, s[24:25]
	global_store_short v[10:11], v12, off
	s_or_b64 exec, exec, s[44:45]
	s_and_saveexec_b64 s[44:45], s[10:11]
	s_cbranch_execz .LBB53_49
.LBB53_82:                              ;   in Loop: Header=BB53_12 Depth=1
	v_cvt_f16_f32_e32 v12, v74
	v_add_u32_e32 v10, 3, v0
	v_mov_b32_e32 v11, v1
	v_lshl_add_u64 v[10:11], v[10:11], 1, s[24:25]
	global_store_short v[10:11], v12, off
	s_or_b64 exec, exec, s[44:45]
	s_and_saveexec_b64 s[44:45], s[12:13]
	s_cbranch_execz .LBB53_50
.LBB53_83:                              ;   in Loop: Header=BB53_12 Depth=1
	v_cvt_f16_f32_e32 v12, v73
	v_add_u32_e32 v10, 4, v0
	v_mov_b32_e32 v11, v1
	v_lshl_add_u64 v[10:11], v[10:11], 1, s[24:25]
	global_store_short v[10:11], v12, off
	s_or_b64 exec, exec, s[44:45]
	s_and_saveexec_b64 s[44:45], s[14:15]
	s_cbranch_execz .LBB53_51
.LBB53_84:                              ;   in Loop: Header=BB53_12 Depth=1
	v_cvt_f16_f32_e32 v12, v72
	v_add_u32_e32 v10, 5, v0
	v_mov_b32_e32 v11, v1
	v_lshl_add_u64 v[10:11], v[10:11], 1, s[24:25]
	global_store_short v[10:11], v12, off
	s_or_b64 exec, exec, s[44:45]
	s_and_saveexec_b64 s[44:45], s[16:17]
	s_cbranch_execz .LBB53_52
.LBB53_85:                              ;   in Loop: Header=BB53_12 Depth=1
	v_cvt_f16_f32_e32 v12, v71
	v_add_u32_e32 v10, 6, v0
	v_mov_b32_e32 v11, v1
	v_lshl_add_u64 v[10:11], v[10:11], 1, s[24:25]
	global_store_short v[10:11], v12, off
	s_or_b64 exec, exec, s[44:45]
	v_add_u32_e32 v0, s19, v0
	s_and_saveexec_b64 s[44:45], vcc
	s_cbranch_execz .LBB53_53
.LBB53_86:                              ;   in Loop: Header=BB53_12 Depth=1
	v_cvt_f16_f32_e32 v12, v70
	v_lshl_add_u64 v[10:11], v[0:1], 1, s[24:25]
	global_store_short v[10:11], v12, off
	s_or_b64 exec, exec, s[44:45]
	s_and_saveexec_b64 s[44:45], s[6:7]
	s_cbranch_execz .LBB53_54
.LBB53_87:                              ;   in Loop: Header=BB53_12 Depth=1
	v_cvt_f16_f32_e32 v12, v69
	v_add_u32_e32 v10, 1, v0
	v_mov_b32_e32 v11, v1
	v_lshl_add_u64 v[10:11], v[10:11], 1, s[24:25]
	global_store_short v[10:11], v12, off
	s_or_b64 exec, exec, s[44:45]
	s_and_saveexec_b64 s[6:7], s[8:9]
	s_cbranch_execz .LBB53_55
.LBB53_88:                              ;   in Loop: Header=BB53_12 Depth=1
	v_cvt_f16_f32_e32 v12, v68
	v_add_u32_e32 v10, 2, v0
	v_mov_b32_e32 v11, v1
	v_lshl_add_u64 v[10:11], v[10:11], 1, s[24:25]
	global_store_short v[10:11], v12, off
	s_or_b64 exec, exec, s[6:7]
	s_and_saveexec_b64 s[6:7], s[10:11]
	s_cbranch_execz .LBB53_56
.LBB53_89:                              ;   in Loop: Header=BB53_12 Depth=1
	v_cvt_f16_f32_e32 v12, v67
	v_add_u32_e32 v10, 3, v0
	v_mov_b32_e32 v11, v1
	v_lshl_add_u64 v[10:11], v[10:11], 1, s[24:25]
	global_store_short v[10:11], v12, off
	s_or_b64 exec, exec, s[6:7]
	s_and_saveexec_b64 s[6:7], s[12:13]
	s_cbranch_execz .LBB53_57
.LBB53_90:                              ;   in Loop: Header=BB53_12 Depth=1
	v_cvt_f16_f32_e32 v12, v66
	v_add_u32_e32 v10, 4, v0
	v_mov_b32_e32 v11, v1
	v_lshl_add_u64 v[10:11], v[10:11], 1, s[24:25]
	global_store_short v[10:11], v12, off
	s_or_b64 exec, exec, s[6:7]
	s_and_saveexec_b64 s[6:7], s[14:15]
	s_cbranch_execz .LBB53_58
.LBB53_91:                              ;   in Loop: Header=BB53_12 Depth=1
	v_cvt_f16_f32_e32 v12, v65
	v_add_u32_e32 v10, 5, v0
	v_mov_b32_e32 v11, v1
	v_lshl_add_u64 v[10:11], v[10:11], 1, s[24:25]
	global_store_short v[10:11], v12, off
	s_or_b64 exec, exec, s[6:7]
	s_and_b64 exec, exec, s[16:17]
	s_cbranch_execnz .LBB53_59
	s_branch .LBB53_60
.LBB53_92:
	s_endpgm
	.section	.rodata,"a",@progbits
	.p2align	6, 0x0
	.amdhsa_kernel _ZN5aiter16wvSplitK_hf_big_I6__halfLi64ELi7ELi16ELi8ELi1ELi4EEEviiPKT_S4_PS2_ii
		.amdhsa_group_segment_fixed_size 65536
		.amdhsa_private_segment_fixed_size 0
		.amdhsa_kernarg_size 40
		.amdhsa_user_sgpr_count 2
		.amdhsa_user_sgpr_dispatch_ptr 0
		.amdhsa_user_sgpr_queue_ptr 0
		.amdhsa_user_sgpr_kernarg_segment_ptr 1
		.amdhsa_user_sgpr_dispatch_id 0
		.amdhsa_user_sgpr_kernarg_preload_length 0
		.amdhsa_user_sgpr_kernarg_preload_offset 0
		.amdhsa_user_sgpr_private_segment_size 0
		.amdhsa_uses_dynamic_stack 0
		.amdhsa_enable_private_segment 0
		.amdhsa_system_sgpr_workgroup_id_x 1
		.amdhsa_system_sgpr_workgroup_id_y 0
		.amdhsa_system_sgpr_workgroup_id_z 0
		.amdhsa_system_sgpr_workgroup_info 0
		.amdhsa_system_vgpr_workitem_id 1
		.amdhsa_next_free_vgpr 92
		.amdhsa_next_free_sgpr 52
		.amdhsa_accum_offset 92
		.amdhsa_reserve_vcc 1
		.amdhsa_float_round_mode_32 0
		.amdhsa_float_round_mode_16_64 0
		.amdhsa_float_denorm_mode_32 3
		.amdhsa_float_denorm_mode_16_64 3
		.amdhsa_dx10_clamp 1
		.amdhsa_ieee_mode 1
		.amdhsa_fp16_overflow 0
		.amdhsa_tg_split 0
		.amdhsa_exception_fp_ieee_invalid_op 0
		.amdhsa_exception_fp_denorm_src 0
		.amdhsa_exception_fp_ieee_div_zero 0
		.amdhsa_exception_fp_ieee_overflow 0
		.amdhsa_exception_fp_ieee_underflow 0
		.amdhsa_exception_fp_ieee_inexact 0
		.amdhsa_exception_int_div_zero 0
	.end_amdhsa_kernel
	.section	.text._ZN5aiter16wvSplitK_hf_big_I6__halfLi64ELi7ELi16ELi8ELi1ELi4EEEviiPKT_S4_PS2_ii,"axG",@progbits,_ZN5aiter16wvSplitK_hf_big_I6__halfLi64ELi7ELi16ELi8ELi1ELi4EEEviiPKT_S4_PS2_ii,comdat
.Lfunc_end53:
	.size	_ZN5aiter16wvSplitK_hf_big_I6__halfLi64ELi7ELi16ELi8ELi1ELi4EEEviiPKT_S4_PS2_ii, .Lfunc_end53-_ZN5aiter16wvSplitK_hf_big_I6__halfLi64ELi7ELi16ELi8ELi1ELi4EEEviiPKT_S4_PS2_ii
                                        ; -- End function
	.section	.AMDGPU.csdata,"",@progbits
; Kernel info:
; codeLenInByte = 6964
; NumSgprs: 58
; NumVgprs: 92
; NumAgprs: 0
; TotalNumVgprs: 92
; ScratchSize: 0
; MemoryBound: 0
; FloatMode: 240
; IeeeMode: 1
; LDSByteSize: 65536 bytes/workgroup (compile time only)
; SGPRBlocks: 7
; VGPRBlocks: 11
; NumSGPRsForWavesPerEU: 58
; NumVGPRsForWavesPerEU: 92
; AccumOffset: 92
; Occupancy: 4
; WaveLimiterHint : 0
; COMPUTE_PGM_RSRC2:SCRATCH_EN: 0
; COMPUTE_PGM_RSRC2:USER_SGPR: 2
; COMPUTE_PGM_RSRC2:TRAP_HANDLER: 0
; COMPUTE_PGM_RSRC2:TGID_X_EN: 1
; COMPUTE_PGM_RSRC2:TGID_Y_EN: 0
; COMPUTE_PGM_RSRC2:TGID_Z_EN: 0
; COMPUTE_PGM_RSRC2:TIDIG_COMP_CNT: 1
; COMPUTE_PGM_RSRC3_GFX90A:ACCUM_OFFSET: 22
; COMPUTE_PGM_RSRC3_GFX90A:TG_SPLIT: 0
	.section	.text._ZN5aiter16wvSplitK_hf_sml_I14__hip_bfloat16Li64ELi2ELi16ELi8ELi2ELi1EEEviiPKT_S4_PS2_ii,"axG",@progbits,_ZN5aiter16wvSplitK_hf_sml_I14__hip_bfloat16Li64ELi2ELi16ELi8ELi2ELi1EEEviiPKT_S4_PS2_ii,comdat
	.protected	_ZN5aiter16wvSplitK_hf_sml_I14__hip_bfloat16Li64ELi2ELi16ELi8ELi2ELi1EEEviiPKT_S4_PS2_ii ; -- Begin function _ZN5aiter16wvSplitK_hf_sml_I14__hip_bfloat16Li64ELi2ELi16ELi8ELi2ELi1EEEviiPKT_S4_PS2_ii
	.globl	_ZN5aiter16wvSplitK_hf_sml_I14__hip_bfloat16Li64ELi2ELi16ELi8ELi2ELi1EEEviiPKT_S4_PS2_ii
	.p2align	8
	.type	_ZN5aiter16wvSplitK_hf_sml_I14__hip_bfloat16Li64ELi2ELi16ELi8ELi2ELi1EEEviiPKT_S4_PS2_ii,@function
_ZN5aiter16wvSplitK_hf_sml_I14__hip_bfloat16Li64ELi2ELi16ELi8ELi2ELi1EEEviiPKT_S4_PS2_ii: ; @_ZN5aiter16wvSplitK_hf_sml_I14__hip_bfloat16Li64ELi2ELi16ELi8ELi2ELi1EEEviiPKT_S4_PS2_ii
; %bb.0:
	s_load_dwordx2 s[6:7], s[0:1], 0x0
	v_and_b32_e32 v2, 0x3ff, v0
	v_bfe_u32 v3, v0, 10, 10
	v_lshlrev_b32_e32 v32, 3, v2
	s_mov_b32 s3, 0
	s_waitcnt lgkmcnt(0)
	s_cmp_lg_u32 s6, 0
	s_cselect_b64 s[4:5], -1, 0
	s_cmp_eq_u32 s6, 0
	s_cbranch_scc1 .LBB54_6
; %bb.1:
	s_load_dwordx2 s[8:9], s[0:1], 0x10
	v_lshlrev_b32_e32 v0, 4, v2
	s_min_i32 s16, s6, 0x8000
	v_lshl_add_u32 v4, v3, 10, v0
	v_lshl_add_u32 v5, v3, 9, v32
	s_mov_b64 s[10:11], 0
	v_mov_b32_e32 v1, 0
                                        ; implicit-def: $sgpr12_sgpr13
	s_branch .LBB54_3
.LBB54_2:                               ;   in Loop: Header=BB54_3 Depth=1
	s_or_b64 exec, exec, s[14:15]
	s_and_b64 s[14:15], exec, s[12:13]
	s_or_b64 s[10:11], s[14:15], s[10:11]
	s_andn2_b64 exec, exec, s[10:11]
	s_cbranch_execz .LBB54_5
.LBB54_3:                               ; =>This Inner Loop Header: Depth=1
	v_add_u32_e32 v0, s3, v5
	v_cmp_gt_u32_e32 vcc, s16, v0
	s_or_b64 s[12:13], s[12:13], exec
	s_and_saveexec_b64 s[14:15], vcc
	s_cbranch_execz .LBB54_2
; %bb.4:                                ;   in Loop: Header=BB54_3 Depth=1
	s_waitcnt lgkmcnt(0)
	v_lshl_add_u64 v[6:7], v[0:1], 1, s[8:9]
	global_load_dwordx4 v[6:9], v[6:7], off
	s_addk_i32 s3, 0x2000
	s_cmp_ge_u32 s3, s16
	s_cselect_b64 s[18:19], -1, 0
	s_andn2_b64 s[12:13], s[12:13], exec
	s_and_b64 s[18:19], s[18:19], exec
	s_or_b64 s[12:13], s[12:13], s[18:19]
	s_waitcnt vmcnt(0)
	ds_write_b128 v4, v[6:9]
	v_add_u32_e32 v4, 0x4000, v4
	s_branch .LBB54_2
.LBB54_5:
	s_or_b64 exec, exec, s[10:11]
.LBB54_6:
	s_load_dwordx2 s[12:13], s[0:1], 0x20
	s_waitcnt lgkmcnt(0)
	s_barrier
	v_cmp_gt_u32_e32 vcc, s12, v3
	s_and_saveexec_b64 s[8:9], vcc
	s_cbranch_execz .LBB54_36
; %bb.7:
	s_mul_i32 s2, s2, s12
	v_add_u32_e32 v0, s2, v3
	v_lshlrev_b32_e32 v24, 1, v0
	v_cmp_gt_u32_e32 vcc, s7, v24
	s_and_b64 exec, exec, vcc
	s_cbranch_execz .LBB54_36
; %bb.8:
	s_load_dwordx2 s[8:9], s[0:1], 0x8
	s_load_dwordx2 s[10:11], s[0:1], 0x18
	s_mul_i32 s2, s12, s13
	v_mul_lo_u32 v0, s6, v0
	s_lshl_b32 s20, s2, 1
	v_lshlrev_b32_e32 v34, 1, v0
	s_mul_i32 s2, s2, s6
	v_cndmask_b32_e64 v0, 0, 1, s[4:5]
	s_ashr_i32 s13, s6, 31
	s_mov_b32 s12, s6
	v_cmp_eq_u32_e64 s[0:1], 63, v2
	v_lshlrev_b32_e32 v33, 4, v2
	s_lshl_b32 s21, s2, 1
	s_mov_b64 s[14:15], 0
	v_cmp_ne_u32_e64 s[2:3], 1, v0
	v_mov_b32_e32 v27, 0
	s_mov_b32 s22, 0x7f800000
	s_movk_i32 s23, 0x7fff
                                        ; implicit-def: $vgpr38
                                        ; implicit-def: $vgpr3
                                        ; implicit-def: $vgpr37
                                        ; implicit-def: $vgpr36
                                        ; implicit-def: $vgpr35
                                        ; implicit-def: $vgpr39
                                        ; implicit-def: $vgpr7
                                        ; implicit-def: $vgpr40
                                        ; implicit-def: $vgpr41
                                        ; implicit-def: $vgpr42
                                        ; implicit-def: $vgpr8_vgpr9_vgpr10_vgpr11
                                        ; implicit-def: $vgpr12_vgpr13_vgpr14_vgpr15
                                        ; implicit-def: $vgpr16_vgpr17_vgpr18_vgpr19
                                        ; implicit-def: $vgpr20_vgpr21_vgpr22_vgpr23
	s_branch .LBB54_11
.LBB54_9:                               ;   in Loop: Header=BB54_11 Depth=1
	s_or_b64 exec, exec, s[16:17]
	global_store_short_d16_hi v[30:31], v25, off offset:2
.LBB54_10:                              ;   in Loop: Header=BB54_11 Depth=1
	s_or_b64 exec, exec, s[4:5]
	v_add_u32_e32 v24, s20, v24
	v_cmp_le_u32_e32 vcc, s7, v24
	s_or_b64 s[14:15], vcc, s[14:15]
	v_add_u32_e32 v34, s21, v34
	s_andn2_b64 exec, exec, s[14:15]
	s_cbranch_execz .LBB54_36
.LBB54_11:                              ; =>This Loop Header: Depth=1
                                        ;     Child Loop BB54_15 Depth 2
	s_and_b64 vcc, exec, s[2:3]
	s_cbranch_vccnz .LBB54_26
; %bb.12:                               ;   in Loop: Header=BB54_11 Depth=1
	v_mov_b32_e32 v28, 0
	v_add_u32_e32 v25, v32, v34
	s_mov_b32 s24, 0
	v_mov_b32_e32 v30, v33
	v_mov_b32_e32 v29, v28
	s_branch .LBB54_15
.LBB54_13:                              ;   in Loop: Header=BB54_15 Depth=2
	s_or_b64 exec, exec, s[16:17]
.LBB54_14:                              ;   in Loop: Header=BB54_15 Depth=2
	s_or_b64 exec, exec, s[4:5]
	s_addk_i32 s24, 0x400
	s_cmp_ge_u32 s24, s6
	v_add_u32_e32 v30, 0x800, v30
	s_cbranch_scc1 .LBB54_27
.LBB54_15:                              ;   Parent Loop BB54_11 Depth=1
                                        ; =>  This Inner Loop Header: Depth=2
	v_add_u32_e32 v26, s24, v32
	v_cmp_gt_u32_e32 vcc, s6, v26
	v_add_u32_e32 v31, 0x200, v26
	s_and_saveexec_b64 s[16:17], vcc
	s_cbranch_execnz .LBB54_18
; %bb.16:                               ;   in Loop: Header=BB54_15 Depth=2
	s_or_b64 exec, exec, s[16:17]
	s_and_saveexec_b64 s[16:17], vcc
	s_cbranch_execnz .LBB54_21
.LBB54_17:                              ;   in Loop: Header=BB54_15 Depth=2
	s_or_b64 exec, exec, s[16:17]
	s_and_saveexec_b64 s[4:5], vcc
	s_cbranch_execz .LBB54_14
	s_branch .LBB54_24
.LBB54_18:                              ;   in Loop: Header=BB54_15 Depth=2
	v_add_u32_e32 v26, s24, v25
	s_waitcnt lgkmcnt(0)
	v_lshl_add_u64 v[44:45], v[26:27], 1, s[8:9]
	v_lshl_add_u64 v[46:47], s[12:13], 1, v[44:45]
	global_load_dwordx4 v[20:23], v[44:45], off nt
	global_load_dwordx4 v[12:15], v[46:47], off nt
	v_cmp_gt_u32_e64 s[4:5], s6, v31
	s_and_saveexec_b64 s[18:19], s[4:5]
	s_cbranch_execz .LBB54_20
; %bb.19:                               ;   in Loop: Header=BB54_15 Depth=2
	v_add_u32_e32 v26, 0x200, v26
	v_lshl_add_u64 v[44:45], v[26:27], 1, s[8:9]
	v_lshl_add_u64 v[46:47], s[12:13], 1, v[44:45]
	global_load_dwordx4 v[16:19], v[44:45], off nt
	global_load_dwordx4 v[8:11], v[46:47], off nt
.LBB54_20:                              ;   in Loop: Header=BB54_15 Depth=2
	s_or_b64 exec, exec, s[18:19]
	s_or_b64 exec, exec, s[16:17]
	s_and_saveexec_b64 s[16:17], vcc
	s_cbranch_execz .LBB54_17
.LBB54_21:                              ;   in Loop: Header=BB54_15 Depth=2
	ds_read_b128 v[4:7], v30
	v_cmp_gt_u32_e64 s[4:5], s6, v31
	s_and_saveexec_b64 s[18:19], s[4:5]
	s_cbranch_execz .LBB54_23
; %bb.22:                               ;   in Loop: Header=BB54_15 Depth=2
	ds_read_b128 v[0:3], v30 offset:1024
	s_waitcnt lgkmcnt(0)
	v_lshrrev_b32_e32 v35, 16, v0
	v_lshrrev_b32_e32 v36, 16, v1
	;; [unrolled: 1-line block ×4, first 2 shown]
.LBB54_23:                              ;   in Loop: Header=BB54_15 Depth=2
	s_or_b64 exec, exec, s[18:19]
	s_waitcnt lgkmcnt(0)
	v_lshrrev_b32_e32 v42, 16, v4
	v_lshrrev_b32_e32 v41, 16, v5
	;; [unrolled: 1-line block ×4, first 2 shown]
	s_or_b64 exec, exec, s[16:17]
	s_and_saveexec_b64 s[4:5], vcc
	s_cbranch_execz .LBB54_14
.LBB54_24:                              ;   in Loop: Header=BB54_15 Depth=2
	v_lshlrev_b32_e32 v44, 16, v42
	s_waitcnt vmcnt(1)
	v_and_b32_e32 v61, 0xffff0000, v20
	s_waitcnt vmcnt(0)
	v_and_b32_e32 v60, 0xffff0000, v12
	v_lshlrev_b32_e32 v26, 16, v4
	v_lshlrev_b32_e32 v59, 16, v20
	;; [unrolled: 1-line block ×3, first 2 shown]
	v_pk_mul_f32 v[44:45], v[44:45], v[60:61] op_sel_hi:[0,1]
	v_lshlrev_b32_e32 v48, 16, v41
	v_pk_fma_f32 v[44:45], v[26:27], v[58:59], v[44:45] op_sel_hi:[0,1,1]
	v_and_b32_e32 v59, 0xffff0000, v21
	v_and_b32_e32 v58, 0xffff0000, v13
	v_lshlrev_b32_e32 v46, 16, v5
	v_pk_add_f32 v[28:29], v[28:29], v[44:45]
	v_lshlrev_b32_e32 v45, 16, v21
	v_lshlrev_b32_e32 v44, 16, v13
	v_pk_mul_f32 v[48:49], v[48:49], v[58:59] op_sel_hi:[0,1]
	v_lshlrev_b32_e32 v52, 16, v40
	v_pk_fma_f32 v[44:45], v[46:47], v[44:45], v[48:49] op_sel_hi:[0,1,1]
	v_and_b32_e32 v47, 0xffff0000, v22
	v_and_b32_e32 v46, 0xffff0000, v14
	v_lshlrev_b32_e32 v50, 16, v6
	v_pk_add_f32 v[28:29], v[28:29], v[44:45]
	v_lshlrev_b32_e32 v45, 16, v22
	v_lshlrev_b32_e32 v44, 16, v14
	;; [unrolled: 9-line block ×3, first 2 shown]
	v_pk_mul_f32 v[46:47], v[56:57], v[46:47] op_sel_hi:[0,1]
	v_pk_fma_f32 v[44:45], v[54:55], v[44:45], v[46:47] op_sel_hi:[0,1,1]
	v_pk_add_f32 v[28:29], v[28:29], v[44:45]
	v_cmp_gt_u32_e32 vcc, s6, v31
	s_and_saveexec_b64 s[16:17], vcc
	s_cbranch_execz .LBB54_13
; %bb.25:                               ;   in Loop: Header=BB54_15 Depth=2
	v_lshlrev_b32_e32 v44, 16, v35
	v_and_b32_e32 v61, 0xffff0000, v16
	v_and_b32_e32 v60, 0xffff0000, v8
	v_lshlrev_b32_e32 v26, 16, v0
	v_lshlrev_b32_e32 v59, 16, v16
	v_lshlrev_b32_e32 v58, 16, v8
	v_pk_mul_f32 v[44:45], v[44:45], v[60:61] op_sel_hi:[0,1]
	v_lshlrev_b32_e32 v48, 16, v36
	v_pk_fma_f32 v[44:45], v[26:27], v[58:59], v[44:45] op_sel_hi:[0,1,1]
	v_and_b32_e32 v59, 0xffff0000, v17
	v_and_b32_e32 v58, 0xffff0000, v9
	v_lshlrev_b32_e32 v46, 16, v1
	v_pk_add_f32 v[28:29], v[28:29], v[44:45]
	v_lshlrev_b32_e32 v45, 16, v17
	v_lshlrev_b32_e32 v44, 16, v9
	v_pk_mul_f32 v[48:49], v[48:49], v[58:59] op_sel_hi:[0,1]
	v_lshlrev_b32_e32 v52, 16, v37
	v_pk_fma_f32 v[44:45], v[46:47], v[44:45], v[48:49] op_sel_hi:[0,1,1]
	v_and_b32_e32 v47, 0xffff0000, v18
	v_and_b32_e32 v46, 0xffff0000, v10
	v_lshlrev_b32_e32 v50, 16, v2
	v_pk_add_f32 v[28:29], v[28:29], v[44:45]
	v_lshlrev_b32_e32 v45, 16, v18
	v_lshlrev_b32_e32 v44, 16, v10
	;; [unrolled: 9-line block ×3, first 2 shown]
	v_pk_mul_f32 v[46:47], v[56:57], v[46:47] op_sel_hi:[0,1]
	v_pk_fma_f32 v[44:45], v[54:55], v[44:45], v[46:47] op_sel_hi:[0,1,1]
	v_pk_add_f32 v[28:29], v[28:29], v[44:45]
	s_branch .LBB54_13
.LBB54_26:                              ;   in Loop: Header=BB54_11 Depth=1
	v_mov_b32_e32 v29, v27
	v_mov_b32_e32 v28, v27
.LBB54_27:                              ;   in Loop: Header=BB54_11 Depth=1
	;;#ASMSTART
	s_nop 0
	v_add_f32 v29, v29, v29 row_shr:8 bound_ctrl:0 
	;;#ASMEND
	;;#ASMSTART
	s_nop 0
	v_add_f32 v28, v28, v28 row_shr:8 bound_ctrl:0 
	;;#ASMEND
	s_nop 0
	;;#ASMSTART
	s_nop 0
	v_add_f32 v29, v29, v29 row_shr:4 bound_ctrl:0 
	;;#ASMEND
	;;#ASMSTART
	s_nop 0
	v_add_f32 v28, v28, v28 row_shr:4 bound_ctrl:0 
	;;#ASMEND
	s_nop 0
	;; [unrolled: 9-line block ×3, first 2 shown]
	;;#ASMSTART
	s_nop 0
	v_add_f32 v29, v29, v29 wave_shr:1 bound_ctrl:0
	;;#ASMEND
	;;#ASMSTART
	s_nop 0
	v_add_f32 v28, v28, v28 wave_shr:1 bound_ctrl:0
	;;#ASMEND
	s_nop 0
	;;#ASMSTART
	s_nop 0
	v_add_f32 v29, v29, v29 row_bcast:15 bound_ctrl:0
	;;#ASMEND
	;;#ASMSTART
	s_nop 0
	v_add_f32 v28, v28, v28 row_bcast:15 bound_ctrl:0
	;;#ASMEND
	s_nop 0
	;;#ASMSTART
	s_nop 0
	v_add_f32 v29, v29, v29 row_bcast:31 bound_ctrl:0
	;;#ASMEND
	;;#ASMSTART
	s_nop 0
	v_add_f32 v28, v28, v28 row_bcast:31 bound_ctrl:0
	;;#ASMEND
	s_and_saveexec_b64 s[4:5], s[0:1]
	s_cbranch_execz .LBB54_10
; %bb.28:                               ;   in Loop: Header=BB54_11 Depth=1
	v_and_b32_e32 v25, 0x7f800000, v29
	v_cmp_ne_u32_e32 vcc, s22, v25
                                        ; implicit-def: $vgpr26
	s_and_saveexec_b64 s[16:17], vcc
	s_xor_b64 s[16:17], exec, s[16:17]
; %bb.29:                               ;   in Loop: Header=BB54_11 Depth=1
	v_bfe_u32 v25, v29, 16, 1
	v_add3_u32 v26, v29, v25, s23
; %bb.30:                               ;   in Loop: Header=BB54_11 Depth=1
	s_andn2_saveexec_b64 s[16:17], s[16:17]
; %bb.31:                               ;   in Loop: Header=BB54_11 Depth=1
	v_or_b32_e32 v25, 0x10000, v29
	v_cmp_eq_u32_sdwa vcc, v29, v27 src0_sel:WORD_0 src1_sel:DWORD
	s_nop 1
	v_cndmask_b32_e32 v26, v25, v29, vcc
; %bb.32:                               ;   in Loop: Header=BB54_11 Depth=1
	s_or_b64 exec, exec, s[16:17]
	v_mov_b32_e32 v25, v27
	s_waitcnt lgkmcnt(0)
	v_lshl_add_u64 v[30:31], v[24:25], 1, s[10:11]
	v_and_b32_e32 v25, 0x7f800000, v28
	v_cmp_ne_u32_e32 vcc, s22, v25
	global_store_short_d16_hi v[30:31], v26, off
                                        ; implicit-def: $vgpr25
	s_and_saveexec_b64 s[16:17], vcc
	s_xor_b64 s[16:17], exec, s[16:17]
; %bb.33:                               ;   in Loop: Header=BB54_11 Depth=1
	v_bfe_u32 v25, v28, 16, 1
	v_add3_u32 v25, v28, v25, s23
                                        ; implicit-def: $vgpr28
; %bb.34:                               ;   in Loop: Header=BB54_11 Depth=1
	s_andn2_saveexec_b64 s[16:17], s[16:17]
	s_cbranch_execz .LBB54_9
; %bb.35:                               ;   in Loop: Header=BB54_11 Depth=1
	v_or_b32_e32 v25, 0x10000, v28
	v_cmp_eq_u32_sdwa vcc, v28, v27 src0_sel:WORD_0 src1_sel:DWORD
	s_nop 1
	v_cndmask_b32_e32 v25, v25, v28, vcc
	s_branch .LBB54_9
.LBB54_36:
	s_endpgm
	.section	.rodata,"a",@progbits
	.p2align	6, 0x0
	.amdhsa_kernel _ZN5aiter16wvSplitK_hf_sml_I14__hip_bfloat16Li64ELi2ELi16ELi8ELi2ELi1EEEviiPKT_S4_PS2_ii
		.amdhsa_group_segment_fixed_size 65536
		.amdhsa_private_segment_fixed_size 0
		.amdhsa_kernarg_size 40
		.amdhsa_user_sgpr_count 2
		.amdhsa_user_sgpr_dispatch_ptr 0
		.amdhsa_user_sgpr_queue_ptr 0
		.amdhsa_user_sgpr_kernarg_segment_ptr 1
		.amdhsa_user_sgpr_dispatch_id 0
		.amdhsa_user_sgpr_kernarg_preload_length 0
		.amdhsa_user_sgpr_kernarg_preload_offset 0
		.amdhsa_user_sgpr_private_segment_size 0
		.amdhsa_uses_dynamic_stack 0
		.amdhsa_enable_private_segment 0
		.amdhsa_system_sgpr_workgroup_id_x 1
		.amdhsa_system_sgpr_workgroup_id_y 0
		.amdhsa_system_sgpr_workgroup_id_z 0
		.amdhsa_system_sgpr_workgroup_info 0
		.amdhsa_system_vgpr_workitem_id 1
		.amdhsa_next_free_vgpr 62
		.amdhsa_next_free_sgpr 25
		.amdhsa_accum_offset 64
		.amdhsa_reserve_vcc 1
		.amdhsa_float_round_mode_32 0
		.amdhsa_float_round_mode_16_64 0
		.amdhsa_float_denorm_mode_32 3
		.amdhsa_float_denorm_mode_16_64 3
		.amdhsa_dx10_clamp 1
		.amdhsa_ieee_mode 1
		.amdhsa_fp16_overflow 0
		.amdhsa_tg_split 0
		.amdhsa_exception_fp_ieee_invalid_op 0
		.amdhsa_exception_fp_denorm_src 0
		.amdhsa_exception_fp_ieee_div_zero 0
		.amdhsa_exception_fp_ieee_overflow 0
		.amdhsa_exception_fp_ieee_underflow 0
		.amdhsa_exception_fp_ieee_inexact 0
		.amdhsa_exception_int_div_zero 0
	.end_amdhsa_kernel
	.section	.text._ZN5aiter16wvSplitK_hf_sml_I14__hip_bfloat16Li64ELi2ELi16ELi8ELi2ELi1EEEviiPKT_S4_PS2_ii,"axG",@progbits,_ZN5aiter16wvSplitK_hf_sml_I14__hip_bfloat16Li64ELi2ELi16ELi8ELi2ELi1EEEviiPKT_S4_PS2_ii,comdat
.Lfunc_end54:
	.size	_ZN5aiter16wvSplitK_hf_sml_I14__hip_bfloat16Li64ELi2ELi16ELi8ELi2ELi1EEEviiPKT_S4_PS2_ii, .Lfunc_end54-_ZN5aiter16wvSplitK_hf_sml_I14__hip_bfloat16Li64ELi2ELi16ELi8ELi2ELi1EEEviiPKT_S4_PS2_ii
                                        ; -- End function
	.section	.AMDGPU.csdata,"",@progbits
; Kernel info:
; codeLenInByte = 1588
; NumSgprs: 31
; NumVgprs: 62
; NumAgprs: 0
; TotalNumVgprs: 62
; ScratchSize: 0
; MemoryBound: 0
; FloatMode: 240
; IeeeMode: 1
; LDSByteSize: 65536 bytes/workgroup (compile time only)
; SGPRBlocks: 3
; VGPRBlocks: 7
; NumSGPRsForWavesPerEU: 31
; NumVGPRsForWavesPerEU: 62
; AccumOffset: 64
; Occupancy: 4
; WaveLimiterHint : 0
; COMPUTE_PGM_RSRC2:SCRATCH_EN: 0
; COMPUTE_PGM_RSRC2:USER_SGPR: 2
; COMPUTE_PGM_RSRC2:TRAP_HANDLER: 0
; COMPUTE_PGM_RSRC2:TGID_X_EN: 1
; COMPUTE_PGM_RSRC2:TGID_Y_EN: 0
; COMPUTE_PGM_RSRC2:TGID_Z_EN: 0
; COMPUTE_PGM_RSRC2:TIDIG_COMP_CNT: 1
; COMPUTE_PGM_RSRC3_GFX90A:ACCUM_OFFSET: 15
; COMPUTE_PGM_RSRC3_GFX90A:TG_SPLIT: 0
	.section	.text._ZN5aiter12wvSplitK_hf_I14__hip_bfloat16Li64ELi2ELi16ELi8ELi2ELi1EEEviiPKT_S4_PS2_ii,"axG",@progbits,_ZN5aiter12wvSplitK_hf_I14__hip_bfloat16Li64ELi2ELi16ELi8ELi2ELi1EEEviiPKT_S4_PS2_ii,comdat
	.protected	_ZN5aiter12wvSplitK_hf_I14__hip_bfloat16Li64ELi2ELi16ELi8ELi2ELi1EEEviiPKT_S4_PS2_ii ; -- Begin function _ZN5aiter12wvSplitK_hf_I14__hip_bfloat16Li64ELi2ELi16ELi8ELi2ELi1EEEviiPKT_S4_PS2_ii
	.globl	_ZN5aiter12wvSplitK_hf_I14__hip_bfloat16Li64ELi2ELi16ELi8ELi2ELi1EEEviiPKT_S4_PS2_ii
	.p2align	8
	.type	_ZN5aiter12wvSplitK_hf_I14__hip_bfloat16Li64ELi2ELi16ELi8ELi2ELi1EEEviiPKT_S4_PS2_ii,@function
_ZN5aiter12wvSplitK_hf_I14__hip_bfloat16Li64ELi2ELi16ELi8ELi2ELi1EEEviiPKT_S4_PS2_ii: ; @_ZN5aiter12wvSplitK_hf_I14__hip_bfloat16Li64ELi2ELi16ELi8ELi2ELi1EEEviiPKT_S4_PS2_ii
; %bb.0:
	s_load_dwordx2 s[4:5], s[0:1], 0x20
	s_load_dwordx2 s[6:7], s[0:1], 0x0
	;; [unrolled: 1-line block ×3, first 2 shown]
	v_bfe_u32 v3, v0, 10, 10
	s_mov_b32 s10, 1
	s_waitcnt lgkmcnt(0)
	s_mul_i32 s2, s2, s4
	v_add_lshl_u32 v26, s2, v3, 1
	v_add_u32_e32 v1, 2, v26
	v_cmp_gt_u32_e32 vcc, s7, v26
	v_cmp_le_u32_e64 s[2:3], s7, v1
	s_mov_b32 s11, s10
	s_and_b64 s[12:13], vcc, s[2:3]
	v_mov_b64_e32 v[24:25], s[10:11]
	s_and_saveexec_b64 s[2:3], s[12:13]
	s_cbranch_execz .LBB55_6
; %bb.1:
	s_add_i32 s18, s7, -2
	v_cmp_ne_u32_e32 vcc, s18, v26
	v_mov_b64_e32 v[24:25], s[10:11]
	s_and_saveexec_b64 s[10:11], vcc
	s_cbranch_execz .LBB55_5
; %bb.2:
	v_subrev_u32_e32 v1, s18, v26
	s_mov_b32 s12, 1
	v_cmp_lt_u32_e32 vcc, 1, v1
	s_mov_b64 s[14:15], 0
	s_mov_b64 s[16:17], 0
	v_cndmask_b32_e32 v2, 1, v1, vcc
	s_mov_b32 s13, s12
.LBB55_3:                               ; =>This Inner Loop Header: Depth=1
	s_cmp_lg_u32 s16, 1
	s_cselect_b32 s13, s13, 0
	s_cmp_lg_u32 s16, 0
	s_cselect_b32 s12, s12, 0
	s_add_u32 s16, s16, 1
	s_addc_u32 s17, s17, 0
	v_cmp_eq_u32_e32 vcc, s16, v2
	s_or_b64 s[14:15], vcc, s[14:15]
	v_mov_b64_e32 v[24:25], s[12:13]
	s_andn2_b64 exec, exec, s[14:15]
	s_cbranch_execnz .LBB55_3
; %bb.4:
	s_or_b64 exec, exec, s[14:15]
	v_mov_b32_e32 v26, s18
.LBB55_5:
	s_or_b64 exec, exec, s[10:11]
.LBB55_6:
	s_or_b64 exec, exec, s[2:3]
	v_and_b32_e32 v2, 0x3ff, v0
	s_cmp_lg_u32 s6, 0
	v_lshlrev_b32_e32 v28, 3, v2
	s_mov_b32 s14, 0
	s_cselect_b64 s[18:19], -1, 0
	s_cmp_eq_u32 s6, 0
	v_lshlrev_b32_e32 v29, 4, v2
	s_cbranch_scc1 .LBB55_12
; %bb.7:
	v_lshlrev_b32_e32 v0, 4, v2
	s_min_i32 s15, s6, 0x8000
	v_lshl_add_u32 v4, v3, 10, v0
	v_lshl_add_u32 v5, v3, 9, v28
	s_mov_b64 s[2:3], 0
	v_mov_b32_e32 v1, 0
                                        ; implicit-def: $sgpr10_sgpr11
	s_branch .LBB55_9
.LBB55_8:                               ;   in Loop: Header=BB55_9 Depth=1
	s_or_b64 exec, exec, s[12:13]
	s_and_b64 s[12:13], exec, s[10:11]
	s_or_b64 s[2:3], s[12:13], s[2:3]
	s_andn2_b64 exec, exec, s[2:3]
	s_cbranch_execz .LBB55_11
.LBB55_9:                               ; =>This Inner Loop Header: Depth=1
	v_add_u32_e32 v0, s14, v5
	v_cmp_gt_u32_e32 vcc, s15, v0
	s_or_b64 s[10:11], s[10:11], exec
	s_and_saveexec_b64 s[12:13], vcc
	s_cbranch_execz .LBB55_8
; %bb.10:                               ;   in Loop: Header=BB55_9 Depth=1
	v_lshl_add_u64 v[6:7], v[0:1], 1, s[8:9]
	global_load_dwordx4 v[6:9], v[6:7], off
	s_addk_i32 s14, 0x2000
	s_cmp_ge_u32 s14, s15
	s_cselect_b64 s[16:17], -1, 0
	s_andn2_b64 s[10:11], s[10:11], exec
	s_and_b64 s[16:17], s[16:17], exec
	s_or_b64 s[10:11], s[10:11], s[16:17]
	s_waitcnt vmcnt(0)
	ds_write_b128 v4, v[6:9]
	v_add_u32_e32 v4, 0x4000, v4
	s_branch .LBB55_8
.LBB55_11:
	s_or_b64 exec, exec, s[2:3]
.LBB55_12:
	v_cmp_gt_u32_e32 vcc, s4, v3
	v_cmp_gt_u32_e64 s[2:3], s7, v26
	s_and_b64 s[2:3], vcc, s[2:3]
	s_waitcnt lgkmcnt(0)
	s_barrier
	s_and_saveexec_b64 s[10:11], s[2:3]
	s_cbranch_execz .LBB55_58
; %bb.13:
	s_load_dwordx2 s[10:11], s[0:1], 0x8
	s_load_dwordx2 s[12:13], s[0:1], 0x18
	s_mul_i32 s2, s4, s5
	v_cndmask_b32_e64 v0, 0, 1, s[18:19]
	s_ashr_i32 s15, s6, 31
	s_mov_b32 s14, s6
	v_cmp_eq_u32_e64 s[0:1], 63, v2
	s_lshl_b32 s26, s2, 1
	s_add_i32 s27, s7, -2
	s_mov_b64 s[16:17], 0
	v_cmp_ne_u32_e64 s[2:3], 1, v0
	v_mov_b32_e32 v31, 0
	s_movk_i32 s28, 0x7fff
	s_mov_b32 s29, 0x7f800000
                                        ; implicit-def: $vgpr0_vgpr1_vgpr2_vgpr3
                                        ; implicit-def: $vgpr4_vgpr5_vgpr6_vgpr7
                                        ; implicit-def: $vgpr8_vgpr9_vgpr10_vgpr11
                                        ; implicit-def: $vgpr12_vgpr13_vgpr14_vgpr15
                                        ; implicit-def: $vgpr19
                                        ; implicit-def: $vgpr23
	s_branch .LBB55_16
.LBB55_14:                              ;   in Loop: Header=BB55_16 Depth=1
	s_or_b64 exec, exec, s[20:21]
	v_mov_b32_e32 v26, s27
.LBB55_15:                              ;   in Loop: Header=BB55_16 Depth=1
	s_or_b64 exec, exec, s[18:19]
	v_cmp_le_u32_e32 vcc, s7, v26
	s_or_b64 s[16:17], vcc, s[16:17]
	s_andn2_b64 exec, exec, s[16:17]
	s_cbranch_execz .LBB55_58
.LBB55_16:                              ; =>This Loop Header: Depth=1
                                        ;     Child Loop BB55_20 Depth 2
                                        ;     Child Loop BB55_56 Depth 2
	s_and_b64 vcc, exec, s[2:3]
	s_cbranch_vccnz .LBB55_39
; %bb.17:                               ;   in Loop: Header=BB55_16 Depth=1
	v_mov_b32_e32 v32, 0
	v_mad_u64_u32 v[34:35], s[4:5], v26, s6, v[28:29]
	s_mov_b32 s22, 0
	v_mov_b32_e32 v27, v29
	v_mov_b32_e32 v33, v32
	s_branch .LBB55_20
.LBB55_18:                              ;   in Loop: Header=BB55_20 Depth=2
	s_or_b64 exec, exec, s[18:19]
.LBB55_19:                              ;   in Loop: Header=BB55_20 Depth=2
	s_or_b64 exec, exec, s[4:5]
	s_addk_i32 s22, 0x400
	s_cmp_ge_u32 s22, s6
	v_add_u32_e32 v27, 0x800, v27
	s_cbranch_scc1 .LBB55_40
.LBB55_20:                              ;   Parent Loop BB55_16 Depth=1
                                        ; =>  This Inner Loop Header: Depth=2
	v_add_u32_e32 v38, s22, v28
	v_cmp_gt_u32_e32 vcc, s6, v38
	v_add_u32_e32 v36, 0x200, v38
	s_and_saveexec_b64 s[18:19], vcc
	s_cbranch_execnz .LBB55_23
; %bb.21:                               ;   in Loop: Header=BB55_20 Depth=2
	s_or_b64 exec, exec, s[18:19]
	s_and_saveexec_b64 s[18:19], vcc
	s_cbranch_execnz .LBB55_26
.LBB55_22:                              ;   in Loop: Header=BB55_20 Depth=2
	s_or_b64 exec, exec, s[18:19]
	s_and_saveexec_b64 s[4:5], vcc
	s_cbranch_execz .LBB55_19
	s_branch .LBB55_37
.LBB55_23:                              ;   in Loop: Header=BB55_20 Depth=2
	v_add_u32_e32 v30, s22, v34
	s_waitcnt lgkmcnt(0)
	v_lshl_add_u64 v[40:41], v[30:31], 1, s[10:11]
	v_lshl_add_u64 v[42:43], s[14:15], 1, v[40:41]
	global_load_dwordx4 v[12:15], v[40:41], off nt
	global_load_dwordx4 v[4:7], v[42:43], off nt
	v_cmp_gt_u32_e64 s[4:5], s6, v36
	s_and_saveexec_b64 s[20:21], s[4:5]
	s_cbranch_execz .LBB55_25
; %bb.24:                               ;   in Loop: Header=BB55_20 Depth=2
	v_add_u32_e32 v30, 0x200, v30
	v_lshl_add_u64 v[40:41], v[30:31], 1, s[10:11]
	v_lshl_add_u64 v[42:43], s[14:15], 1, v[40:41]
	global_load_dwordx4 v[8:11], v[40:41], off nt
	global_load_dwordx4 v[0:3], v[42:43], off nt
.LBB55_25:                              ;   in Loop: Header=BB55_20 Depth=2
	s_or_b64 exec, exec, s[20:21]
	s_or_b64 exec, exec, s[18:19]
	s_and_saveexec_b64 s[18:19], vcc
	s_cbranch_execz .LBB55_22
.LBB55_26:                              ;   in Loop: Header=BB55_20 Depth=2
	v_cmp_lt_u32_e64 s[4:5], s28, v38
                                        ; implicit-def: $vgpr16
	s_and_saveexec_b64 s[20:21], s[4:5]
	s_xor_b64 s[4:5], exec, s[20:21]
	s_cbranch_execnz .LBB55_29
; %bb.27:                               ;   in Loop: Header=BB55_20 Depth=2
	s_andn2_saveexec_b64 s[4:5], s[4:5]
	s_cbranch_execnz .LBB55_30
.LBB55_28:                              ;   in Loop: Header=BB55_20 Depth=2
	s_or_b64 exec, exec, s[4:5]
	v_cmp_gt_u32_e64 s[4:5], s6, v36
	s_and_saveexec_b64 s[20:21], s[4:5]
	s_cbranch_execnz .LBB55_31
	s_branch .LBB55_36
.LBB55_29:                              ;   in Loop: Header=BB55_20 Depth=2
	v_mov_b32_e32 v39, v31
	s_waitcnt vmcnt(0) lgkmcnt(0)
	v_lshl_add_u64 v[16:17], v[38:39], 1, s[8:9]
	global_load_dwordx4 v[16:19], v[16:17], off
	s_andn2_saveexec_b64 s[4:5], s[4:5]
	s_cbranch_execz .LBB55_28
.LBB55_30:                              ;   in Loop: Header=BB55_20 Depth=2
	s_waitcnt vmcnt(0) lgkmcnt(0)
	ds_read_b128 v[16:19], v27
	s_or_b64 exec, exec, s[4:5]
	v_cmp_gt_u32_e64 s[4:5], s6, v36
	s_and_saveexec_b64 s[20:21], s[4:5]
	s_cbranch_execz .LBB55_36
.LBB55_31:                              ;   in Loop: Header=BB55_20 Depth=2
	v_cmp_lt_u32_e64 s[4:5], s28, v36
                                        ; implicit-def: $vgpr20
	s_and_saveexec_b64 s[24:25], s[4:5]
	s_xor_b64 s[4:5], exec, s[24:25]
	s_cbranch_execz .LBB55_33
; %bb.32:                               ;   in Loop: Header=BB55_20 Depth=2
	v_mov_b32_e32 v37, v31
	s_waitcnt vmcnt(0) lgkmcnt(0)
	v_lshl_add_u64 v[20:21], v[36:37], 1, s[8:9]
	global_load_dwordx4 v[20:23], v[20:21], off
.LBB55_33:                              ;   in Loop: Header=BB55_20 Depth=2
	s_andn2_saveexec_b64 s[4:5], s[4:5]
	s_cbranch_execz .LBB55_35
; %bb.34:                               ;   in Loop: Header=BB55_20 Depth=2
	s_waitcnt vmcnt(0) lgkmcnt(0)
	ds_read_b128 v[20:23], v27 offset:1024
.LBB55_35:                              ;   in Loop: Header=BB55_20 Depth=2
	s_or_b64 exec, exec, s[4:5]
.LBB55_36:                              ;   in Loop: Header=BB55_20 Depth=2
	s_or_b64 exec, exec, s[20:21]
	s_or_b64 exec, exec, s[18:19]
	s_and_saveexec_b64 s[4:5], vcc
	s_cbranch_execz .LBB55_19
.LBB55_37:                              ;   in Loop: Header=BB55_20 Depth=2
	s_waitcnt vmcnt(0) lgkmcnt(0)
	v_and_b32_e32 v38, 0xffff0000, v16
	v_and_b32_e32 v55, 0xffff0000, v12
	;; [unrolled: 1-line block ×3, first 2 shown]
	v_lshlrev_b32_e32 v30, 16, v16
	v_lshlrev_b32_e32 v53, 16, v12
	;; [unrolled: 1-line block ×3, first 2 shown]
	v_pk_mul_f32 v[38:39], v[38:39], v[54:55] op_sel_hi:[0,1]
	v_and_b32_e32 v42, 0xffff0000, v17
	v_pk_fma_f32 v[38:39], v[30:31], v[52:53], v[38:39] op_sel_hi:[0,1,1]
	v_and_b32_e32 v53, 0xffff0000, v13
	v_and_b32_e32 v52, 0xffff0000, v5
	v_lshlrev_b32_e32 v40, 16, v17
	v_pk_add_f32 v[32:33], v[32:33], v[38:39]
	v_lshlrev_b32_e32 v39, 16, v13
	v_lshlrev_b32_e32 v38, 16, v5
	v_pk_mul_f32 v[42:43], v[42:43], v[52:53] op_sel_hi:[0,1]
	v_and_b32_e32 v46, 0xffff0000, v18
	v_pk_fma_f32 v[38:39], v[40:41], v[38:39], v[42:43] op_sel_hi:[0,1,1]
	v_and_b32_e32 v41, 0xffff0000, v14
	v_and_b32_e32 v40, 0xffff0000, v6
	v_lshlrev_b32_e32 v44, 16, v18
	v_pk_add_f32 v[32:33], v[32:33], v[38:39]
	v_lshlrev_b32_e32 v39, 16, v14
	v_lshlrev_b32_e32 v38, 16, v6
	;; [unrolled: 9-line block ×3, first 2 shown]
	v_pk_mul_f32 v[40:41], v[50:51], v[40:41] op_sel_hi:[0,1]
	v_pk_fma_f32 v[38:39], v[48:49], v[38:39], v[40:41] op_sel_hi:[0,1,1]
	v_pk_add_f32 v[32:33], v[32:33], v[38:39]
	v_cmp_gt_u32_e32 vcc, s6, v36
	s_and_saveexec_b64 s[18:19], vcc
	s_cbranch_execz .LBB55_18
; %bb.38:                               ;   in Loop: Header=BB55_20 Depth=2
	v_and_b32_e32 v36, 0xffff0000, v20
	v_and_b32_e32 v53, 0xffff0000, v8
	;; [unrolled: 1-line block ×3, first 2 shown]
	v_lshlrev_b32_e32 v30, 16, v20
	v_lshlrev_b32_e32 v51, 16, v8
	;; [unrolled: 1-line block ×3, first 2 shown]
	v_pk_mul_f32 v[36:37], v[36:37], v[52:53] op_sel_hi:[0,1]
	v_and_b32_e32 v40, 0xffff0000, v21
	v_pk_fma_f32 v[36:37], v[30:31], v[50:51], v[36:37] op_sel_hi:[0,1,1]
	v_and_b32_e32 v51, 0xffff0000, v9
	v_and_b32_e32 v50, 0xffff0000, v1
	v_lshlrev_b32_e32 v38, 16, v21
	v_pk_add_f32 v[32:33], v[32:33], v[36:37]
	v_lshlrev_b32_e32 v37, 16, v9
	v_lshlrev_b32_e32 v36, 16, v1
	v_pk_mul_f32 v[40:41], v[40:41], v[50:51] op_sel_hi:[0,1]
	v_and_b32_e32 v44, 0xffff0000, v22
	v_pk_fma_f32 v[36:37], v[38:39], v[36:37], v[40:41] op_sel_hi:[0,1,1]
	v_and_b32_e32 v39, 0xffff0000, v10
	v_and_b32_e32 v38, 0xffff0000, v2
	v_lshlrev_b32_e32 v42, 16, v22
	v_pk_add_f32 v[32:33], v[32:33], v[36:37]
	v_lshlrev_b32_e32 v37, 16, v10
	v_lshlrev_b32_e32 v36, 16, v2
	v_pk_mul_f32 v[38:39], v[44:45], v[38:39] op_sel_hi:[0,1]
	v_and_b32_e32 v48, 0xffff0000, v23
	v_pk_fma_f32 v[36:37], v[42:43], v[36:37], v[38:39] op_sel_hi:[0,1,1]
	v_and_b32_e32 v39, 0xffff0000, v11
	v_and_b32_e32 v38, 0xffff0000, v3
	v_lshlrev_b32_e32 v46, 16, v23
	v_pk_add_f32 v[32:33], v[32:33], v[36:37]
	v_lshlrev_b32_e32 v37, 16, v11
	v_lshlrev_b32_e32 v36, 16, v3
	v_pk_mul_f32 v[38:39], v[48:49], v[38:39] op_sel_hi:[0,1]
	v_pk_fma_f32 v[36:37], v[46:47], v[36:37], v[38:39] op_sel_hi:[0,1,1]
	v_pk_add_f32 v[32:33], v[32:33], v[36:37]
	s_branch .LBB55_18
.LBB55_39:                              ;   in Loop: Header=BB55_16 Depth=1
	v_mov_b32_e32 v33, v31
	v_mov_b32_e32 v32, v31
.LBB55_40:                              ;   in Loop: Header=BB55_16 Depth=1
	;;#ASMSTART
	s_nop 0
	v_add_f32 v33, v33, v33 row_shr:8 bound_ctrl:0 
	;;#ASMEND
	;;#ASMSTART
	s_nop 0
	v_add_f32 v32, v32, v32 row_shr:8 bound_ctrl:0 
	;;#ASMEND
	s_nop 0
	;;#ASMSTART
	s_nop 0
	v_add_f32 v33, v33, v33 row_shr:4 bound_ctrl:0 
	;;#ASMEND
	;;#ASMSTART
	s_nop 0
	v_add_f32 v32, v32, v32 row_shr:4 bound_ctrl:0 
	;;#ASMEND
	s_nop 0
	;; [unrolled: 9-line block ×3, first 2 shown]
	;;#ASMSTART
	s_nop 0
	v_add_f32 v33, v33, v33 wave_shr:1 bound_ctrl:0
	;;#ASMEND
	;;#ASMSTART
	s_nop 0
	v_add_f32 v32, v32, v32 wave_shr:1 bound_ctrl:0
	;;#ASMEND
	s_nop 0
	;;#ASMSTART
	s_nop 0
	v_add_f32 v33, v33, v33 row_bcast:15 bound_ctrl:0
	;;#ASMEND
	;;#ASMSTART
	s_nop 0
	v_add_f32 v32, v32, v32 row_bcast:15 bound_ctrl:0
	;;#ASMEND
	s_nop 0
	;;#ASMSTART
	s_nop 0
	v_add_f32 v33, v33, v33 row_bcast:31 bound_ctrl:0
	;;#ASMEND
	;;#ASMSTART
	s_nop 0
	v_add_f32 v32, v32, v32 row_bcast:31 bound_ctrl:0
	;;#ASMEND
	s_and_saveexec_b64 s[4:5], s[0:1]
	s_cbranch_execz .LBB55_53
; %bb.41:                               ;   in Loop: Header=BB55_16 Depth=1
	v_cmp_ne_u32_e32 vcc, 0, v24
	s_and_saveexec_b64 s[18:19], vcc
	s_cbranch_execz .LBB55_47
; %bb.42:                               ;   in Loop: Header=BB55_16 Depth=1
	v_and_b32_e32 v27, 0x7f800000, v33
	v_cmp_ne_u32_e32 vcc, s29, v27
                                        ; implicit-def: $vgpr30
	s_and_saveexec_b64 s[20:21], vcc
	s_xor_b64 s[20:21], exec, s[20:21]
; %bb.43:                               ;   in Loop: Header=BB55_16 Depth=1
	v_bfe_u32 v27, v33, 16, 1
	v_add3_u32 v30, v33, v27, s28
; %bb.44:                               ;   in Loop: Header=BB55_16 Depth=1
	s_andn2_saveexec_b64 s[20:21], s[20:21]
; %bb.45:                               ;   in Loop: Header=BB55_16 Depth=1
	v_or_b32_e32 v27, 0x10000, v33
	v_cmp_eq_u32_sdwa vcc, v33, v31 src0_sel:WORD_0 src1_sel:DWORD
	s_nop 1
	v_cndmask_b32_e32 v30, v27, v33, vcc
; %bb.46:                               ;   in Loop: Header=BB55_16 Depth=1
	s_or_b64 exec, exec, s[20:21]
	v_mov_b32_e32 v27, v31
	s_waitcnt lgkmcnt(0)
	v_lshl_add_u64 v[34:35], v[26:27], 1, s[12:13]
	global_store_short_d16_hi v[34:35], v30, off
.LBB55_47:                              ;   in Loop: Header=BB55_16 Depth=1
	s_or_b64 exec, exec, s[18:19]
	v_cmp_ne_u32_e32 vcc, 0, v25
	s_and_b64 exec, exec, vcc
	s_cbranch_execz .LBB55_53
; %bb.48:                               ;   in Loop: Header=BB55_16 Depth=1
	v_and_b32_e32 v27, 0x7f800000, v32
	v_cmp_ne_u32_e32 vcc, s29, v27
                                        ; implicit-def: $vgpr27
	s_and_saveexec_b64 s[18:19], vcc
	s_xor_b64 s[18:19], exec, s[18:19]
; %bb.49:                               ;   in Loop: Header=BB55_16 Depth=1
	v_bfe_u32 v27, v32, 16, 1
	v_add3_u32 v27, v32, v27, s28
                                        ; implicit-def: $vgpr32
; %bb.50:                               ;   in Loop: Header=BB55_16 Depth=1
	s_andn2_saveexec_b64 s[18:19], s[18:19]
; %bb.51:                               ;   in Loop: Header=BB55_16 Depth=1
	v_or_b32_e32 v27, 0x10000, v32
	v_cmp_eq_u32_sdwa vcc, v32, v31 src0_sel:WORD_0 src1_sel:DWORD
	s_nop 1
	v_cndmask_b32_e32 v27, v27, v32, vcc
; %bb.52:                               ;   in Loop: Header=BB55_16 Depth=1
	s_or_b64 exec, exec, s[18:19]
	v_add_u32_e32 v30, 1, v26
	s_waitcnt lgkmcnt(0)
	v_lshl_add_u64 v[32:33], v[30:31], 1, s[12:13]
	global_store_short_d16_hi v[32:33], v27, off
.LBB55_53:                              ;   in Loop: Header=BB55_16 Depth=1
	s_or_b64 exec, exec, s[4:5]
	v_add_u32_e32 v26, s26, v26
	v_add_u32_e32 v27, 2, v26
	v_cmp_gt_u32_e32 vcc, s7, v26
	v_cmp_le_u32_e64 s[4:5], s7, v27
	s_and_b64 s[4:5], vcc, s[4:5]
	s_and_saveexec_b64 s[18:19], s[4:5]
	s_cbranch_execz .LBB55_15
; %bb.54:                               ;   in Loop: Header=BB55_16 Depth=1
	v_cmp_ne_u32_e32 vcc, s27, v26
	s_and_saveexec_b64 s[20:21], vcc
	s_cbranch_execz .LBB55_14
; %bb.55:                               ;   in Loop: Header=BB55_16 Depth=1
	v_subrev_u32_e32 v26, s27, v26
	v_cmp_lt_u32_e32 vcc, 1, v26
	s_mov_b64 s[22:23], 0
	s_mov_b64 s[24:25], 0
	v_cndmask_b32_e32 v26, 1, v26, vcc
.LBB55_56:                              ;   Parent Loop BB55_16 Depth=1
                                        ; =>  This Inner Loop Header: Depth=2
	s_cmp_lg_u32 s24, 1
	s_cselect_b64 vcc, -1, 0
	s_cmp_lg_u32 s24, 0
	v_cndmask_b32_e32 v25, 0, v25, vcc
	s_cselect_b64 vcc, -1, 0
	s_add_u32 s24, s24, 1
	s_addc_u32 s25, s25, 0
	v_cmp_eq_u32_e64 s[4:5], s24, v26
	s_or_b64 s[22:23], s[4:5], s[22:23]
	v_cndmask_b32_e32 v24, 0, v24, vcc
	s_andn2_b64 exec, exec, s[22:23]
	s_cbranch_execnz .LBB55_56
; %bb.57:                               ;   in Loop: Header=BB55_16 Depth=1
	s_or_b64 exec, exec, s[22:23]
	s_branch .LBB55_14
.LBB55_58:
	s_endpgm
	.section	.rodata,"a",@progbits
	.p2align	6, 0x0
	.amdhsa_kernel _ZN5aiter12wvSplitK_hf_I14__hip_bfloat16Li64ELi2ELi16ELi8ELi2ELi1EEEviiPKT_S4_PS2_ii
		.amdhsa_group_segment_fixed_size 65536
		.amdhsa_private_segment_fixed_size 0
		.amdhsa_kernarg_size 40
		.amdhsa_user_sgpr_count 2
		.amdhsa_user_sgpr_dispatch_ptr 0
		.amdhsa_user_sgpr_queue_ptr 0
		.amdhsa_user_sgpr_kernarg_segment_ptr 1
		.amdhsa_user_sgpr_dispatch_id 0
		.amdhsa_user_sgpr_kernarg_preload_length 0
		.amdhsa_user_sgpr_kernarg_preload_offset 0
		.amdhsa_user_sgpr_private_segment_size 0
		.amdhsa_uses_dynamic_stack 0
		.amdhsa_enable_private_segment 0
		.amdhsa_system_sgpr_workgroup_id_x 1
		.amdhsa_system_sgpr_workgroup_id_y 0
		.amdhsa_system_sgpr_workgroup_id_z 0
		.amdhsa_system_sgpr_workgroup_info 0
		.amdhsa_system_vgpr_workitem_id 1
		.amdhsa_next_free_vgpr 56
		.amdhsa_next_free_sgpr 30
		.amdhsa_accum_offset 56
		.amdhsa_reserve_vcc 1
		.amdhsa_float_round_mode_32 0
		.amdhsa_float_round_mode_16_64 0
		.amdhsa_float_denorm_mode_32 3
		.amdhsa_float_denorm_mode_16_64 3
		.amdhsa_dx10_clamp 1
		.amdhsa_ieee_mode 1
		.amdhsa_fp16_overflow 0
		.amdhsa_tg_split 0
		.amdhsa_exception_fp_ieee_invalid_op 0
		.amdhsa_exception_fp_denorm_src 0
		.amdhsa_exception_fp_ieee_div_zero 0
		.amdhsa_exception_fp_ieee_overflow 0
		.amdhsa_exception_fp_ieee_underflow 0
		.amdhsa_exception_fp_ieee_inexact 0
		.amdhsa_exception_int_div_zero 0
	.end_amdhsa_kernel
	.section	.text._ZN5aiter12wvSplitK_hf_I14__hip_bfloat16Li64ELi2ELi16ELi8ELi2ELi1EEEviiPKT_S4_PS2_ii,"axG",@progbits,_ZN5aiter12wvSplitK_hf_I14__hip_bfloat16Li64ELi2ELi16ELi8ELi2ELi1EEEviiPKT_S4_PS2_ii,comdat
.Lfunc_end55:
	.size	_ZN5aiter12wvSplitK_hf_I14__hip_bfloat16Li64ELi2ELi16ELi8ELi2ELi1EEEviiPKT_S4_PS2_ii, .Lfunc_end55-_ZN5aiter12wvSplitK_hf_I14__hip_bfloat16Li64ELi2ELi16ELi8ELi2ELi1EEEviiPKT_S4_PS2_ii
                                        ; -- End function
	.section	.AMDGPU.csdata,"",@progbits
; Kernel info:
; codeLenInByte = 2024
; NumSgprs: 36
; NumVgprs: 56
; NumAgprs: 0
; TotalNumVgprs: 56
; ScratchSize: 0
; MemoryBound: 0
; FloatMode: 240
; IeeeMode: 1
; LDSByteSize: 65536 bytes/workgroup (compile time only)
; SGPRBlocks: 4
; VGPRBlocks: 6
; NumSGPRsForWavesPerEU: 36
; NumVGPRsForWavesPerEU: 56
; AccumOffset: 56
; Occupancy: 4
; WaveLimiterHint : 0
; COMPUTE_PGM_RSRC2:SCRATCH_EN: 0
; COMPUTE_PGM_RSRC2:USER_SGPR: 2
; COMPUTE_PGM_RSRC2:TRAP_HANDLER: 0
; COMPUTE_PGM_RSRC2:TGID_X_EN: 1
; COMPUTE_PGM_RSRC2:TGID_Y_EN: 0
; COMPUTE_PGM_RSRC2:TGID_Z_EN: 0
; COMPUTE_PGM_RSRC2:TIDIG_COMP_CNT: 1
; COMPUTE_PGM_RSRC3_GFX90A:ACCUM_OFFSET: 13
; COMPUTE_PGM_RSRC3_GFX90A:TG_SPLIT: 0
	.section	.text._ZN5aiter16wvSplitK_hf_big_I14__hip_bfloat16Li64ELi2ELi16ELi8ELi2ELi1EEEviiPKT_S4_PS2_ii,"axG",@progbits,_ZN5aiter16wvSplitK_hf_big_I14__hip_bfloat16Li64ELi2ELi16ELi8ELi2ELi1EEEviiPKT_S4_PS2_ii,comdat
	.protected	_ZN5aiter16wvSplitK_hf_big_I14__hip_bfloat16Li64ELi2ELi16ELi8ELi2ELi1EEEviiPKT_S4_PS2_ii ; -- Begin function _ZN5aiter16wvSplitK_hf_big_I14__hip_bfloat16Li64ELi2ELi16ELi8ELi2ELi1EEEviiPKT_S4_PS2_ii
	.globl	_ZN5aiter16wvSplitK_hf_big_I14__hip_bfloat16Li64ELi2ELi16ELi8ELi2ELi1EEEviiPKT_S4_PS2_ii
	.p2align	8
	.type	_ZN5aiter16wvSplitK_hf_big_I14__hip_bfloat16Li64ELi2ELi16ELi8ELi2ELi1EEEviiPKT_S4_PS2_ii,@function
_ZN5aiter16wvSplitK_hf_big_I14__hip_bfloat16Li64ELi2ELi16ELi8ELi2ELi1EEEviiPKT_S4_PS2_ii: ; @_ZN5aiter16wvSplitK_hf_big_I14__hip_bfloat16Li64ELi2ELi16ELi8ELi2ELi1EEEviiPKT_S4_PS2_ii
; %bb.0:
	s_load_dwordx2 s[4:5], s[0:1], 0x20
	v_bfe_u32 v1, v0, 10, 10
	s_waitcnt lgkmcnt(0)
	v_cmp_gt_u32_e32 vcc, s4, v1
	s_and_saveexec_b64 s[6:7], vcc
	s_cbranch_execz .LBB56_59
; %bb.1:
	s_load_dwordx2 s[10:11], s[0:1], 0x0
	s_mul_i32 s2, s2, s4
	v_add_lshl_u32 v26, s2, v1, 1
	s_mov_b32 s6, 1
	v_add_u32_e32 v2, 2, v26
	s_waitcnt lgkmcnt(0)
	v_cmp_gt_u32_e32 vcc, s11, v26
	v_cmp_le_u32_e64 s[2:3], s11, v2
	s_mov_b32 s7, s6
	s_and_b64 s[8:9], vcc, s[2:3]
	v_mov_b64_e32 v[24:25], s[6:7]
	s_and_saveexec_b64 s[2:3], s[8:9]
	s_cbranch_execz .LBB56_7
; %bb.2:
	s_add_i32 s16, s11, -2
	v_cmp_ne_u32_e32 vcc, s16, v26
	v_mov_b64_e32 v[24:25], s[6:7]
	s_and_saveexec_b64 s[6:7], vcc
	s_cbranch_execz .LBB56_6
; %bb.3:
	v_subrev_u32_e32 v2, s16, v26
	s_mov_b32 s8, 1
	v_cmp_lt_u32_e32 vcc, 1, v2
	s_mov_b64 s[12:13], 0
	s_mov_b64 s[14:15], 0
	v_cndmask_b32_e32 v2, 1, v2, vcc
	s_mov_b32 s9, s8
.LBB56_4:                               ; =>This Inner Loop Header: Depth=1
	s_cmp_lg_u32 s14, 1
	s_cselect_b32 s9, s9, 0
	s_cmp_lg_u32 s14, 0
	s_cselect_b32 s8, s8, 0
	s_add_u32 s14, s14, 1
	s_addc_u32 s15, s15, 0
	v_cmp_eq_u32_e32 vcc, s14, v2
	s_or_b64 s[12:13], vcc, s[12:13]
	v_mov_b64_e32 v[24:25], s[8:9]
	s_andn2_b64 exec, exec, s[12:13]
	s_cbranch_execnz .LBB56_4
; %bb.5:
	s_or_b64 exec, exec, s[12:13]
	v_mov_b32_e32 v26, s16
.LBB56_6:
	s_or_b64 exec, exec, s[6:7]
.LBB56_7:
	s_or_b64 exec, exec, s[2:3]
	s_lshl_b32 s2, s4, 1
	s_abs_i32 s3, s2
	v_cvt_f32_u32_e32 v2, s3
	s_sub_i32 s8, 0, s3
	s_abs_i32 s7, s11
	s_ashr_i32 s6, s11, 31
	v_rcp_iflag_f32_e32 v2, v2
	s_nop 0
	v_mul_f32_e32 v2, 0x4f7ffffe, v2
	v_cvt_u32_f32_e32 v2, v2
	s_nop 0
	v_readfirstlane_b32 s9, v2
	s_mul_i32 s8, s8, s9
	s_mul_hi_u32 s8, s9, s8
	s_add_i32 s9, s9, s8
	s_mul_hi_u32 s8, s7, s9
	s_mul_i32 s8, s8, s3
	s_sub_i32 s7, s7, s8
	s_sub_i32 s8, s7, s3
	s_cmp_ge_u32 s7, s3
	s_cselect_b32 s7, s8, s7
	s_sub_i32 s8, s7, s3
	s_cmp_ge_u32 s7, s3
	s_cselect_b32 s3, s8, s7
	s_xor_b32 s3, s3, s6
	s_sub_i32 s3, s3, s6
	s_add_i32 s2, s2, s11
	s_sub_i32 s2, s2, s3
	s_cmp_eq_u32 s3, 0
	s_cselect_b32 s33, s11, s2
	v_cmp_gt_u32_e32 vcc, s33, v26
	s_and_b64 exec, exec, vcc
	s_cbranch_execz .LBB56_59
; %bb.8:
	s_mov_b32 s2, 0
	s_load_dwordx4 s[12:15], s[0:1], 0x8
	s_load_dwordx2 s[16:17], s[0:1], 0x18
	v_cvt_f64_i32_e32 v[2:3], s10
	s_mov_b32 s3, 0x40e00000
	v_min_f64 v[2:3], v[2:3], s[2:3]
	s_cmp_lg_u32 s10, 0
	v_and_b32_e32 v0, 0x3ff, v0
	s_mul_i32 s0, s5, s4
	v_cvt_u32_f64_e32 v2, v[2:3]
	v_lshlrev_b32_e32 v32, 3, v0
	s_cselect_b64 s[2:3], -1, 0
	s_lshl_b32 s36, s0, 1
	v_cmp_eq_u32_e64 s[0:1], 63, v0
	v_lshlrev_b32_e32 v0, 4, v0
	s_lshl_b32 s35, s4, 9
	s_ashr_i32 s19, s10, 31
	s_add_i32 s37, s11, -2
	v_lshl_add_u32 v33, v1, 10, v0
	v_cndmask_b32_e64 v0, 0, 1, s[2:3]
	v_cmp_ne_u32_e32 vcc, 0, v2
	s_waitcnt lgkmcnt(0)
	s_add_u32 s20, s16, 2
	v_cmp_ne_u32_e64 s[2:3], 1, v0
	v_cndmask_b32_e64 v0, 0, 1, vcc
	v_readfirstlane_b32 s34, v2
	s_mov_b32 s18, s10
	s_addc_u32 s21, s17, 0
	s_lshl_b32 s38, s4, 10
	v_lshl_add_u32 v34, v1, 9, v32
	s_mov_b64 s[22:23], 0
	v_cmp_ne_u32_e64 s[4:5], 1, v0
	v_mov_b32_e32 v29, 0
	s_mov_b32 s39, 0x7f800000
	s_movk_i32 s40, 0x7fff
                                        ; implicit-def: $vgpr38
                                        ; implicit-def: $vgpr3
                                        ; implicit-def: $vgpr37
                                        ; implicit-def: $vgpr36
                                        ; implicit-def: $vgpr35
                                        ; implicit-def: $vgpr39
                                        ; implicit-def: $vgpr7
                                        ; implicit-def: $vgpr40
                                        ; implicit-def: $vgpr41
                                        ; implicit-def: $vgpr42
                                        ; implicit-def: $vgpr8_vgpr9_vgpr10_vgpr11
                                        ; implicit-def: $vgpr16_vgpr17_vgpr18_vgpr19
                                        ; implicit-def: $vgpr12_vgpr13_vgpr14_vgpr15
                                        ; implicit-def: $vgpr20_vgpr21_vgpr22_vgpr23
	s_branch .LBB56_12
.LBB56_9:                               ;   in Loop: Header=BB56_12 Depth=1
	s_or_b64 exec, exec, s[26:27]
	v_mov_b32_e32 v26, s37
.LBB56_10:                              ;   in Loop: Header=BB56_12 Depth=1
	s_or_b64 exec, exec, s[24:25]
.LBB56_11:                              ;   in Loop: Header=BB56_12 Depth=1
	s_or_b64 exec, exec, s[8:9]
	v_cmp_le_u32_e32 vcc, s33, v26
	s_or_b64 s[22:23], vcc, s[22:23]
	s_andn2_b64 exec, exec, s[22:23]
	s_cbranch_execz .LBB56_59
.LBB56_12:                              ; =>This Loop Header: Depth=1
                                        ;     Child Loop BB56_17 Depth 2
                                        ;       Child Loop BB56_21 Depth 3
                                        ;     Child Loop BB56_57 Depth 2
	s_and_b64 vcc, exec, s[2:3]
	s_cbranch_vccnz .LBB56_37
; %bb.13:                               ;   in Loop: Header=BB56_12 Depth=1
	v_mov_b32_e32 v30, 0
	v_cmp_gt_u32_e64 s[6:7], s11, v26
	v_mul_lo_u32 v27, v26, s10
	s_mov_b32 s30, 0
	s_mov_b32 s31, 0
	v_mov_b32_e32 v31, v30
	s_branch .LBB56_17
.LBB56_14:                              ;   in Loop: Header=BB56_17 Depth=2
	s_or_b64 exec, exec, s[26:27]
.LBB56_15:                              ;   in Loop: Header=BB56_17 Depth=2
	s_or_b64 exec, exec, s[8:9]
.LBB56_16:                              ;   in Loop: Header=BB56_17 Depth=2
	s_or_b64 exec, exec, s[24:25]
	s_addk_i32 s31, 0x400
	s_cmp_ge_u32 s31, s10
	s_cbranch_scc1 .LBB56_38
.LBB56_17:                              ;   Parent Loop BB56_12 Depth=1
                                        ; =>  This Loop Header: Depth=2
                                        ;       Child Loop BB56_21 Depth 3
	s_cmp_eq_u32 s31, 0
	s_cselect_b64 s[8:9], -1, 0
	s_add_i32 s24, s30, s34
	s_cmp_eq_u32 s31, s24
	s_cselect_b64 s[26:27], -1, 0
	s_or_b64 s[26:27], s[8:9], s[26:27]
	s_andn2_b64 vcc, exec, s[26:27]
	s_cbranch_vccnz .LBB56_25
; %bb.18:                               ;   in Loop: Header=BB56_17 Depth=2
	s_and_b64 s[8:9], s[8:9], exec
	s_cselect_b32 s30, s30, s24
	s_and_b64 vcc, exec, s[4:5]
	s_barrier
	s_cbranch_vccnz .LBB56_24
; %bb.19:                               ;   in Loop: Header=BB56_17 Depth=2
	v_add_u32_e32 v43, s30, v34
	s_mov_b32 s28, 0
	s_mov_b64 s[24:25], 0
	v_mov_b32_e32 v44, v33
                                        ; implicit-def: $sgpr26_sgpr27
	s_branch .LBB56_21
.LBB56_20:                              ;   in Loop: Header=BB56_21 Depth=3
	s_or_b64 exec, exec, s[8:9]
	s_and_b64 s[8:9], exec, s[26:27]
	s_or_b64 s[24:25], s[8:9], s[24:25]
	s_andn2_b64 exec, exec, s[24:25]
	s_cbranch_execz .LBB56_23
.LBB56_21:                              ;   Parent Loop BB56_12 Depth=1
                                        ;     Parent Loop BB56_17 Depth=2
                                        ; =>    This Inner Loop Header: Depth=3
	v_add_u32_e32 v45, s28, v34
	v_add_u32_e32 v28, s28, v43
	v_cmp_gt_u32_e32 vcc, s10, v28
	v_cmp_gt_u32_e64 s[8:9], s34, v45
	s_and_b64 s[42:43], vcc, s[8:9]
	s_or_b64 s[26:27], s[26:27], exec
	s_and_saveexec_b64 s[8:9], s[42:43]
	s_cbranch_execz .LBB56_20
; %bb.22:                               ;   in Loop: Header=BB56_21 Depth=3
	v_lshl_add_u64 v[46:47], v[28:29], 1, s[14:15]
	global_load_dwordx4 v[46:49], v[46:47], off
	s_add_i32 s28, s28, s35
	s_cmp_ge_u32 s28, s34
	s_cselect_b64 s[42:43], -1, 0
	s_andn2_b64 s[26:27], s[26:27], exec
	s_and_b64 s[42:43], s[42:43], exec
	s_or_b64 s[26:27], s[26:27], s[42:43]
	s_waitcnt vmcnt(0)
	ds_write_b128 v44, v[46:49]
	v_add_u32_e32 v44, s38, v44
	s_branch .LBB56_20
.LBB56_23:                              ;   in Loop: Header=BB56_17 Depth=2
	s_or_b64 exec, exec, s[24:25]
.LBB56_24:                              ;   in Loop: Header=BB56_17 Depth=2
	s_waitcnt lgkmcnt(0)
	s_barrier
.LBB56_25:                              ;   in Loop: Header=BB56_17 Depth=2
	s_and_saveexec_b64 s[24:25], s[6:7]
	s_cbranch_execz .LBB56_16
; %bb.26:                               ;   in Loop: Header=BB56_17 Depth=2
	v_add_u32_e32 v43, s31, v32
	v_cmp_gt_u32_e32 vcc, s10, v43
	s_and_saveexec_b64 s[26:27], vcc
	s_cbranch_execnz .LBB56_29
; %bb.27:                               ;   in Loop: Header=BB56_17 Depth=2
	s_or_b64 exec, exec, s[26:27]
	s_and_saveexec_b64 s[26:27], vcc
	s_cbranch_execnz .LBB56_32
.LBB56_28:                              ;   in Loop: Header=BB56_17 Depth=2
	s_or_b64 exec, exec, s[26:27]
	s_and_saveexec_b64 s[8:9], vcc
	s_cbranch_execz .LBB56_15
	s_branch .LBB56_35
.LBB56_29:                              ;   in Loop: Header=BB56_17 Depth=2
	v_add_u32_e32 v28, v43, v27
	v_lshl_add_u64 v[44:45], v[28:29], 1, s[12:13]
	v_lshl_add_u64 v[46:47], s[18:19], 1, v[44:45]
	global_load_dwordx4 v[20:23], v[44:45], off nt
	global_load_dwordx4 v[16:19], v[46:47], off nt
	v_add_u32_e32 v28, 0x200, v43
	v_cmp_gt_u32_e64 s[8:9], s10, v28
	s_and_saveexec_b64 s[28:29], s[8:9]
	s_cbranch_execz .LBB56_31
; %bb.30:                               ;   in Loop: Header=BB56_17 Depth=2
	v_add_u32_e32 v28, v28, v27
	v_lshl_add_u64 v[44:45], v[28:29], 1, s[12:13]
	v_lshl_add_u64 v[46:47], s[18:19], 1, v[44:45]
	global_load_dwordx4 v[12:15], v[44:45], off nt
	global_load_dwordx4 v[8:11], v[46:47], off nt
.LBB56_31:                              ;   in Loop: Header=BB56_17 Depth=2
	s_or_b64 exec, exec, s[28:29]
	s_or_b64 exec, exec, s[26:27]
	s_and_saveexec_b64 s[26:27], vcc
	s_cbranch_execz .LBB56_28
.LBB56_32:                              ;   in Loop: Header=BB56_17 Depth=2
	v_subrev_u32_e32 v4, s30, v43
	v_lshlrev_b32_e32 v28, 1, v4
	ds_read_b128 v[4:7], v28
	v_add_u32_e32 v39, 0x200, v43
	v_cmp_gt_u32_e64 s[8:9], s10, v39
	s_and_saveexec_b64 s[28:29], s[8:9]
	s_cbranch_execz .LBB56_34
; %bb.33:                               ;   in Loop: Header=BB56_17 Depth=2
	ds_read_b128 v[0:3], v28 offset:1024
	s_waitcnt lgkmcnt(0)
	v_lshrrev_b32_e32 v35, 16, v0
	v_lshrrev_b32_e32 v36, 16, v1
	;; [unrolled: 1-line block ×4, first 2 shown]
.LBB56_34:                              ;   in Loop: Header=BB56_17 Depth=2
	s_or_b64 exec, exec, s[28:29]
	s_waitcnt lgkmcnt(0)
	v_lshrrev_b32_e32 v42, 16, v4
	v_lshrrev_b32_e32 v41, 16, v5
	;; [unrolled: 1-line block ×4, first 2 shown]
	s_or_b64 exec, exec, s[26:27]
	s_and_saveexec_b64 s[8:9], vcc
	s_cbranch_execz .LBB56_15
.LBB56_35:                              ;   in Loop: Header=BB56_17 Depth=2
	v_lshlrev_b32_e32 v44, 16, v42
	s_waitcnt vmcnt(1)
	v_and_b32_e32 v61, 0xffff0000, v20
	s_waitcnt vmcnt(0)
	v_and_b32_e32 v60, 0xffff0000, v16
	v_lshlrev_b32_e32 v28, 16, v4
	v_lshlrev_b32_e32 v59, 16, v20
	;; [unrolled: 1-line block ×3, first 2 shown]
	v_pk_mul_f32 v[44:45], v[44:45], v[60:61] op_sel_hi:[0,1]
	v_lshlrev_b32_e32 v48, 16, v41
	v_pk_fma_f32 v[44:45], v[28:29], v[58:59], v[44:45] op_sel_hi:[0,1,1]
	v_and_b32_e32 v59, 0xffff0000, v21
	v_and_b32_e32 v58, 0xffff0000, v17
	v_lshlrev_b32_e32 v46, 16, v5
	v_pk_add_f32 v[30:31], v[30:31], v[44:45]
	v_lshlrev_b32_e32 v45, 16, v21
	v_lshlrev_b32_e32 v44, 16, v17
	v_pk_mul_f32 v[48:49], v[48:49], v[58:59] op_sel_hi:[0,1]
	v_lshlrev_b32_e32 v52, 16, v40
	v_pk_fma_f32 v[44:45], v[46:47], v[44:45], v[48:49] op_sel_hi:[0,1,1]
	v_and_b32_e32 v47, 0xffff0000, v22
	v_and_b32_e32 v46, 0xffff0000, v18
	v_lshlrev_b32_e32 v50, 16, v6
	v_pk_add_f32 v[30:31], v[30:31], v[44:45]
	v_lshlrev_b32_e32 v45, 16, v22
	v_lshlrev_b32_e32 v44, 16, v18
	;; [unrolled: 9-line block ×3, first 2 shown]
	v_pk_mul_f32 v[46:47], v[56:57], v[46:47] op_sel_hi:[0,1]
	v_pk_fma_f32 v[44:45], v[54:55], v[44:45], v[46:47] op_sel_hi:[0,1,1]
	v_add_u32_e32 v28, 0x200, v43
	v_pk_add_f32 v[30:31], v[30:31], v[44:45]
	v_cmp_gt_u32_e32 vcc, s10, v28
	s_and_saveexec_b64 s[26:27], vcc
	s_cbranch_execz .LBB56_14
; %bb.36:                               ;   in Loop: Header=BB56_17 Depth=2
	v_lshlrev_b32_e32 v44, 16, v35
	v_and_b32_e32 v61, 0xffff0000, v12
	v_and_b32_e32 v60, 0xffff0000, v8
	v_lshlrev_b32_e32 v28, 16, v0
	v_lshlrev_b32_e32 v59, 16, v12
	;; [unrolled: 1-line block ×3, first 2 shown]
	v_pk_mul_f32 v[44:45], v[44:45], v[60:61] op_sel_hi:[0,1]
	v_lshlrev_b32_e32 v48, 16, v36
	v_pk_fma_f32 v[44:45], v[28:29], v[58:59], v[44:45] op_sel_hi:[0,1,1]
	v_and_b32_e32 v59, 0xffff0000, v13
	v_and_b32_e32 v58, 0xffff0000, v9
	v_lshlrev_b32_e32 v46, 16, v1
	v_pk_add_f32 v[30:31], v[30:31], v[44:45]
	v_lshlrev_b32_e32 v45, 16, v13
	v_lshlrev_b32_e32 v44, 16, v9
	v_pk_mul_f32 v[48:49], v[48:49], v[58:59] op_sel_hi:[0,1]
	v_lshlrev_b32_e32 v52, 16, v37
	v_pk_fma_f32 v[44:45], v[46:47], v[44:45], v[48:49] op_sel_hi:[0,1,1]
	v_and_b32_e32 v47, 0xffff0000, v14
	v_and_b32_e32 v46, 0xffff0000, v10
	v_lshlrev_b32_e32 v50, 16, v2
	v_pk_add_f32 v[30:31], v[30:31], v[44:45]
	v_lshlrev_b32_e32 v45, 16, v14
	v_lshlrev_b32_e32 v44, 16, v10
	v_pk_mul_f32 v[46:47], v[52:53], v[46:47] op_sel_hi:[0,1]
	v_lshlrev_b32_e32 v56, 16, v38
	v_pk_fma_f32 v[44:45], v[50:51], v[44:45], v[46:47] op_sel_hi:[0,1,1]
	v_and_b32_e32 v47, 0xffff0000, v15
	v_and_b32_e32 v46, 0xffff0000, v11
	v_lshlrev_b32_e32 v54, 16, v3
	v_pk_add_f32 v[30:31], v[30:31], v[44:45]
	v_lshlrev_b32_e32 v45, 16, v15
	v_lshlrev_b32_e32 v44, 16, v11
	v_pk_mul_f32 v[46:47], v[56:57], v[46:47] op_sel_hi:[0,1]
	v_pk_fma_f32 v[44:45], v[54:55], v[44:45], v[46:47] op_sel_hi:[0,1,1]
	v_pk_add_f32 v[30:31], v[30:31], v[44:45]
	s_branch .LBB56_14
.LBB56_37:                              ;   in Loop: Header=BB56_12 Depth=1
	v_mov_b32_e32 v31, v29
	v_mov_b32_e32 v30, v29
.LBB56_38:                              ;   in Loop: Header=BB56_12 Depth=1
	v_cmp_le_u32_e32 vcc, s11, v26
	s_and_saveexec_b64 s[6:7], vcc
	s_xor_b64 s[6:7], exec, s[6:7]
; %bb.39:                               ;   in Loop: Header=BB56_12 Depth=1
	v_add_u32_e32 v26, s36, v26
                                        ; implicit-def: $vgpr31
; %bb.40:                               ;   in Loop: Header=BB56_12 Depth=1
	s_andn2_saveexec_b64 s[8:9], s[6:7]
	s_cbranch_execz .LBB56_11
; %bb.41:                               ;   in Loop: Header=BB56_12 Depth=1
	;;#ASMSTART
	s_nop 0
	v_add_f32 v31, v31, v31 row_shr:8 bound_ctrl:0 
	;;#ASMEND
	;;#ASMSTART
	s_nop 0
	v_add_f32 v30, v30, v30 row_shr:8 bound_ctrl:0 
	;;#ASMEND
	s_nop 0
	;;#ASMSTART
	s_nop 0
	v_add_f32 v31, v31, v31 row_shr:4 bound_ctrl:0 
	;;#ASMEND
	;;#ASMSTART
	s_nop 0
	v_add_f32 v30, v30, v30 row_shr:4 bound_ctrl:0 
	;;#ASMEND
	s_nop 0
	;; [unrolled: 9-line block ×3, first 2 shown]
	;;#ASMSTART
	s_nop 0
	v_add_f32 v31, v31, v31 wave_shr:1 bound_ctrl:0
	;;#ASMEND
	;;#ASMSTART
	s_nop 0
	v_add_f32 v30, v30, v30 wave_shr:1 bound_ctrl:0
	;;#ASMEND
	s_nop 0
	;;#ASMSTART
	s_nop 0
	v_add_f32 v31, v31, v31 row_bcast:15 bound_ctrl:0
	;;#ASMEND
	;;#ASMSTART
	s_nop 0
	v_add_f32 v30, v30, v30 row_bcast:15 bound_ctrl:0
	;;#ASMEND
	s_nop 0
	;;#ASMSTART
	s_nop 0
	v_add_f32 v31, v31, v31 row_bcast:31 bound_ctrl:0
	;;#ASMEND
	;;#ASMSTART
	s_nop 0
	v_add_f32 v30, v30, v30 row_bcast:31 bound_ctrl:0
	;;#ASMEND
	s_and_saveexec_b64 s[6:7], s[0:1]
	s_cbranch_execz .LBB56_54
; %bb.42:                               ;   in Loop: Header=BB56_12 Depth=1
	v_cmp_ne_u32_e32 vcc, 0, v24
	s_and_saveexec_b64 s[24:25], vcc
	s_cbranch_execz .LBB56_48
; %bb.43:                               ;   in Loop: Header=BB56_12 Depth=1
	v_and_b32_e32 v27, 0x7f800000, v31
	v_cmp_ne_u32_e32 vcc, s39, v27
                                        ; implicit-def: $vgpr28
	s_and_saveexec_b64 s[26:27], vcc
	s_xor_b64 s[26:27], exec, s[26:27]
; %bb.44:                               ;   in Loop: Header=BB56_12 Depth=1
	v_bfe_u32 v27, v31, 16, 1
	v_add3_u32 v28, v31, v27, s40
; %bb.45:                               ;   in Loop: Header=BB56_12 Depth=1
	s_andn2_saveexec_b64 s[26:27], s[26:27]
; %bb.46:                               ;   in Loop: Header=BB56_12 Depth=1
	v_or_b32_e32 v27, 0x10000, v31
	v_cmp_eq_u32_sdwa vcc, v31, v29 src0_sel:WORD_0 src1_sel:DWORD
	s_nop 1
	v_cndmask_b32_e32 v28, v27, v31, vcc
; %bb.47:                               ;   in Loop: Header=BB56_12 Depth=1
	s_or_b64 exec, exec, s[26:27]
	v_mov_b32_e32 v27, v29
	v_lshl_add_u64 v[44:45], v[26:27], 1, s[16:17]
	global_store_short_d16_hi v[44:45], v28, off
.LBB56_48:                              ;   in Loop: Header=BB56_12 Depth=1
	s_or_b64 exec, exec, s[24:25]
	v_cmp_ne_u32_e32 vcc, 0, v25
	s_and_b64 exec, exec, vcc
	s_cbranch_execz .LBB56_54
; %bb.49:                               ;   in Loop: Header=BB56_12 Depth=1
	v_and_b32_e32 v27, 0x7f800000, v30
	v_cmp_ne_u32_e32 vcc, s39, v27
                                        ; implicit-def: $vgpr28
	s_and_saveexec_b64 s[24:25], vcc
	s_xor_b64 s[24:25], exec, s[24:25]
; %bb.50:                               ;   in Loop: Header=BB56_12 Depth=1
	v_bfe_u32 v27, v30, 16, 1
	v_add3_u32 v28, v30, v27, s40
                                        ; implicit-def: $vgpr30
; %bb.51:                               ;   in Loop: Header=BB56_12 Depth=1
	s_andn2_saveexec_b64 s[24:25], s[24:25]
; %bb.52:                               ;   in Loop: Header=BB56_12 Depth=1
	v_or_b32_e32 v27, 0x10000, v30
	v_cmp_eq_u32_sdwa vcc, v30, v29 src0_sel:WORD_0 src1_sel:DWORD
	s_nop 1
	v_cndmask_b32_e32 v28, v27, v30, vcc
; %bb.53:                               ;   in Loop: Header=BB56_12 Depth=1
	s_or_b64 exec, exec, s[24:25]
	v_mov_b32_e32 v27, v29
	v_lshl_add_u64 v[30:31], v[26:27], 1, s[20:21]
	global_store_short_d16_hi v[30:31], v28, off
.LBB56_54:                              ;   in Loop: Header=BB56_12 Depth=1
	s_or_b64 exec, exec, s[6:7]
	v_add_u32_e32 v26, s36, v26
	v_add_u32_e32 v27, 2, v26
	v_cmp_gt_u32_e32 vcc, s11, v26
	v_cmp_le_u32_e64 s[6:7], s11, v27
	s_and_b64 s[6:7], vcc, s[6:7]
	s_and_saveexec_b64 s[24:25], s[6:7]
	s_cbranch_execz .LBB56_10
; %bb.55:                               ;   in Loop: Header=BB56_12 Depth=1
	v_cmp_ne_u32_e32 vcc, s37, v26
	s_and_saveexec_b64 s[26:27], vcc
	s_cbranch_execz .LBB56_9
; %bb.56:                               ;   in Loop: Header=BB56_12 Depth=1
	v_subrev_u32_e32 v26, s37, v26
	v_cmp_lt_u32_e32 vcc, 1, v26
	s_mov_b64 s[28:29], 0
	s_mov_b64 s[30:31], 0
	v_cndmask_b32_e32 v26, 1, v26, vcc
.LBB56_57:                              ;   Parent Loop BB56_12 Depth=1
                                        ; =>  This Inner Loop Header: Depth=2
	s_cmp_lg_u32 s30, 1
	s_cselect_b64 vcc, -1, 0
	s_cmp_lg_u32 s30, 0
	v_cndmask_b32_e32 v25, 0, v25, vcc
	s_cselect_b64 vcc, -1, 0
	s_add_u32 s30, s30, 1
	s_addc_u32 s31, s31, 0
	v_cmp_eq_u32_e64 s[6:7], s30, v26
	s_or_b64 s[28:29], s[6:7], s[28:29]
	v_cndmask_b32_e32 v24, 0, v24, vcc
	s_andn2_b64 exec, exec, s[28:29]
	s_cbranch_execnz .LBB56_57
; %bb.58:                               ;   in Loop: Header=BB56_12 Depth=1
	s_or_b64 exec, exec, s[28:29]
	s_branch .LBB56_9
.LBB56_59:
	s_endpgm
	.section	.rodata,"a",@progbits
	.p2align	6, 0x0
	.amdhsa_kernel _ZN5aiter16wvSplitK_hf_big_I14__hip_bfloat16Li64ELi2ELi16ELi8ELi2ELi1EEEviiPKT_S4_PS2_ii
		.amdhsa_group_segment_fixed_size 65536
		.amdhsa_private_segment_fixed_size 0
		.amdhsa_kernarg_size 40
		.amdhsa_user_sgpr_count 2
		.amdhsa_user_sgpr_dispatch_ptr 0
		.amdhsa_user_sgpr_queue_ptr 0
		.amdhsa_user_sgpr_kernarg_segment_ptr 1
		.amdhsa_user_sgpr_dispatch_id 0
		.amdhsa_user_sgpr_kernarg_preload_length 0
		.amdhsa_user_sgpr_kernarg_preload_offset 0
		.amdhsa_user_sgpr_private_segment_size 0
		.amdhsa_uses_dynamic_stack 0
		.amdhsa_enable_private_segment 0
		.amdhsa_system_sgpr_workgroup_id_x 1
		.amdhsa_system_sgpr_workgroup_id_y 0
		.amdhsa_system_sgpr_workgroup_id_z 0
		.amdhsa_system_sgpr_workgroup_info 0
		.amdhsa_system_vgpr_workitem_id 1
		.amdhsa_next_free_vgpr 62
		.amdhsa_next_free_sgpr 44
		.amdhsa_accum_offset 64
		.amdhsa_reserve_vcc 1
		.amdhsa_float_round_mode_32 0
		.amdhsa_float_round_mode_16_64 0
		.amdhsa_float_denorm_mode_32 3
		.amdhsa_float_denorm_mode_16_64 3
		.amdhsa_dx10_clamp 1
		.amdhsa_ieee_mode 1
		.amdhsa_fp16_overflow 0
		.amdhsa_tg_split 0
		.amdhsa_exception_fp_ieee_invalid_op 0
		.amdhsa_exception_fp_denorm_src 0
		.amdhsa_exception_fp_ieee_div_zero 0
		.amdhsa_exception_fp_ieee_overflow 0
		.amdhsa_exception_fp_ieee_underflow 0
		.amdhsa_exception_fp_ieee_inexact 0
		.amdhsa_exception_int_div_zero 0
	.end_amdhsa_kernel
	.section	.text._ZN5aiter16wvSplitK_hf_big_I14__hip_bfloat16Li64ELi2ELi16ELi8ELi2ELi1EEEviiPKT_S4_PS2_ii,"axG",@progbits,_ZN5aiter16wvSplitK_hf_big_I14__hip_bfloat16Li64ELi2ELi16ELi8ELi2ELi1EEEviiPKT_S4_PS2_ii,comdat
.Lfunc_end56:
	.size	_ZN5aiter16wvSplitK_hf_big_I14__hip_bfloat16Li64ELi2ELi16ELi8ELi2ELi1EEEviiPKT_S4_PS2_ii, .Lfunc_end56-_ZN5aiter16wvSplitK_hf_big_I14__hip_bfloat16Li64ELi2ELi16ELi8ELi2ELi1EEEviiPKT_S4_PS2_ii
                                        ; -- End function
	.section	.AMDGPU.csdata,"",@progbits
; Kernel info:
; codeLenInByte = 2172
; NumSgprs: 50
; NumVgprs: 62
; NumAgprs: 0
; TotalNumVgprs: 62
; ScratchSize: 0
; MemoryBound: 0
; FloatMode: 240
; IeeeMode: 1
; LDSByteSize: 65536 bytes/workgroup (compile time only)
; SGPRBlocks: 6
; VGPRBlocks: 7
; NumSGPRsForWavesPerEU: 50
; NumVGPRsForWavesPerEU: 62
; AccumOffset: 64
; Occupancy: 4
; WaveLimiterHint : 0
; COMPUTE_PGM_RSRC2:SCRATCH_EN: 0
; COMPUTE_PGM_RSRC2:USER_SGPR: 2
; COMPUTE_PGM_RSRC2:TRAP_HANDLER: 0
; COMPUTE_PGM_RSRC2:TGID_X_EN: 1
; COMPUTE_PGM_RSRC2:TGID_Y_EN: 0
; COMPUTE_PGM_RSRC2:TGID_Z_EN: 0
; COMPUTE_PGM_RSRC2:TIDIG_COMP_CNT: 1
; COMPUTE_PGM_RSRC3_GFX90A:ACCUM_OFFSET: 15
; COMPUTE_PGM_RSRC3_GFX90A:TG_SPLIT: 0
	.section	.text._ZN5aiter16wvSplitK_hf_sml_I14__hip_bfloat16Li64ELi2ELi16ELi8ELi2ELi2EEEviiPKT_S4_PS2_ii,"axG",@progbits,_ZN5aiter16wvSplitK_hf_sml_I14__hip_bfloat16Li64ELi2ELi16ELi8ELi2ELi2EEEviiPKT_S4_PS2_ii,comdat
	.protected	_ZN5aiter16wvSplitK_hf_sml_I14__hip_bfloat16Li64ELi2ELi16ELi8ELi2ELi2EEEviiPKT_S4_PS2_ii ; -- Begin function _ZN5aiter16wvSplitK_hf_sml_I14__hip_bfloat16Li64ELi2ELi16ELi8ELi2ELi2EEEviiPKT_S4_PS2_ii
	.globl	_ZN5aiter16wvSplitK_hf_sml_I14__hip_bfloat16Li64ELi2ELi16ELi8ELi2ELi2EEEviiPKT_S4_PS2_ii
	.p2align	8
	.type	_ZN5aiter16wvSplitK_hf_sml_I14__hip_bfloat16Li64ELi2ELi16ELi8ELi2ELi2EEEviiPKT_S4_PS2_ii,@function
_ZN5aiter16wvSplitK_hf_sml_I14__hip_bfloat16Li64ELi2ELi16ELi8ELi2ELi2EEEviiPKT_S4_PS2_ii: ; @_ZN5aiter16wvSplitK_hf_sml_I14__hip_bfloat16Li64ELi2ELi16ELi8ELi2ELi2EEEviiPKT_S4_PS2_ii
; %bb.0:
	s_load_dwordx2 s[6:7], s[0:1], 0x0
	v_and_b32_e32 v2, 0x3ff, v0
	v_bfe_u32 v3, v0, 10, 10
	v_lshlrev_b32_e32 v42, 3, v2
	s_mov_b32 s3, 0
	s_waitcnt lgkmcnt(0)
	s_lshl_b32 s22, s6, 1
	s_cmp_lg_u32 s6, 0
	s_cselect_b64 s[4:5], -1, 0
	s_cmp_eq_u32 s6, 0
	s_cbranch_scc1 .LBB57_6
; %bb.1:
	s_load_dwordx2 s[8:9], s[0:1], 0x10
	v_lshlrev_b32_e32 v0, 4, v2
	s_min_i32 s16, s22, 0x8000
	v_lshl_add_u32 v4, v3, 10, v0
	v_lshl_add_u32 v5, v3, 9, v42
	s_mov_b64 s[10:11], 0
	v_mov_b32_e32 v1, 0
                                        ; implicit-def: $sgpr12_sgpr13
	s_branch .LBB57_3
.LBB57_2:                               ;   in Loop: Header=BB57_3 Depth=1
	s_or_b64 exec, exec, s[14:15]
	s_and_b64 s[14:15], exec, s[12:13]
	s_or_b64 s[10:11], s[14:15], s[10:11]
	s_andn2_b64 exec, exec, s[10:11]
	s_cbranch_execz .LBB57_5
.LBB57_3:                               ; =>This Inner Loop Header: Depth=1
	v_add_u32_e32 v0, s3, v5
	v_cmp_gt_u32_e32 vcc, s16, v0
	s_or_b64 s[12:13], s[12:13], exec
	s_and_saveexec_b64 s[14:15], vcc
	s_cbranch_execz .LBB57_2
; %bb.4:                                ;   in Loop: Header=BB57_3 Depth=1
	s_waitcnt lgkmcnt(0)
	v_lshl_add_u64 v[6:7], v[0:1], 1, s[8:9]
	global_load_dwordx4 v[6:9], v[6:7], off
	s_addk_i32 s3, 0x2000
	s_cmp_ge_u32 s3, s16
	s_cselect_b64 s[18:19], -1, 0
	s_andn2_b64 s[12:13], s[12:13], exec
	s_and_b64 s[18:19], s[18:19], exec
	s_or_b64 s[12:13], s[12:13], s[18:19]
	s_waitcnt vmcnt(0)
	ds_write_b128 v4, v[6:9]
	v_add_u32_e32 v4, 0x4000, v4
	s_branch .LBB57_2
.LBB57_5:
	s_or_b64 exec, exec, s[10:11]
.LBB57_6:
	s_load_dwordx2 s[12:13], s[0:1], 0x20
	s_waitcnt lgkmcnt(0)
	s_barrier
	v_cmp_gt_u32_e32 vcc, s12, v3
	s_and_saveexec_b64 s[8:9], vcc
	s_cbranch_execz .LBB57_44
; %bb.7:
	s_mul_i32 s2, s2, s12
	v_add_u32_e32 v0, s2, v3
	v_lshlrev_b32_e32 v32, 1, v0
	v_cmp_gt_u32_e32 vcc, s7, v32
	s_and_b64 exec, exec, vcc
	s_cbranch_execz .LBB57_44
; %bb.8:
	s_load_dwordx2 s[8:9], s[0:1], 0x8
	s_load_dwordx2 s[10:11], s[0:1], 0x18
	s_mul_i32 s2, s12, s13
	v_mul_lo_u32 v0, s6, v0
	s_lshl_b32 s23, s2, 1
	v_lshl_add_u32 v44, v0, 1, v42
	s_mul_i32 s2, s2, s6
	v_cndmask_b32_e64 v0, 0, 1, s[4:5]
	s_ashr_i32 s13, s6, 31
	s_mov_b32 s12, s6
	v_cmp_eq_u32_e64 s[0:1], 63, v2
	v_lshlrev_b32_e32 v43, 4, v2
	s_lshl_b32 s24, s2, 1
	s_mov_b64 s[14:15], 0
	v_cmp_ne_u32_e64 s[2:3], 1, v0
	v_mov_b32_e32 v35, 0
	s_mov_b32 s25, 0x7f800000
	s_movk_i32 s26, 0x7fff
                                        ; implicit-def: $vgpr48
                                        ; implicit-def: $vgpr7
                                        ; implicit-def: $vgpr47
                                        ; implicit-def: $vgpr46
                                        ; implicit-def: $vgpr45
                                        ; implicit-def: $vgpr53
                                        ; implicit-def: $vgpr3
                                        ; implicit-def: $vgpr54
                                        ; implicit-def: $vgpr55
                                        ; implicit-def: $vgpr56
                                        ; implicit-def: $vgpr49
                                        ; implicit-def: $vgpr11
                                        ; implicit-def: $vgpr50
                                        ; implicit-def: $vgpr51
                                        ; implicit-def: $vgpr52
                                        ; implicit-def: $vgpr57
                                        ; implicit-def: $vgpr15
                                        ; implicit-def: $vgpr58
                                        ; implicit-def: $vgpr59
                                        ; implicit-def: $vgpr60
                                        ; implicit-def: $vgpr16_vgpr17_vgpr18_vgpr19
                                        ; implicit-def: $vgpr20_vgpr21_vgpr22_vgpr23
                                        ; implicit-def: $vgpr24_vgpr25_vgpr26_vgpr27
                                        ; implicit-def: $vgpr28_vgpr29_vgpr30_vgpr31
	s_branch .LBB57_11
.LBB57_9:                               ;   in Loop: Header=BB57_11 Depth=1
	s_or_b64 exec, exec, s[16:17]
	v_add_u32_e32 v34, 1, v34
	v_lshl_add_u64 v[36:37], v[34:35], 1, s[10:11]
	global_store_short_d16_hi v[36:37], v33, off
.LBB57_10:                              ;   in Loop: Header=BB57_11 Depth=1
	s_or_b64 exec, exec, s[4:5]
	v_add_u32_e32 v32, s23, v32
	v_cmp_le_u32_e32 vcc, s7, v32
	s_or_b64 s[14:15], vcc, s[14:15]
	v_add_u32_e32 v44, s24, v44
	s_andn2_b64 exec, exec, s[14:15]
	s_cbranch_execz .LBB57_44
.LBB57_11:                              ; =>This Loop Header: Depth=1
                                        ;     Child Loop BB57_15 Depth 2
	s_and_b64 vcc, exec, s[2:3]
	s_mov_b32 s16, 0
	s_cbranch_vccnz .LBB57_26
; %bb.12:                               ;   in Loop: Header=BB57_11 Depth=1
	s_mov_b32 s17, s16
	v_mov_b32_e32 v36, 0
	v_mov_b64_e32 v[38:39], s[16:17]
	v_mov_b32_e32 v33, v43
	v_mov_b32_e32 v37, v36
	s_branch .LBB57_15
.LBB57_13:                              ;   in Loop: Header=BB57_15 Depth=2
	s_or_b64 exec, exec, s[18:19]
.LBB57_14:                              ;   in Loop: Header=BB57_15 Depth=2
	s_or_b64 exec, exec, s[4:5]
	s_addk_i32 s16, 0x400
	s_cmp_ge_u32 s16, s6
	v_add_u32_e32 v33, 0x800, v33
	s_cbranch_scc1 .LBB57_27
.LBB57_15:                              ;   Parent Loop BB57_11 Depth=1
                                        ; =>  This Inner Loop Header: Depth=2
	v_add_u32_e32 v34, s16, v42
	v_cmp_gt_u32_e32 vcc, s6, v34
	v_add_u32_e32 v40, 0x200, v34
	s_and_saveexec_b64 s[18:19], vcc
	s_cbranch_execnz .LBB57_18
; %bb.16:                               ;   in Loop: Header=BB57_15 Depth=2
	s_or_b64 exec, exec, s[18:19]
	s_and_saveexec_b64 s[18:19], vcc
	s_cbranch_execnz .LBB57_21
.LBB57_17:                              ;   in Loop: Header=BB57_15 Depth=2
	s_or_b64 exec, exec, s[18:19]
	s_and_saveexec_b64 s[4:5], vcc
	s_cbranch_execz .LBB57_14
	s_branch .LBB57_24
.LBB57_18:                              ;   in Loop: Header=BB57_15 Depth=2
	v_add_u32_e32 v34, s16, v44
	s_waitcnt lgkmcnt(0)
	v_lshl_add_u64 v[62:63], v[34:35], 1, s[8:9]
	v_lshl_add_u64 v[64:65], s[12:13], 1, v[62:63]
	global_load_dwordx4 v[28:31], v[62:63], off nt
	global_load_dwordx4 v[20:23], v[64:65], off nt
	v_cmp_gt_u32_e64 s[4:5], s6, v40
	s_and_saveexec_b64 s[20:21], s[4:5]
	s_cbranch_execz .LBB57_20
; %bb.19:                               ;   in Loop: Header=BB57_15 Depth=2
	v_add_u32_e32 v34, 0x200, v34
	v_lshl_add_u64 v[62:63], v[34:35], 1, s[8:9]
	v_lshl_add_u64 v[64:65], s[12:13], 1, v[62:63]
	global_load_dwordx4 v[24:27], v[62:63], off nt
	global_load_dwordx4 v[16:19], v[64:65], off nt
.LBB57_20:                              ;   in Loop: Header=BB57_15 Depth=2
	s_or_b64 exec, exec, s[20:21]
	s_or_b64 exec, exec, s[18:19]
	s_and_saveexec_b64 s[18:19], vcc
	s_cbranch_execz .LBB57_17
.LBB57_21:                              ;   in Loop: Header=BB57_15 Depth=2
	v_add_u32_e32 v34, s22, v33
	ds_read_b128 v[12:15], v33
	ds_read_b128 v[0:3], v34
	v_cmp_gt_u32_e64 s[4:5], s6, v40
	s_and_saveexec_b64 s[20:21], s[4:5]
	s_cbranch_execz .LBB57_23
; %bb.22:                               ;   in Loop: Header=BB57_15 Depth=2
	ds_read_b128 v[8:11], v33 offset:1024
	ds_read_b128 v[4:7], v34 offset:1024
	s_waitcnt lgkmcnt(0)
	v_lshrrev_b32_e32 v52, 16, v8
	v_lshrrev_b32_e32 v51, 16, v9
	;; [unrolled: 1-line block ×8, first 2 shown]
.LBB57_23:                              ;   in Loop: Header=BB57_15 Depth=2
	s_or_b64 exec, exec, s[20:21]
	s_waitcnt lgkmcnt(0)
	v_lshrrev_b32_e32 v60, 16, v12
	v_lshrrev_b32_e32 v59, 16, v13
	;; [unrolled: 1-line block ×8, first 2 shown]
	s_or_b64 exec, exec, s[18:19]
	s_and_saveexec_b64 s[4:5], vcc
	s_cbranch_execz .LBB57_14
.LBB57_24:                              ;   in Loop: Header=BB57_15 Depth=2
	v_lshlrev_b32_e32 v64, 16, v60
	s_waitcnt vmcnt(1)
	v_and_b32_e32 v67, 0xffff0000, v28
	s_waitcnt vmcnt(0)
	v_and_b32_e32 v66, 0xffff0000, v20
	v_lshlrev_b32_e32 v34, 16, v12
	v_lshlrev_b32_e32 v63, 16, v28
	;; [unrolled: 1-line block ×3, first 2 shown]
	v_pk_mul_f32 v[64:65], v[64:65], v[66:67] op_sel_hi:[0,1]
	v_lshlrev_b32_e32 v72, 16, v59
	v_and_b32_e32 v75, 0xffff0000, v29
	v_and_b32_e32 v74, 0xffff0000, v21
	v_pk_fma_f32 v[64:65], v[34:35], v[62:63], v[64:65] op_sel_hi:[0,1,1]
	v_lshlrev_b32_e32 v68, 16, v13
	v_lshlrev_b32_e32 v71, 16, v29
	v_lshlrev_b32_e32 v70, 16, v21
	v_pk_add_f32 v[38:39], v[38:39], v[64:65]
	v_pk_mul_f32 v[64:65], v[72:73], v[74:75] op_sel_hi:[0,1]
	v_lshlrev_b32_e32 v78, 16, v58
	v_and_b32_e32 v103, 0xffff0000, v30
	v_and_b32_e32 v102, 0xffff0000, v22
	v_pk_fma_f32 v[64:65], v[68:69], v[70:71], v[64:65] op_sel_hi:[0,1,1]
	v_lshlrev_b32_e32 v76, 16, v14
	v_lshlrev_b32_e32 v101, 16, v30
	v_lshlrev_b32_e32 v100, 16, v22
	v_pk_add_f32 v[38:39], v[38:39], v[64:65]
	;; [unrolled: 9-line block ×3, first 2 shown]
	v_pk_mul_f32 v[64:65], v[82:83], v[106:107] op_sel_hi:[0,1]
	v_lshlrev_b32_e32 v86, 16, v56
	v_pk_fma_f32 v[64:65], v[80:81], v[104:105], v[64:65] op_sel_hi:[0,1,1]
	v_lshlrev_b32_e32 v84, 16, v0
	v_pk_add_f32 v[38:39], v[38:39], v[64:65]
	v_pk_mul_f32 v[64:65], v[86:87], v[66:67] op_sel_hi:[0,1]
	v_lshlrev_b32_e32 v90, 16, v55
	v_pk_fma_f32 v[62:63], v[84:85], v[62:63], v[64:65] op_sel_hi:[0,1,1]
	v_lshlrev_b32_e32 v88, 16, v1
	v_pk_add_f32 v[36:37], v[36:37], v[62:63]
	;; [unrolled: 5-line block ×4, first 2 shown]
	v_pk_mul_f32 v[62:63], v[98:99], v[106:107] op_sel_hi:[0,1]
	v_pk_fma_f32 v[62:63], v[96:97], v[104:105], v[62:63] op_sel_hi:[0,1,1]
	v_pk_add_f32 v[36:37], v[36:37], v[62:63]
	v_cmp_gt_u32_e32 vcc, s6, v40
	s_and_saveexec_b64 s[18:19], vcc
	s_cbranch_execz .LBB57_13
; %bb.25:                               ;   in Loop: Header=BB57_15 Depth=2
	v_lshlrev_b32_e32 v40, 16, v52
	v_and_b32_e32 v93, 0xffff0000, v24
	v_and_b32_e32 v92, 0xffff0000, v16
	v_lshlrev_b32_e32 v34, 16, v8
	v_lshlrev_b32_e32 v91, 16, v24
	;; [unrolled: 1-line block ×3, first 2 shown]
	v_pk_mul_f32 v[40:41], v[40:41], v[92:93] op_sel_hi:[0,1]
	v_lshlrev_b32_e32 v64, 16, v51
	v_and_b32_e32 v97, 0xffff0000, v25
	v_and_b32_e32 v96, 0xffff0000, v17
	v_pk_fma_f32 v[40:41], v[34:35], v[90:91], v[40:41] op_sel_hi:[0,1,1]
	v_lshlrev_b32_e32 v62, 16, v9
	v_lshlrev_b32_e32 v95, 16, v25
	v_lshlrev_b32_e32 v94, 16, v17
	v_pk_add_f32 v[38:39], v[38:39], v[40:41]
	v_pk_mul_f32 v[40:41], v[64:65], v[96:97] op_sel_hi:[0,1]
	v_lshlrev_b32_e32 v68, 16, v50
	v_and_b32_e32 v101, 0xffff0000, v26
	v_and_b32_e32 v100, 0xffff0000, v18
	v_pk_fma_f32 v[40:41], v[62:63], v[94:95], v[40:41] op_sel_hi:[0,1,1]
	v_lshlrev_b32_e32 v66, 16, v10
	v_lshlrev_b32_e32 v99, 16, v26
	v_lshlrev_b32_e32 v98, 16, v18
	v_pk_add_f32 v[38:39], v[38:39], v[40:41]
	;; [unrolled: 9-line block ×3, first 2 shown]
	v_pk_mul_f32 v[40:41], v[72:73], v[104:105] op_sel_hi:[0,1]
	v_lshlrev_b32_e32 v76, 16, v45
	v_pk_fma_f32 v[40:41], v[70:71], v[102:103], v[40:41] op_sel_hi:[0,1,1]
	v_lshlrev_b32_e32 v74, 16, v4
	v_pk_add_f32 v[38:39], v[38:39], v[40:41]
	v_pk_mul_f32 v[40:41], v[76:77], v[92:93] op_sel_hi:[0,1]
	v_lshlrev_b32_e32 v80, 16, v46
	v_pk_fma_f32 v[40:41], v[74:75], v[90:91], v[40:41] op_sel_hi:[0,1,1]
	v_lshlrev_b32_e32 v78, 16, v5
	v_pk_add_f32 v[36:37], v[36:37], v[40:41]
	;; [unrolled: 5-line block ×4, first 2 shown]
	v_pk_mul_f32 v[40:41], v[88:89], v[104:105] op_sel_hi:[0,1]
	v_pk_fma_f32 v[40:41], v[86:87], v[102:103], v[40:41] op_sel_hi:[0,1,1]
	v_pk_add_f32 v[36:37], v[36:37], v[40:41]
	s_branch .LBB57_13
.LBB57_26:                              ;   in Loop: Header=BB57_11 Depth=1
	v_mov_b32_e32 v37, v35
	v_mov_b32_e32 v36, v35
	;; [unrolled: 1-line block ×4, first 2 shown]
.LBB57_27:                              ;   in Loop: Header=BB57_11 Depth=1
	;;#ASMSTART
	s_nop 0
	v_add_f32 v39, v39, v39 row_shr:8 bound_ctrl:0 
	;;#ASMEND
	;;#ASMSTART
	s_nop 0
	v_add_f32 v38, v38, v38 row_shr:8 bound_ctrl:0 
	;;#ASMEND
	;;#ASMSTART
	s_nop 0
	v_add_f32 v37, v37, v37 row_shr:8 bound_ctrl:0 
	;;#ASMEND
	;;#ASMSTART
	s_nop 0
	v_add_f32 v36, v36, v36 row_shr:8 bound_ctrl:0 
	;;#ASMEND
	s_nop 0
	;;#ASMSTART
	s_nop 0
	v_add_f32 v39, v39, v39 row_shr:4 bound_ctrl:0 
	;;#ASMEND
	;;#ASMSTART
	s_nop 0
	v_add_f32 v38, v38, v38 row_shr:4 bound_ctrl:0 
	;;#ASMEND
	;;#ASMSTART
	s_nop 0
	v_add_f32 v37, v37, v37 row_shr:4 bound_ctrl:0 
	;;#ASMEND
	;;#ASMSTART
	s_nop 0
	v_add_f32 v36, v36, v36 row_shr:4 bound_ctrl:0 
	;;#ASMEND
	s_nop 0
	;; [unrolled: 17-line block ×3, first 2 shown]
	;;#ASMSTART
	s_nop 0
	v_add_f32 v39, v39, v39 wave_shr:1 bound_ctrl:0
	;;#ASMEND
	;;#ASMSTART
	s_nop 0
	v_add_f32 v38, v38, v38 wave_shr:1 bound_ctrl:0
	;;#ASMEND
	;; [unrolled: 4-line block ×4, first 2 shown]
	s_nop 0
	;;#ASMSTART
	s_nop 0
	v_add_f32 v39, v39, v39 row_bcast:15 bound_ctrl:0
	;;#ASMEND
	;;#ASMSTART
	s_nop 0
	v_add_f32 v38, v38, v38 row_bcast:15 bound_ctrl:0
	;;#ASMEND
	;; [unrolled: 4-line block ×4, first 2 shown]
	s_nop 0
	;;#ASMSTART
	s_nop 0
	v_add_f32 v39, v39, v39 row_bcast:31 bound_ctrl:0
	;;#ASMEND
	;;#ASMSTART
	s_nop 0
	v_add_f32 v38, v38, v38 row_bcast:31 bound_ctrl:0
	;;#ASMEND
	;; [unrolled: 4-line block ×4, first 2 shown]
	s_and_saveexec_b64 s[4:5], s[0:1]
	s_cbranch_execz .LBB57_10
; %bb.28:                               ;   in Loop: Header=BB57_11 Depth=1
	v_and_b32_e32 v33, 0x7f800000, v39
	v_cmp_ne_u32_e32 vcc, s25, v33
                                        ; implicit-def: $vgpr34
	s_and_saveexec_b64 s[16:17], vcc
	s_xor_b64 s[16:17], exec, s[16:17]
; %bb.29:                               ;   in Loop: Header=BB57_11 Depth=1
	v_bfe_u32 v33, v39, 16, 1
	v_add3_u32 v34, v39, v33, s26
; %bb.30:                               ;   in Loop: Header=BB57_11 Depth=1
	s_andn2_saveexec_b64 s[16:17], s[16:17]
; %bb.31:                               ;   in Loop: Header=BB57_11 Depth=1
	v_or_b32_e32 v33, 0x10000, v39
	v_cmp_eq_u32_sdwa vcc, v39, v35 src0_sel:WORD_0 src1_sel:DWORD
	s_nop 1
	v_cndmask_b32_e32 v34, v33, v39, vcc
; %bb.32:                               ;   in Loop: Header=BB57_11 Depth=1
	s_or_b64 exec, exec, s[16:17]
	v_mov_b32_e32 v33, v35
	s_waitcnt lgkmcnt(0)
	v_lshl_add_u64 v[40:41], v[32:33], 1, s[10:11]
	v_and_b32_e32 v33, 0x7f800000, v38
	v_cmp_ne_u32_e32 vcc, s25, v33
	global_store_short_d16_hi v[40:41], v34, off
                                        ; implicit-def: $vgpr33
	s_and_saveexec_b64 s[16:17], vcc
	s_xor_b64 s[16:17], exec, s[16:17]
; %bb.33:                               ;   in Loop: Header=BB57_11 Depth=1
	v_bfe_u32 v33, v38, 16, 1
	v_add3_u32 v33, v38, v33, s26
                                        ; implicit-def: $vgpr38
; %bb.34:                               ;   in Loop: Header=BB57_11 Depth=1
	s_andn2_saveexec_b64 s[16:17], s[16:17]
; %bb.35:                               ;   in Loop: Header=BB57_11 Depth=1
	v_or_b32_e32 v33, 0x10000, v38
	v_cmp_eq_u32_sdwa vcc, v38, v35 src0_sel:WORD_0 src1_sel:DWORD
	s_nop 1
	v_cndmask_b32_e32 v33, v33, v38, vcc
; %bb.36:                               ;   in Loop: Header=BB57_11 Depth=1
	s_or_b64 exec, exec, s[16:17]
	global_store_short_d16_hi v[40:41], v33, off offset:2
	v_and_b32_e32 v33, 0x7f800000, v37
	v_cmp_ne_u32_e32 vcc, s25, v33
                                        ; implicit-def: $vgpr33
	s_and_saveexec_b64 s[16:17], vcc
	s_xor_b64 s[16:17], exec, s[16:17]
; %bb.37:                               ;   in Loop: Header=BB57_11 Depth=1
	v_bfe_u32 v33, v37, 16, 1
	v_add3_u32 v33, v37, v33, s26
; %bb.38:                               ;   in Loop: Header=BB57_11 Depth=1
	s_andn2_saveexec_b64 s[16:17], s[16:17]
; %bb.39:                               ;   in Loop: Header=BB57_11 Depth=1
	v_or_b32_e32 v33, 0x10000, v37
	v_cmp_eq_u32_sdwa vcc, v37, v35 src0_sel:WORD_0 src1_sel:DWORD
	s_nop 1
	v_cndmask_b32_e32 v33, v33, v37, vcc
; %bb.40:                               ;   in Loop: Header=BB57_11 Depth=1
	s_or_b64 exec, exec, s[16:17]
	v_add_u32_e32 v34, s7, v32
	v_lshl_add_u64 v[38:39], v[34:35], 1, s[10:11]
	global_store_short_d16_hi v[38:39], v33, off
	v_and_b32_e32 v33, 0x7f800000, v36
	v_cmp_ne_u32_e32 vcc, s25, v33
                                        ; implicit-def: $vgpr33
	s_and_saveexec_b64 s[16:17], vcc
	s_xor_b64 s[16:17], exec, s[16:17]
; %bb.41:                               ;   in Loop: Header=BB57_11 Depth=1
	v_bfe_u32 v33, v36, 16, 1
	v_add3_u32 v33, v36, v33, s26
                                        ; implicit-def: $vgpr36
; %bb.42:                               ;   in Loop: Header=BB57_11 Depth=1
	s_andn2_saveexec_b64 s[16:17], s[16:17]
	s_cbranch_execz .LBB57_9
; %bb.43:                               ;   in Loop: Header=BB57_11 Depth=1
	v_or_b32_e32 v33, 0x10000, v36
	v_cmp_eq_u32_sdwa vcc, v36, v35 src0_sel:WORD_0 src1_sel:DWORD
	s_nop 1
	v_cndmask_b32_e32 v33, v33, v36, vcc
	s_branch .LBB57_9
.LBB57_44:
	s_endpgm
	.section	.rodata,"a",@progbits
	.p2align	6, 0x0
	.amdhsa_kernel _ZN5aiter16wvSplitK_hf_sml_I14__hip_bfloat16Li64ELi2ELi16ELi8ELi2ELi2EEEviiPKT_S4_PS2_ii
		.amdhsa_group_segment_fixed_size 65536
		.amdhsa_private_segment_fixed_size 0
		.amdhsa_kernarg_size 40
		.amdhsa_user_sgpr_count 2
		.amdhsa_user_sgpr_dispatch_ptr 0
		.amdhsa_user_sgpr_queue_ptr 0
		.amdhsa_user_sgpr_kernarg_segment_ptr 1
		.amdhsa_user_sgpr_dispatch_id 0
		.amdhsa_user_sgpr_kernarg_preload_length 0
		.amdhsa_user_sgpr_kernarg_preload_offset 0
		.amdhsa_user_sgpr_private_segment_size 0
		.amdhsa_uses_dynamic_stack 0
		.amdhsa_enable_private_segment 0
		.amdhsa_system_sgpr_workgroup_id_x 1
		.amdhsa_system_sgpr_workgroup_id_y 0
		.amdhsa_system_sgpr_workgroup_id_z 0
		.amdhsa_system_sgpr_workgroup_info 0
		.amdhsa_system_vgpr_workitem_id 1
		.amdhsa_next_free_vgpr 108
		.amdhsa_next_free_sgpr 27
		.amdhsa_accum_offset 108
		.amdhsa_reserve_vcc 1
		.amdhsa_float_round_mode_32 0
		.amdhsa_float_round_mode_16_64 0
		.amdhsa_float_denorm_mode_32 3
		.amdhsa_float_denorm_mode_16_64 3
		.amdhsa_dx10_clamp 1
		.amdhsa_ieee_mode 1
		.amdhsa_fp16_overflow 0
		.amdhsa_tg_split 0
		.amdhsa_exception_fp_ieee_invalid_op 0
		.amdhsa_exception_fp_denorm_src 0
		.amdhsa_exception_fp_ieee_div_zero 0
		.amdhsa_exception_fp_ieee_overflow 0
		.amdhsa_exception_fp_ieee_underflow 0
		.amdhsa_exception_fp_ieee_inexact 0
		.amdhsa_exception_int_div_zero 0
	.end_amdhsa_kernel
	.section	.text._ZN5aiter16wvSplitK_hf_sml_I14__hip_bfloat16Li64ELi2ELi16ELi8ELi2ELi2EEEviiPKT_S4_PS2_ii,"axG",@progbits,_ZN5aiter16wvSplitK_hf_sml_I14__hip_bfloat16Li64ELi2ELi16ELi8ELi2ELi2EEEviiPKT_S4_PS2_ii,comdat
.Lfunc_end57:
	.size	_ZN5aiter16wvSplitK_hf_sml_I14__hip_bfloat16Li64ELi2ELi16ELi8ELi2ELi2EEEviiPKT_S4_PS2_ii, .Lfunc_end57-_ZN5aiter16wvSplitK_hf_sml_I14__hip_bfloat16Li64ELi2ELi16ELi8ELi2ELi2EEEviiPKT_S4_PS2_ii
                                        ; -- End function
	.section	.AMDGPU.csdata,"",@progbits
; Kernel info:
; codeLenInByte = 2284
; NumSgprs: 33
; NumVgprs: 108
; NumAgprs: 0
; TotalNumVgprs: 108
; ScratchSize: 0
; MemoryBound: 0
; FloatMode: 240
; IeeeMode: 1
; LDSByteSize: 65536 bytes/workgroup (compile time only)
; SGPRBlocks: 4
; VGPRBlocks: 13
; NumSGPRsForWavesPerEU: 33
; NumVGPRsForWavesPerEU: 108
; AccumOffset: 108
; Occupancy: 4
; WaveLimiterHint : 0
; COMPUTE_PGM_RSRC2:SCRATCH_EN: 0
; COMPUTE_PGM_RSRC2:USER_SGPR: 2
; COMPUTE_PGM_RSRC2:TRAP_HANDLER: 0
; COMPUTE_PGM_RSRC2:TGID_X_EN: 1
; COMPUTE_PGM_RSRC2:TGID_Y_EN: 0
; COMPUTE_PGM_RSRC2:TGID_Z_EN: 0
; COMPUTE_PGM_RSRC2:TIDIG_COMP_CNT: 1
; COMPUTE_PGM_RSRC3_GFX90A:ACCUM_OFFSET: 26
; COMPUTE_PGM_RSRC3_GFX90A:TG_SPLIT: 0
	.section	.text._ZN5aiter12wvSplitK_hf_I14__hip_bfloat16Li64ELi2ELi16ELi8ELi2ELi2EEEviiPKT_S4_PS2_ii,"axG",@progbits,_ZN5aiter12wvSplitK_hf_I14__hip_bfloat16Li64ELi2ELi16ELi8ELi2ELi2EEEviiPKT_S4_PS2_ii,comdat
	.protected	_ZN5aiter12wvSplitK_hf_I14__hip_bfloat16Li64ELi2ELi16ELi8ELi2ELi2EEEviiPKT_S4_PS2_ii ; -- Begin function _ZN5aiter12wvSplitK_hf_I14__hip_bfloat16Li64ELi2ELi16ELi8ELi2ELi2EEEviiPKT_S4_PS2_ii
	.globl	_ZN5aiter12wvSplitK_hf_I14__hip_bfloat16Li64ELi2ELi16ELi8ELi2ELi2EEEviiPKT_S4_PS2_ii
	.p2align	8
	.type	_ZN5aiter12wvSplitK_hf_I14__hip_bfloat16Li64ELi2ELi16ELi8ELi2ELi2EEEviiPKT_S4_PS2_ii,@function
_ZN5aiter12wvSplitK_hf_I14__hip_bfloat16Li64ELi2ELi16ELi8ELi2ELi2EEEviiPKT_S4_PS2_ii: ; @_ZN5aiter12wvSplitK_hf_I14__hip_bfloat16Li64ELi2ELi16ELi8ELi2ELi2EEEviiPKT_S4_PS2_ii
; %bb.0:
	s_load_dwordx2 s[4:5], s[0:1], 0x20
	s_load_dwordx2 s[8:9], s[0:1], 0x0
	;; [unrolled: 1-line block ×3, first 2 shown]
	v_bfe_u32 v3, v0, 10, 10
	s_mov_b32 s6, 1
	s_waitcnt lgkmcnt(0)
	s_mul_i32 s2, s2, s4
	v_add_lshl_u32 v34, s2, v3, 1
	v_add_u32_e32 v1, 2, v34
	v_cmp_gt_u32_e32 vcc, s9, v34
	v_cmp_le_u32_e64 s[2:3], s9, v1
	s_mov_b32 s7, s6
	s_and_b64 s[12:13], vcc, s[2:3]
	v_mov_b64_e32 v[32:33], s[6:7]
	s_and_saveexec_b64 s[2:3], s[12:13]
	s_cbranch_execz .LBB58_6
; %bb.1:
	s_add_i32 s18, s9, -2
	v_cmp_ne_u32_e32 vcc, s18, v34
	v_mov_b64_e32 v[32:33], s[6:7]
	s_and_saveexec_b64 s[6:7], vcc
	s_cbranch_execz .LBB58_5
; %bb.2:
	v_subrev_u32_e32 v1, s18, v34
	s_mov_b32 s12, 1
	v_cmp_lt_u32_e32 vcc, 1, v1
	s_mov_b64 s[14:15], 0
	s_mov_b64 s[16:17], 0
	v_cndmask_b32_e32 v2, 1, v1, vcc
	s_mov_b32 s13, s12
.LBB58_3:                               ; =>This Inner Loop Header: Depth=1
	s_cmp_lg_u32 s16, 1
	s_cselect_b32 s13, s13, 0
	s_cmp_lg_u32 s16, 0
	s_cselect_b32 s12, s12, 0
	s_add_u32 s16, s16, 1
	s_addc_u32 s17, s17, 0
	v_cmp_eq_u32_e32 vcc, s16, v2
	s_or_b64 s[14:15], vcc, s[14:15]
	v_mov_b64_e32 v[32:33], s[12:13]
	s_andn2_b64 exec, exec, s[14:15]
	s_cbranch_execnz .LBB58_3
; %bb.4:
	s_or_b64 exec, exec, s[14:15]
	v_mov_b32_e32 v34, s18
.LBB58_5:
	s_or_b64 exec, exec, s[6:7]
.LBB58_6:
	s_or_b64 exec, exec, s[2:3]
	s_lshl_b32 s26, s8, 1
	v_and_b32_e32 v2, 0x3ff, v0
	s_cmp_lg_u32 s8, 0
	v_lshlrev_b32_e32 v36, 3, v2
	s_mov_b32 s16, 0
	s_cselect_b64 s[6:7], -1, 0
	s_cmp_eq_u32 s8, 0
	v_lshlrev_b32_e32 v37, 4, v2
	s_cbranch_scc1 .LBB58_12
; %bb.7:
	v_lshlrev_b32_e32 v0, 4, v2
	s_min_i32 s17, s26, 0x8000
	v_lshl_add_u32 v4, v3, 10, v0
	v_lshl_add_u32 v5, v3, 9, v36
	s_mov_b64 s[2:3], 0
	v_mov_b32_e32 v1, 0
                                        ; implicit-def: $sgpr12_sgpr13
	s_branch .LBB58_9
.LBB58_8:                               ;   in Loop: Header=BB58_9 Depth=1
	s_or_b64 exec, exec, s[14:15]
	s_and_b64 s[14:15], exec, s[12:13]
	s_or_b64 s[2:3], s[14:15], s[2:3]
	s_andn2_b64 exec, exec, s[2:3]
	s_cbranch_execz .LBB58_11
.LBB58_9:                               ; =>This Inner Loop Header: Depth=1
	v_add_u32_e32 v0, s16, v5
	v_cmp_gt_u32_e32 vcc, s17, v0
	s_or_b64 s[12:13], s[12:13], exec
	s_and_saveexec_b64 s[14:15], vcc
	s_cbranch_execz .LBB58_8
; %bb.10:                               ;   in Loop: Header=BB58_9 Depth=1
	v_lshl_add_u64 v[6:7], v[0:1], 1, s[10:11]
	global_load_dwordx4 v[6:9], v[6:7], off
	s_addk_i32 s16, 0x2000
	s_cmp_ge_u32 s16, s17
	s_cselect_b64 s[18:19], -1, 0
	s_andn2_b64 s[12:13], s[12:13], exec
	s_and_b64 s[18:19], s[18:19], exec
	s_or_b64 s[12:13], s[12:13], s[18:19]
	s_waitcnt vmcnt(0)
	ds_write_b128 v4, v[6:9]
	v_add_u32_e32 v4, 0x4000, v4
	s_branch .LBB58_8
.LBB58_11:
	s_or_b64 exec, exec, s[2:3]
.LBB58_12:
	v_cmp_gt_u32_e32 vcc, s4, v3
	v_cmp_gt_u32_e64 s[2:3], s9, v34
	s_and_b64 s[2:3], vcc, s[2:3]
	s_waitcnt lgkmcnt(0)
	s_barrier
	s_and_saveexec_b64 s[12:13], s[2:3]
	s_cbranch_execz .LBB58_82
; %bb.13:
	s_load_dwordx2 s[12:13], s[0:1], 0x8
	s_load_dwordx2 s[14:15], s[0:1], 0x18
	s_mul_i32 s2, s4, s5
	v_cndmask_b32_e64 v0, 0, 1, s[6:7]
	s_ashr_i32 s17, s8, 31
	s_mov_b32 s16, s8
	v_cmp_eq_u32_e64 s[0:1], 63, v2
	s_lshl_b32 s27, s2, 1
	s_add_i32 s28, s9, -2
	v_add_u32_e32 v64, s8, v36
	s_mov_b64 s[18:19], 0
	v_cmp_ne_u32_e64 s[2:3], 1, v0
	v_mov_b32_e32 v39, 0
	s_movk_i32 s29, 0x7fff
	s_mov_b32 s30, 0x7f800000
                                        ; implicit-def: $vgpr0_vgpr1_vgpr2_vgpr3
                                        ; implicit-def: $vgpr4_vgpr5_vgpr6_vgpr7
                                        ; implicit-def: $vgpr8_vgpr9_vgpr10_vgpr11
                                        ; implicit-def: $vgpr12_vgpr13_vgpr14_vgpr15
                                        ; implicit-def: $vgpr19
                                        ; implicit-def: $vgpr27
                                        ; implicit-def: $vgpr23
                                        ; implicit-def: $vgpr31
	s_branch .LBB58_16
.LBB58_14:                              ;   in Loop: Header=BB58_16 Depth=1
	s_or_b64 exec, exec, s[20:21]
	v_mov_b32_e32 v34, s28
.LBB58_15:                              ;   in Loop: Header=BB58_16 Depth=1
	s_or_b64 exec, exec, s[6:7]
	v_cmp_le_u32_e32 vcc, s9, v34
	s_or_b64 s[18:19], vcc, s[18:19]
	s_andn2_b64 exec, exec, s[18:19]
	s_cbranch_execz .LBB58_82
.LBB58_16:                              ; =>This Loop Header: Depth=1
                                        ;     Child Loop BB58_20 Depth 2
                                        ;     Child Loop BB58_80 Depth 2
	s_and_b64 vcc, exec, s[2:3]
	s_cbranch_vccnz .LBB58_51
; %bb.17:                               ;   in Loop: Header=BB58_16 Depth=1
	v_mov_b32_e32 v42, 0
	v_mad_u64_u32 v[44:45], s[4:5], v34, s8, v[36:37]
	s_mov_b32 s22, 0
	v_mov_b32_e32 v35, v37
	v_mov_b32_e32 v43, v42
	;; [unrolled: 1-line block ×4, first 2 shown]
	s_branch .LBB58_20
.LBB58_18:                              ;   in Loop: Header=BB58_20 Depth=2
	s_or_b64 exec, exec, s[6:7]
.LBB58_19:                              ;   in Loop: Header=BB58_20 Depth=2
	s_or_b64 exec, exec, s[4:5]
	s_addk_i32 s22, 0x400
	s_cmp_ge_u32 s22, s8
	v_add_u32_e32 v35, 0x800, v35
	s_cbranch_scc1 .LBB58_52
.LBB58_20:                              ;   Parent Loop BB58_16 Depth=1
                                        ; =>  This Inner Loop Header: Depth=2
	v_add_u32_e32 v48, s22, v36
	v_cmp_gt_u32_e32 vcc, s8, v48
	v_add_u32_e32 v46, 0x200, v48
	s_and_saveexec_b64 s[6:7], vcc
	s_cbranch_execz .LBB58_24
; %bb.21:                               ;   in Loop: Header=BB58_20 Depth=2
	v_add_u32_e32 v38, s22, v44
	s_waitcnt lgkmcnt(0)
	v_lshl_add_u64 v[50:51], v[38:39], 1, s[12:13]
	v_lshl_add_u64 v[52:53], s[16:17], 1, v[50:51]
	global_load_dwordx4 v[12:15], v[50:51], off nt
	global_load_dwordx4 v[4:7], v[52:53], off nt
	v_cmp_gt_u32_e64 s[4:5], s8, v46
	s_and_saveexec_b64 s[20:21], s[4:5]
	s_cbranch_execz .LBB58_23
; %bb.22:                               ;   in Loop: Header=BB58_20 Depth=2
	v_add_u32_e32 v38, 0x200, v38
	v_lshl_add_u64 v[50:51], v[38:39], 1, s[12:13]
	v_lshl_add_u64 v[52:53], s[16:17], 1, v[50:51]
	global_load_dwordx4 v[8:11], v[50:51], off nt
	global_load_dwordx4 v[0:3], v[52:53], off nt
.LBB58_23:                              ;   in Loop: Header=BB58_20 Depth=2
	s_or_b64 exec, exec, s[20:21]
.LBB58_24:                              ;   in Loop: Header=BB58_20 Depth=2
	s_or_b64 exec, exec, s[6:7]
	s_and_saveexec_b64 s[6:7], vcc
	s_cbranch_execz .LBB58_44
; %bb.25:                               ;   in Loop: Header=BB58_20 Depth=2
	v_cmp_lt_u32_e64 s[4:5], s29, v48
                                        ; implicit-def: $vgpr16
	s_and_saveexec_b64 s[20:21], s[4:5]
	s_xor_b64 s[4:5], exec, s[20:21]
	s_cbranch_execz .LBB58_27
; %bb.26:                               ;   in Loop: Header=BB58_20 Depth=2
	v_mov_b32_e32 v49, v39
	s_waitcnt lgkmcnt(0)
	v_lshl_add_u64 v[16:17], v[48:49], 1, s[10:11]
	global_load_dwordx4 v[16:19], v[16:17], off
.LBB58_27:                              ;   in Loop: Header=BB58_20 Depth=2
	s_andn2_saveexec_b64 s[4:5], s[4:5]
	s_cbranch_execz .LBB58_29
; %bb.28:                               ;   in Loop: Header=BB58_20 Depth=2
	s_waitcnt vmcnt(0) lgkmcnt(0)
	ds_read_b128 v[16:19], v35
.LBB58_29:                              ;   in Loop: Header=BB58_20 Depth=2
	s_or_b64 exec, exec, s[4:5]
	v_add_u32_e32 v38, s22, v64
	v_cmp_lt_u32_e64 s[4:5], s29, v38
                                        ; implicit-def: $vgpr24
	s_and_saveexec_b64 s[20:21], s[4:5]
	s_xor_b64 s[4:5], exec, s[20:21]
	s_cbranch_execnz .LBB58_32
; %bb.30:                               ;   in Loop: Header=BB58_20 Depth=2
	s_andn2_saveexec_b64 s[4:5], s[4:5]
	s_cbranch_execnz .LBB58_33
.LBB58_31:                              ;   in Loop: Header=BB58_20 Depth=2
	s_or_b64 exec, exec, s[4:5]
	v_cmp_gt_u32_e64 s[4:5], s8, v46
	s_and_saveexec_b64 s[20:21], s[4:5]
	s_cbranch_execnz .LBB58_34
	s_branch .LBB58_43
.LBB58_32:                              ;   in Loop: Header=BB58_20 Depth=2
	s_waitcnt lgkmcnt(0)
	v_lshl_add_u64 v[24:25], v[38:39], 1, s[10:11]
	global_load_dwordx4 v[24:27], v[24:25], off
	s_andn2_saveexec_b64 s[4:5], s[4:5]
	s_cbranch_execz .LBB58_31
.LBB58_33:                              ;   in Loop: Header=BB58_20 Depth=2
	s_waitcnt vmcnt(0) lgkmcnt(0)
	v_add_u32_e32 v24, s26, v35
	ds_read_b128 v[24:27], v24
	s_or_b64 exec, exec, s[4:5]
	v_cmp_gt_u32_e64 s[4:5], s8, v46
	s_and_saveexec_b64 s[20:21], s[4:5]
	s_cbranch_execz .LBB58_43
.LBB58_34:                              ;   in Loop: Header=BB58_20 Depth=2
	v_cmp_lt_u32_e64 s[4:5], s29, v46
                                        ; implicit-def: $vgpr20
	s_and_saveexec_b64 s[24:25], s[4:5]
	s_xor_b64 s[4:5], exec, s[24:25]
	s_cbranch_execz .LBB58_36
; %bb.35:                               ;   in Loop: Header=BB58_20 Depth=2
	v_mov_b32_e32 v47, v39
	s_waitcnt lgkmcnt(0)
	v_lshl_add_u64 v[20:21], v[46:47], 1, s[10:11]
	global_load_dwordx4 v[20:23], v[20:21], off
.LBB58_36:                              ;   in Loop: Header=BB58_20 Depth=2
	s_andn2_saveexec_b64 s[4:5], s[4:5]
	s_cbranch_execz .LBB58_38
; %bb.37:                               ;   in Loop: Header=BB58_20 Depth=2
	s_waitcnt vmcnt(0) lgkmcnt(0)
	ds_read_b128 v[20:23], v35 offset:1024
.LBB58_38:                              ;   in Loop: Header=BB58_20 Depth=2
	s_or_b64 exec, exec, s[4:5]
	v_add_u32_e32 v38, 0x200, v38
	v_cmp_lt_u32_e64 s[4:5], s29, v38
                                        ; implicit-def: $vgpr28
	s_and_saveexec_b64 s[24:25], s[4:5]
	s_xor_b64 s[4:5], exec, s[24:25]
	s_cbranch_execz .LBB58_40
; %bb.39:                               ;   in Loop: Header=BB58_20 Depth=2
	s_waitcnt lgkmcnt(0)
	v_lshl_add_u64 v[28:29], v[38:39], 1, s[10:11]
	global_load_dwordx4 v[28:31], v[28:29], off
.LBB58_40:                              ;   in Loop: Header=BB58_20 Depth=2
	s_andn2_saveexec_b64 s[4:5], s[4:5]
	s_cbranch_execz .LBB58_42
; %bb.41:                               ;   in Loop: Header=BB58_20 Depth=2
	s_waitcnt vmcnt(0) lgkmcnt(0)
	v_add_u32_e32 v28, s26, v35
	ds_read_b128 v[28:31], v28 offset:1024
.LBB58_42:                              ;   in Loop: Header=BB58_20 Depth=2
	s_or_b64 exec, exec, s[4:5]
.LBB58_43:                              ;   in Loop: Header=BB58_20 Depth=2
	s_or_b64 exec, exec, s[20:21]
.LBB58_44:                              ;   in Loop: Header=BB58_20 Depth=2
	s_or_b64 exec, exec, s[6:7]
	s_waitcnt vmcnt(1)
	v_lshlrev_b32_e32 v61, 16, v12
	s_waitcnt vmcnt(0)
	v_lshlrev_b32_e32 v60, 16, v4
	v_and_b32_e32 v63, 0xffff0000, v12
	v_and_b32_e32 v62, 0xffff0000, v4
	v_lshlrev_b32_e32 v57, 16, v13
	v_and_b32_e32 v59, 0xffff0000, v13
	v_lshlrev_b32_e32 v56, 16, v5
	;; [unrolled: 2-line block ×3, first 2 shown]
	v_lshlrev_b32_e32 v52, 16, v6
	v_and_b32_e32 v55, 0xffff0000, v14
	v_and_b32_e32 v54, 0xffff0000, v6
	v_lshlrev_b32_e32 v49, 16, v15
	v_lshlrev_b32_e32 v48, 16, v7
	v_and_b32_e32 v51, 0xffff0000, v15
	v_and_b32_e32 v50, 0xffff0000, v7
	s_and_saveexec_b64 s[6:7], vcc
	s_cbranch_execz .LBB58_48
; %bb.45:                               ;   in Loop: Header=BB58_20 Depth=2
	s_waitcnt lgkmcnt(0)
	v_and_b32_e32 v66, 0xffff0000, v16
	v_lshlrev_b32_e32 v38, 16, v16
	v_pk_mul_f32 v[66:67], v[66:67], v[62:63] op_sel_hi:[0,1]
	v_and_b32_e32 v70, 0xffff0000, v17
	v_pk_fma_f32 v[66:67], v[38:39], v[60:61], v[66:67] op_sel_hi:[0,1,1]
	v_lshlrev_b32_e32 v68, 16, v17
	v_pk_add_f32 v[42:43], v[42:43], v[66:67]
	v_pk_mul_f32 v[66:67], v[70:71], v[58:59] op_sel_hi:[0,1]
	v_and_b32_e32 v74, 0xffff0000, v18
	v_pk_fma_f32 v[66:67], v[68:69], v[56:57], v[66:67] op_sel_hi:[0,1,1]
	v_lshlrev_b32_e32 v72, 16, v18
	v_pk_add_f32 v[42:43], v[42:43], v[66:67]
	;; [unrolled: 5-line block ×3, first 2 shown]
	v_pk_mul_f32 v[66:67], v[78:79], v[50:51] op_sel_hi:[0,1]
	v_pk_fma_f32 v[66:67], v[76:77], v[48:49], v[66:67] op_sel_hi:[0,1,1]
	v_pk_add_f32 v[42:43], v[42:43], v[66:67]
	v_cmp_gt_u32_e64 s[4:5], s8, v46
	s_and_saveexec_b64 s[20:21], s[4:5]
	s_cbranch_execz .LBB58_47
; %bb.46:                               ;   in Loop: Header=BB58_20 Depth=2
	v_and_b32_e32 v66, 0xffff0000, v20
	v_and_b32_e32 v83, 0xffff0000, v8
	;; [unrolled: 1-line block ×3, first 2 shown]
	v_lshlrev_b32_e32 v38, 16, v20
	v_lshlrev_b32_e32 v81, 16, v8
	;; [unrolled: 1-line block ×3, first 2 shown]
	v_pk_mul_f32 v[66:67], v[66:67], v[82:83] op_sel_hi:[0,1]
	v_and_b32_e32 v70, 0xffff0000, v21
	v_pk_fma_f32 v[66:67], v[38:39], v[80:81], v[66:67] op_sel_hi:[0,1,1]
	v_and_b32_e32 v81, 0xffff0000, v9
	v_and_b32_e32 v80, 0xffff0000, v1
	v_lshlrev_b32_e32 v68, 16, v21
	v_pk_add_f32 v[42:43], v[42:43], v[66:67]
	v_lshlrev_b32_e32 v67, 16, v9
	v_lshlrev_b32_e32 v66, 16, v1
	v_pk_mul_f32 v[70:71], v[70:71], v[80:81] op_sel_hi:[0,1]
	v_and_b32_e32 v74, 0xffff0000, v22
	v_pk_fma_f32 v[66:67], v[68:69], v[66:67], v[70:71] op_sel_hi:[0,1,1]
	v_and_b32_e32 v69, 0xffff0000, v10
	v_and_b32_e32 v68, 0xffff0000, v2
	v_lshlrev_b32_e32 v72, 16, v22
	v_pk_add_f32 v[42:43], v[42:43], v[66:67]
	v_lshlrev_b32_e32 v67, 16, v10
	v_lshlrev_b32_e32 v66, 16, v2
	;; [unrolled: 9-line block ×3, first 2 shown]
	v_pk_mul_f32 v[68:69], v[78:79], v[68:69] op_sel_hi:[0,1]
	v_pk_fma_f32 v[66:67], v[76:77], v[66:67], v[68:69] op_sel_hi:[0,1,1]
	v_pk_add_f32 v[42:43], v[42:43], v[66:67]
.LBB58_47:                              ;   in Loop: Header=BB58_20 Depth=2
	s_or_b64 exec, exec, s[20:21]
.LBB58_48:                              ;   in Loop: Header=BB58_20 Depth=2
	s_or_b64 exec, exec, s[6:7]
	s_and_saveexec_b64 s[4:5], vcc
	s_cbranch_execz .LBB58_19
; %bb.49:                               ;   in Loop: Header=BB58_20 Depth=2
	s_waitcnt lgkmcnt(0)
	v_and_b32_e32 v66, 0xffff0000, v24
	v_lshlrev_b32_e32 v38, 16, v24
	v_and_b32_e32 v70, 0xffff0000, v25
	v_pk_mul_f32 v[62:63], v[66:67], v[62:63] op_sel_hi:[0,1]
	v_lshlrev_b32_e32 v68, 16, v25
	v_and_b32_e32 v74, 0xffff0000, v26
	v_pk_fma_f32 v[60:61], v[38:39], v[60:61], v[62:63] op_sel_hi:[0,1,1]
	v_pk_mul_f32 v[58:59], v[70:71], v[58:59] op_sel_hi:[0,1]
	v_lshlrev_b32_e32 v72, 16, v26
	v_and_b32_e32 v78, 0xffff0000, v27
	v_pk_add_f32 v[40:41], v[40:41], v[60:61]
	v_pk_fma_f32 v[56:57], v[68:69], v[56:57], v[58:59] op_sel_hi:[0,1,1]
	v_pk_mul_f32 v[54:55], v[74:75], v[54:55] op_sel_hi:[0,1]
	v_lshlrev_b32_e32 v76, 16, v27
	v_pk_add_f32 v[40:41], v[40:41], v[56:57]
	v_pk_fma_f32 v[52:53], v[72:73], v[52:53], v[54:55] op_sel_hi:[0,1,1]
	v_pk_mul_f32 v[50:51], v[78:79], v[50:51] op_sel_hi:[0,1]
	v_pk_add_f32 v[40:41], v[40:41], v[52:53]
	v_pk_fma_f32 v[48:49], v[76:77], v[48:49], v[50:51] op_sel_hi:[0,1,1]
	v_pk_add_f32 v[40:41], v[40:41], v[48:49]
	v_cmp_gt_u32_e32 vcc, s8, v46
	s_and_saveexec_b64 s[6:7], vcc
	s_cbranch_execz .LBB58_18
; %bb.50:                               ;   in Loop: Header=BB58_20 Depth=2
	v_and_b32_e32 v46, 0xffff0000, v28
	v_and_b32_e32 v63, 0xffff0000, v8
	;; [unrolled: 1-line block ×3, first 2 shown]
	v_lshlrev_b32_e32 v38, 16, v28
	v_lshlrev_b32_e32 v61, 16, v8
	;; [unrolled: 1-line block ×3, first 2 shown]
	v_pk_mul_f32 v[46:47], v[46:47], v[62:63] op_sel_hi:[0,1]
	v_and_b32_e32 v50, 0xffff0000, v29
	v_pk_fma_f32 v[46:47], v[38:39], v[60:61], v[46:47] op_sel_hi:[0,1,1]
	v_and_b32_e32 v61, 0xffff0000, v9
	v_and_b32_e32 v60, 0xffff0000, v1
	v_lshlrev_b32_e32 v48, 16, v29
	v_pk_add_f32 v[40:41], v[40:41], v[46:47]
	v_lshlrev_b32_e32 v47, 16, v9
	v_lshlrev_b32_e32 v46, 16, v1
	v_pk_mul_f32 v[50:51], v[50:51], v[60:61] op_sel_hi:[0,1]
	v_and_b32_e32 v54, 0xffff0000, v30
	v_pk_fma_f32 v[46:47], v[48:49], v[46:47], v[50:51] op_sel_hi:[0,1,1]
	v_and_b32_e32 v49, 0xffff0000, v10
	v_and_b32_e32 v48, 0xffff0000, v2
	v_lshlrev_b32_e32 v52, 16, v30
	v_pk_add_f32 v[40:41], v[40:41], v[46:47]
	v_lshlrev_b32_e32 v47, 16, v10
	v_lshlrev_b32_e32 v46, 16, v2
	v_pk_mul_f32 v[48:49], v[54:55], v[48:49] op_sel_hi:[0,1]
	v_and_b32_e32 v58, 0xffff0000, v31
	v_pk_fma_f32 v[46:47], v[52:53], v[46:47], v[48:49] op_sel_hi:[0,1,1]
	v_and_b32_e32 v49, 0xffff0000, v11
	v_and_b32_e32 v48, 0xffff0000, v3
	v_lshlrev_b32_e32 v56, 16, v31
	v_pk_add_f32 v[40:41], v[40:41], v[46:47]
	v_lshlrev_b32_e32 v47, 16, v11
	v_lshlrev_b32_e32 v46, 16, v3
	v_pk_mul_f32 v[48:49], v[58:59], v[48:49] op_sel_hi:[0,1]
	v_pk_fma_f32 v[46:47], v[56:57], v[46:47], v[48:49] op_sel_hi:[0,1,1]
	v_pk_add_f32 v[40:41], v[40:41], v[46:47]
	s_branch .LBB58_18
.LBB58_51:                              ;   in Loop: Header=BB58_16 Depth=1
	v_mov_b32_e32 v41, v39
	v_mov_b32_e32 v40, v39
	;; [unrolled: 1-line block ×4, first 2 shown]
.LBB58_52:                              ;   in Loop: Header=BB58_16 Depth=1
	;;#ASMSTART
	s_nop 0
	v_add_f32 v43, v43, v43 row_shr:8 bound_ctrl:0 
	;;#ASMEND
	;;#ASMSTART
	s_nop 0
	v_add_f32 v42, v42, v42 row_shr:8 bound_ctrl:0 
	;;#ASMEND
	;;#ASMSTART
	s_nop 0
	v_add_f32 v41, v41, v41 row_shr:8 bound_ctrl:0 
	;;#ASMEND
	;;#ASMSTART
	s_nop 0
	v_add_f32 v40, v40, v40 row_shr:8 bound_ctrl:0 
	;;#ASMEND
	s_nop 0
	;;#ASMSTART
	s_nop 0
	v_add_f32 v43, v43, v43 row_shr:4 bound_ctrl:0 
	;;#ASMEND
	;;#ASMSTART
	s_nop 0
	v_add_f32 v42, v42, v42 row_shr:4 bound_ctrl:0 
	;;#ASMEND
	;;#ASMSTART
	s_nop 0
	v_add_f32 v41, v41, v41 row_shr:4 bound_ctrl:0 
	;;#ASMEND
	;;#ASMSTART
	s_nop 0
	v_add_f32 v40, v40, v40 row_shr:4 bound_ctrl:0 
	;;#ASMEND
	s_nop 0
	;; [unrolled: 17-line block ×3, first 2 shown]
	;;#ASMSTART
	s_nop 0
	v_add_f32 v43, v43, v43 wave_shr:1 bound_ctrl:0
	;;#ASMEND
	;;#ASMSTART
	s_nop 0
	v_add_f32 v42, v42, v42 wave_shr:1 bound_ctrl:0
	;;#ASMEND
	;; [unrolled: 4-line block ×4, first 2 shown]
	s_nop 0
	;;#ASMSTART
	s_nop 0
	v_add_f32 v43, v43, v43 row_bcast:15 bound_ctrl:0
	;;#ASMEND
	;;#ASMSTART
	s_nop 0
	v_add_f32 v42, v42, v42 row_bcast:15 bound_ctrl:0
	;;#ASMEND
	;; [unrolled: 4-line block ×4, first 2 shown]
	s_nop 0
	;;#ASMSTART
	s_nop 0
	v_add_f32 v43, v43, v43 row_bcast:31 bound_ctrl:0
	;;#ASMEND
	;;#ASMSTART
	s_nop 0
	v_add_f32 v42, v42, v42 row_bcast:31 bound_ctrl:0
	;;#ASMEND
	;; [unrolled: 4-line block ×4, first 2 shown]
	s_and_saveexec_b64 s[20:21], s[0:1]
	s_cbranch_execz .LBB58_77
; %bb.53:                               ;   in Loop: Header=BB58_16 Depth=1
	v_cmp_ne_u32_e32 vcc, 0, v32
	s_and_saveexec_b64 s[6:7], vcc
	s_cbranch_execnz .LBB58_57
; %bb.54:                               ;   in Loop: Header=BB58_16 Depth=1
	s_or_b64 exec, exec, s[6:7]
	v_cmp_ne_u32_e64 s[4:5], 0, v33
	s_and_saveexec_b64 s[22:23], s[4:5]
	s_cbranch_execnz .LBB58_62
.LBB58_55:                              ;   in Loop: Header=BB58_16 Depth=1
	s_or_b64 exec, exec, s[22:23]
	v_add_u32_e32 v38, s9, v34
	s_and_saveexec_b64 s[6:7], vcc
	s_cbranch_execnz .LBB58_67
.LBB58_56:                              ;   in Loop: Header=BB58_16 Depth=1
	s_or_b64 exec, exec, s[6:7]
	s_and_b64 exec, exec, s[4:5]
	s_cbranch_execnz .LBB58_72
	s_branch .LBB58_77
.LBB58_57:                              ;   in Loop: Header=BB58_16 Depth=1
	v_and_b32_e32 v35, 0x7f800000, v43
	v_cmp_ne_u32_e64 s[4:5], s30, v35
                                        ; implicit-def: $vgpr38
	s_and_saveexec_b64 s[22:23], s[4:5]
	s_xor_b64 s[4:5], exec, s[22:23]
; %bb.58:                               ;   in Loop: Header=BB58_16 Depth=1
	v_bfe_u32 v35, v43, 16, 1
	v_add3_u32 v38, v43, v35, s29
; %bb.59:                               ;   in Loop: Header=BB58_16 Depth=1
	s_andn2_saveexec_b64 s[22:23], s[4:5]
; %bb.60:                               ;   in Loop: Header=BB58_16 Depth=1
	v_or_b32_e32 v35, 0x10000, v43
	v_cmp_eq_u32_sdwa s[4:5], v43, v39 src0_sel:WORD_0 src1_sel:DWORD
	s_nop 1
	v_cndmask_b32_e64 v38, v35, v43, s[4:5]
; %bb.61:                               ;   in Loop: Header=BB58_16 Depth=1
	s_or_b64 exec, exec, s[22:23]
	v_mov_b32_e32 v35, v39
	s_waitcnt lgkmcnt(0)
	v_lshl_add_u64 v[44:45], v[34:35], 1, s[14:15]
	global_store_short_d16_hi v[44:45], v38, off
	s_or_b64 exec, exec, s[6:7]
	v_cmp_ne_u32_e64 s[4:5], 0, v33
	s_and_saveexec_b64 s[22:23], s[4:5]
	s_cbranch_execz .LBB58_55
.LBB58_62:                              ;   in Loop: Header=BB58_16 Depth=1
	v_and_b32_e32 v35, 0x7f800000, v42
	v_cmp_ne_u32_e64 s[6:7], s30, v35
                                        ; implicit-def: $vgpr35
	s_and_saveexec_b64 s[24:25], s[6:7]
	s_xor_b64 s[6:7], exec, s[24:25]
; %bb.63:                               ;   in Loop: Header=BB58_16 Depth=1
	v_bfe_u32 v35, v42, 16, 1
	v_add3_u32 v35, v42, v35, s29
                                        ; implicit-def: $vgpr42
; %bb.64:                               ;   in Loop: Header=BB58_16 Depth=1
	s_andn2_saveexec_b64 s[24:25], s[6:7]
; %bb.65:                               ;   in Loop: Header=BB58_16 Depth=1
	v_or_b32_e32 v35, 0x10000, v42
	v_cmp_eq_u32_sdwa s[6:7], v42, v39 src0_sel:WORD_0 src1_sel:DWORD
	s_nop 1
	v_cndmask_b32_e64 v35, v35, v42, s[6:7]
; %bb.66:                               ;   in Loop: Header=BB58_16 Depth=1
	s_or_b64 exec, exec, s[24:25]
	v_add_u32_e32 v38, 1, v34
	s_waitcnt lgkmcnt(0)
	v_lshl_add_u64 v[42:43], v[38:39], 1, s[14:15]
	global_store_short_d16_hi v[42:43], v35, off
	s_or_b64 exec, exec, s[22:23]
	v_add_u32_e32 v38, s9, v34
	s_and_saveexec_b64 s[6:7], vcc
	s_cbranch_execz .LBB58_56
.LBB58_67:                              ;   in Loop: Header=BB58_16 Depth=1
	v_and_b32_e32 v35, 0x7f800000, v41
	v_cmp_ne_u32_e32 vcc, s30, v35
                                        ; implicit-def: $vgpr35
	s_and_saveexec_b64 s[22:23], vcc
	s_xor_b64 s[22:23], exec, s[22:23]
; %bb.68:                               ;   in Loop: Header=BB58_16 Depth=1
	v_bfe_u32 v35, v41, 16, 1
	v_add3_u32 v35, v41, v35, s29
; %bb.69:                               ;   in Loop: Header=BB58_16 Depth=1
	s_andn2_saveexec_b64 s[22:23], s[22:23]
; %bb.70:                               ;   in Loop: Header=BB58_16 Depth=1
	v_or_b32_e32 v35, 0x10000, v41
	v_cmp_eq_u32_sdwa vcc, v41, v39 src0_sel:WORD_0 src1_sel:DWORD
	s_nop 1
	v_cndmask_b32_e32 v35, v35, v41, vcc
; %bb.71:                               ;   in Loop: Header=BB58_16 Depth=1
	s_or_b64 exec, exec, s[22:23]
	s_waitcnt lgkmcnt(0)
	v_lshl_add_u64 v[42:43], v[38:39], 1, s[14:15]
	global_store_short_d16_hi v[42:43], v35, off
	s_or_b64 exec, exec, s[6:7]
	s_and_b64 exec, exec, s[4:5]
	s_cbranch_execz .LBB58_77
.LBB58_72:                              ;   in Loop: Header=BB58_16 Depth=1
	v_and_b32_e32 v35, 0x7f800000, v40
	v_cmp_ne_u32_e32 vcc, s30, v35
                                        ; implicit-def: $vgpr35
	s_and_saveexec_b64 s[4:5], vcc
	s_xor_b64 s[4:5], exec, s[4:5]
; %bb.73:                               ;   in Loop: Header=BB58_16 Depth=1
	v_bfe_u32 v35, v40, 16, 1
	v_add3_u32 v35, v40, v35, s29
                                        ; implicit-def: $vgpr40
; %bb.74:                               ;   in Loop: Header=BB58_16 Depth=1
	s_andn2_saveexec_b64 s[4:5], s[4:5]
; %bb.75:                               ;   in Loop: Header=BB58_16 Depth=1
	v_or_b32_e32 v35, 0x10000, v40
	v_cmp_eq_u32_sdwa vcc, v40, v39 src0_sel:WORD_0 src1_sel:DWORD
	s_nop 1
	v_cndmask_b32_e32 v35, v35, v40, vcc
; %bb.76:                               ;   in Loop: Header=BB58_16 Depth=1
	s_or_b64 exec, exec, s[4:5]
	v_add_u32_e32 v38, 1, v38
	s_waitcnt lgkmcnt(0)
	v_lshl_add_u64 v[40:41], v[38:39], 1, s[14:15]
	global_store_short_d16_hi v[40:41], v35, off
.LBB58_77:                              ;   in Loop: Header=BB58_16 Depth=1
	s_or_b64 exec, exec, s[20:21]
	v_add_u32_e32 v34, s27, v34
	v_add_u32_e32 v35, 2, v34
	v_cmp_gt_u32_e32 vcc, s9, v34
	v_cmp_le_u32_e64 s[4:5], s9, v35
	s_and_b64 s[4:5], vcc, s[4:5]
	s_and_saveexec_b64 s[6:7], s[4:5]
	s_cbranch_execz .LBB58_15
; %bb.78:                               ;   in Loop: Header=BB58_16 Depth=1
	v_cmp_ne_u32_e32 vcc, s28, v34
	s_and_saveexec_b64 s[20:21], vcc
	s_cbranch_execz .LBB58_14
; %bb.79:                               ;   in Loop: Header=BB58_16 Depth=1
	v_subrev_u32_e32 v34, s28, v34
	v_cmp_lt_u32_e32 vcc, 1, v34
	s_mov_b64 s[22:23], 0
	s_mov_b64 s[24:25], 0
	v_cndmask_b32_e32 v34, 1, v34, vcc
.LBB58_80:                              ;   Parent Loop BB58_16 Depth=1
                                        ; =>  This Inner Loop Header: Depth=2
	s_cmp_lg_u32 s24, 1
	s_cselect_b64 vcc, -1, 0
	s_cmp_lg_u32 s24, 0
	v_cndmask_b32_e32 v33, 0, v33, vcc
	s_cselect_b64 vcc, -1, 0
	s_add_u32 s24, s24, 1
	s_addc_u32 s25, s25, 0
	v_cmp_eq_u32_e64 s[4:5], s24, v34
	s_or_b64 s[22:23], s[4:5], s[22:23]
	v_cndmask_b32_e32 v32, 0, v32, vcc
	s_andn2_b64 exec, exec, s[22:23]
	s_cbranch_execnz .LBB58_80
; %bb.81:                               ;   in Loop: Header=BB58_16 Depth=1
	s_or_b64 exec, exec, s[22:23]
	s_branch .LBB58_14
.LBB58_82:
	s_endpgm
	.section	.rodata,"a",@progbits
	.p2align	6, 0x0
	.amdhsa_kernel _ZN5aiter12wvSplitK_hf_I14__hip_bfloat16Li64ELi2ELi16ELi8ELi2ELi2EEEviiPKT_S4_PS2_ii
		.amdhsa_group_segment_fixed_size 65536
		.amdhsa_private_segment_fixed_size 0
		.amdhsa_kernarg_size 40
		.amdhsa_user_sgpr_count 2
		.amdhsa_user_sgpr_dispatch_ptr 0
		.amdhsa_user_sgpr_queue_ptr 0
		.amdhsa_user_sgpr_kernarg_segment_ptr 1
		.amdhsa_user_sgpr_dispatch_id 0
		.amdhsa_user_sgpr_kernarg_preload_length 0
		.amdhsa_user_sgpr_kernarg_preload_offset 0
		.amdhsa_user_sgpr_private_segment_size 0
		.amdhsa_uses_dynamic_stack 0
		.amdhsa_enable_private_segment 0
		.amdhsa_system_sgpr_workgroup_id_x 1
		.amdhsa_system_sgpr_workgroup_id_y 0
		.amdhsa_system_sgpr_workgroup_id_z 0
		.amdhsa_system_sgpr_workgroup_info 0
		.amdhsa_system_vgpr_workitem_id 1
		.amdhsa_next_free_vgpr 84
		.amdhsa_next_free_sgpr 31
		.amdhsa_accum_offset 84
		.amdhsa_reserve_vcc 1
		.amdhsa_float_round_mode_32 0
		.amdhsa_float_round_mode_16_64 0
		.amdhsa_float_denorm_mode_32 3
		.amdhsa_float_denorm_mode_16_64 3
		.amdhsa_dx10_clamp 1
		.amdhsa_ieee_mode 1
		.amdhsa_fp16_overflow 0
		.amdhsa_tg_split 0
		.amdhsa_exception_fp_ieee_invalid_op 0
		.amdhsa_exception_fp_denorm_src 0
		.amdhsa_exception_fp_ieee_div_zero 0
		.amdhsa_exception_fp_ieee_overflow 0
		.amdhsa_exception_fp_ieee_underflow 0
		.amdhsa_exception_fp_ieee_inexact 0
		.amdhsa_exception_int_div_zero 0
	.end_amdhsa_kernel
	.section	.text._ZN5aiter12wvSplitK_hf_I14__hip_bfloat16Li64ELi2ELi16ELi8ELi2ELi2EEEviiPKT_S4_PS2_ii,"axG",@progbits,_ZN5aiter12wvSplitK_hf_I14__hip_bfloat16Li64ELi2ELi16ELi8ELi2ELi2EEEviiPKT_S4_PS2_ii,comdat
.Lfunc_end58:
	.size	_ZN5aiter12wvSplitK_hf_I14__hip_bfloat16Li64ELi2ELi16ELi8ELi2ELi2EEEviiPKT_S4_PS2_ii, .Lfunc_end58-_ZN5aiter12wvSplitK_hf_I14__hip_bfloat16Li64ELi2ELi16ELi8ELi2ELi2EEEviiPKT_S4_PS2_ii
                                        ; -- End function
	.section	.AMDGPU.csdata,"",@progbits
; Kernel info:
; codeLenInByte = 3068
; NumSgprs: 37
; NumVgprs: 84
; NumAgprs: 0
; TotalNumVgprs: 84
; ScratchSize: 0
; MemoryBound: 0
; FloatMode: 240
; IeeeMode: 1
; LDSByteSize: 65536 bytes/workgroup (compile time only)
; SGPRBlocks: 4
; VGPRBlocks: 10
; NumSGPRsForWavesPerEU: 37
; NumVGPRsForWavesPerEU: 84
; AccumOffset: 84
; Occupancy: 4
; WaveLimiterHint : 0
; COMPUTE_PGM_RSRC2:SCRATCH_EN: 0
; COMPUTE_PGM_RSRC2:USER_SGPR: 2
; COMPUTE_PGM_RSRC2:TRAP_HANDLER: 0
; COMPUTE_PGM_RSRC2:TGID_X_EN: 1
; COMPUTE_PGM_RSRC2:TGID_Y_EN: 0
; COMPUTE_PGM_RSRC2:TGID_Z_EN: 0
; COMPUTE_PGM_RSRC2:TIDIG_COMP_CNT: 1
; COMPUTE_PGM_RSRC3_GFX90A:ACCUM_OFFSET: 20
; COMPUTE_PGM_RSRC3_GFX90A:TG_SPLIT: 0
	.section	.text._ZN5aiter16wvSplitK_hf_big_I14__hip_bfloat16Li64ELi2ELi16ELi8ELi2ELi2EEEviiPKT_S4_PS2_ii,"axG",@progbits,_ZN5aiter16wvSplitK_hf_big_I14__hip_bfloat16Li64ELi2ELi16ELi8ELi2ELi2EEEviiPKT_S4_PS2_ii,comdat
	.protected	_ZN5aiter16wvSplitK_hf_big_I14__hip_bfloat16Li64ELi2ELi16ELi8ELi2ELi2EEEviiPKT_S4_PS2_ii ; -- Begin function _ZN5aiter16wvSplitK_hf_big_I14__hip_bfloat16Li64ELi2ELi16ELi8ELi2ELi2EEEviiPKT_S4_PS2_ii
	.globl	_ZN5aiter16wvSplitK_hf_big_I14__hip_bfloat16Li64ELi2ELi16ELi8ELi2ELi2EEEviiPKT_S4_PS2_ii
	.p2align	8
	.type	_ZN5aiter16wvSplitK_hf_big_I14__hip_bfloat16Li64ELi2ELi16ELi8ELi2ELi2EEEviiPKT_S4_PS2_ii,@function
_ZN5aiter16wvSplitK_hf_big_I14__hip_bfloat16Li64ELi2ELi16ELi8ELi2ELi2EEEviiPKT_S4_PS2_ii: ; @_ZN5aiter16wvSplitK_hf_big_I14__hip_bfloat16Li64ELi2ELi16ELi8ELi2ELi2EEEviiPKT_S4_PS2_ii
; %bb.0:
	s_load_dwordx2 s[4:5], s[0:1], 0x20
	v_bfe_u32 v1, v0, 10, 10
	s_waitcnt lgkmcnt(0)
	v_cmp_gt_u32_e32 vcc, s4, v1
	s_and_saveexec_b64 s[6:7], vcc
	s_cbranch_execz .LBB59_71
; %bb.1:
	s_load_dwordx2 s[10:11], s[0:1], 0x0
	s_mul_i32 s2, s2, s4
	v_add_lshl_u32 v34, s2, v1, 1
	s_mov_b32 s6, 1
	v_add_u32_e32 v2, 2, v34
	s_waitcnt lgkmcnt(0)
	v_cmp_gt_u32_e32 vcc, s11, v34
	v_cmp_le_u32_e64 s[2:3], s11, v2
	s_mov_b32 s7, s6
	s_and_b64 s[8:9], vcc, s[2:3]
	v_mov_b64_e32 v[32:33], s[6:7]
	s_and_saveexec_b64 s[2:3], s[8:9]
	s_cbranch_execz .LBB59_7
; %bb.2:
	s_add_i32 s16, s11, -2
	v_cmp_ne_u32_e32 vcc, s16, v34
	v_mov_b64_e32 v[32:33], s[6:7]
	s_and_saveexec_b64 s[6:7], vcc
	s_cbranch_execz .LBB59_6
; %bb.3:
	v_subrev_u32_e32 v2, s16, v34
	s_mov_b32 s8, 1
	v_cmp_lt_u32_e32 vcc, 1, v2
	s_mov_b64 s[12:13], 0
	s_mov_b64 s[14:15], 0
	v_cndmask_b32_e32 v2, 1, v2, vcc
	s_mov_b32 s9, s8
.LBB59_4:                               ; =>This Inner Loop Header: Depth=1
	s_cmp_lg_u32 s14, 1
	s_cselect_b32 s9, s9, 0
	s_cmp_lg_u32 s14, 0
	s_cselect_b32 s8, s8, 0
	s_add_u32 s14, s14, 1
	s_addc_u32 s15, s15, 0
	v_cmp_eq_u32_e32 vcc, s14, v2
	s_or_b64 s[12:13], vcc, s[12:13]
	v_mov_b64_e32 v[32:33], s[8:9]
	s_andn2_b64 exec, exec, s[12:13]
	s_cbranch_execnz .LBB59_4
; %bb.5:
	s_or_b64 exec, exec, s[12:13]
	v_mov_b32_e32 v34, s16
.LBB59_6:
	s_or_b64 exec, exec, s[6:7]
.LBB59_7:
	s_or_b64 exec, exec, s[2:3]
	s_lshl_b32 s2, s4, 1
	s_abs_i32 s3, s2
	v_cvt_f32_u32_e32 v2, s3
	s_sub_i32 s8, 0, s3
	s_abs_i32 s7, s11
	s_ashr_i32 s6, s11, 31
	v_rcp_iflag_f32_e32 v2, v2
	s_nop 0
	v_mul_f32_e32 v2, 0x4f7ffffe, v2
	v_cvt_u32_f32_e32 v2, v2
	s_nop 0
	v_readfirstlane_b32 s9, v2
	s_mul_i32 s8, s8, s9
	s_mul_hi_u32 s8, s9, s8
	s_add_i32 s9, s9, s8
	s_mul_hi_u32 s8, s7, s9
	s_mul_i32 s8, s8, s3
	s_sub_i32 s7, s7, s8
	s_sub_i32 s8, s7, s3
	s_cmp_ge_u32 s7, s3
	s_cselect_b32 s7, s8, s7
	s_sub_i32 s8, s7, s3
	s_cmp_ge_u32 s7, s3
	s_cselect_b32 s3, s8, s7
	s_xor_b32 s3, s3, s6
	s_sub_i32 s3, s3, s6
	s_add_i32 s2, s2, s11
	s_sub_i32 s2, s2, s3
	s_cmp_eq_u32 s3, 0
	s_cselect_b32 s33, s11, s2
	v_cmp_gt_u32_e32 vcc, s33, v34
	s_and_b64 exec, exec, vcc
	s_cbranch_execz .LBB59_71
; %bb.8:
	s_mov_b32 s2, 0
	s_load_dwordx4 s[12:15], s[0:1], 0x8
	s_load_dwordx2 s[16:17], s[0:1], 0x18
	v_cvt_f64_i32_e32 v[2:3], s10
	s_mov_b32 s3, 0x40d00000
	v_min_f64 v[2:3], v[2:3], s[2:3]
	s_cmp_lg_u32 s10, 0
	v_and_b32_e32 v0, 0x3ff, v0
	s_mul_i32 s0, s5, s4
	v_cvt_u32_f64_e32 v2, v[2:3]
	v_lshlrev_b32_e32 v42, 3, v0
	s_cselect_b64 s[2:3], -1, 0
	s_lshl_b32 s36, s0, 1
	v_cmp_eq_u32_e64 s[0:1], 63, v0
	v_lshlrev_b32_e32 v0, 4, v0
	s_lshl_b32 s35, s4, 9
	s_ashr_i32 s19, s10, 31
	s_add_i32 s37, s11, -2
	v_lshl_add_u32 v44, v1, 10, v0
	v_cndmask_b32_e64 v0, 0, 1, s[2:3]
	v_cmp_ne_u32_e32 vcc, 0, v2
	s_waitcnt lgkmcnt(0)
	s_add_u32 s20, s16, 2
	v_lshl_add_u32 v45, v1, 9, v42
	v_cmp_ne_u32_e64 s[2:3], 1, v0
	v_cndmask_b32_e64 v0, 0, 1, vcc
	v_readfirstlane_b32 s34, v2
	s_mov_b32 s18, s10
	s_addc_u32 s21, s17, 0
	v_lshlrev_b32_e32 v43, 1, v2
	s_lshl_b32 s38, s4, 10
	v_add_u32_e32 v46, s10, v45
	s_mov_b64 s[22:23], 0
	v_mov_b32_e32 v37, 0
	s_mov_b32 s39, 0x7f800000
	s_movk_i32 s40, 0x7fff
	v_cmp_ne_u32_e64 s[4:5], 1, v0
                                        ; implicit-def: $vgpr50
                                        ; implicit-def: $vgpr7
                                        ; implicit-def: $vgpr49
                                        ; implicit-def: $vgpr48
                                        ; implicit-def: $vgpr47
                                        ; implicit-def: $vgpr55
                                        ; implicit-def: $vgpr3
                                        ; implicit-def: $vgpr56
                                        ; implicit-def: $vgpr57
                                        ; implicit-def: $vgpr58
                                        ; implicit-def: $vgpr51
                                        ; implicit-def: $vgpr11
                                        ; implicit-def: $vgpr52
                                        ; implicit-def: $vgpr53
                                        ; implicit-def: $vgpr54
                                        ; implicit-def: $vgpr59
                                        ; implicit-def: $vgpr15
                                        ; implicit-def: $vgpr60
                                        ; implicit-def: $vgpr61
                                        ; implicit-def: $vgpr62
                                        ; implicit-def: $vgpr16_vgpr17_vgpr18_vgpr19
                                        ; implicit-def: $vgpr24_vgpr25_vgpr26_vgpr27
                                        ; implicit-def: $vgpr20_vgpr21_vgpr22_vgpr23
                                        ; implicit-def: $vgpr28_vgpr29_vgpr30_vgpr31
	s_branch .LBB59_12
.LBB59_9:                               ;   in Loop: Header=BB59_12 Depth=1
	s_or_b64 exec, exec, s[26:27]
	v_mov_b32_e32 v34, s37
.LBB59_10:                              ;   in Loop: Header=BB59_12 Depth=1
	s_or_b64 exec, exec, s[8:9]
.LBB59_11:                              ;   in Loop: Header=BB59_12 Depth=1
	s_or_b64 exec, exec, s[24:25]
	v_cmp_le_u32_e32 vcc, s33, v34
	s_or_b64 s[22:23], vcc, s[22:23]
	s_andn2_b64 exec, exec, s[22:23]
	s_cbranch_execz .LBB59_71
.LBB59_12:                              ; =>This Loop Header: Depth=1
                                        ;     Child Loop BB59_17 Depth 2
                                        ;       Child Loop BB59_21 Depth 3
                                        ;     Child Loop BB59_69 Depth 2
	s_and_b64 vcc, exec, s[2:3]
	s_mov_b32 s24, 0
	s_cbranch_vccnz .LBB59_37
; %bb.13:                               ;   in Loop: Header=BB59_12 Depth=1
	s_mov_b32 s25, s24
	v_mov_b32_e32 v38, 0
	v_cmp_gt_u32_e64 s[6:7], s11, v34
	v_mul_lo_u32 v35, v34, s10
	v_mov_b64_e32 v[40:41], s[24:25]
	s_mov_b32 s25, 0
	v_mov_b32_e32 v39, v38
	s_branch .LBB59_17
.LBB59_14:                              ;   in Loop: Header=BB59_17 Depth=2
	s_or_b64 exec, exec, s[28:29]
.LBB59_15:                              ;   in Loop: Header=BB59_17 Depth=2
	s_or_b64 exec, exec, s[8:9]
.LBB59_16:                              ;   in Loop: Header=BB59_17 Depth=2
	s_or_b64 exec, exec, s[26:27]
	s_addk_i32 s25, 0x400
	s_cmp_ge_u32 s25, s10
	s_cbranch_scc1 .LBB59_38
.LBB59_17:                              ;   Parent Loop BB59_12 Depth=1
                                        ; =>  This Loop Header: Depth=2
                                        ;       Child Loop BB59_21 Depth 3
	s_cmp_eq_u32 s25, 0
	s_cselect_b64 s[8:9], -1, 0
	s_add_i32 s26, s24, s34
	s_cmp_eq_u32 s25, s26
	s_cselect_b64 s[28:29], -1, 0
	s_or_b64 s[28:29], s[8:9], s[28:29]
	s_andn2_b64 vcc, exec, s[28:29]
	s_cbranch_vccnz .LBB59_25
; %bb.18:                               ;   in Loop: Header=BB59_17 Depth=2
	s_and_b64 s[8:9], s[8:9], exec
	s_cselect_b32 s24, s24, s26
	s_and_b64 vcc, exec, s[4:5]
	s_barrier
	s_cbranch_vccnz .LBB59_24
; %bb.19:                               ;   in Loop: Header=BB59_17 Depth=2
	v_add_u32_e32 v63, s24, v46
	v_add_u32_e32 v64, s24, v45
	s_mov_b32 s30, 0
	s_mov_b64 s[26:27], 0
	v_mov_b32_e32 v65, v44
                                        ; implicit-def: $sgpr28_sgpr29
	s_branch .LBB59_21
.LBB59_20:                              ;   in Loop: Header=BB59_21 Depth=3
	s_or_b64 exec, exec, s[8:9]
	s_and_b64 s[8:9], exec, s[28:29]
	s_or_b64 s[26:27], s[8:9], s[26:27]
	s_andn2_b64 exec, exec, s[26:27]
	s_cbranch_execz .LBB59_23
.LBB59_21:                              ;   Parent Loop BB59_12 Depth=1
                                        ;     Parent Loop BB59_17 Depth=2
                                        ; =>    This Inner Loop Header: Depth=3
	v_add_u32_e32 v66, s30, v45
	v_add_u32_e32 v36, s30, v64
	v_cmp_gt_u32_e32 vcc, s10, v36
	v_cmp_gt_u32_e64 s[8:9], s34, v66
	s_and_b64 s[42:43], vcc, s[8:9]
	s_or_b64 s[28:29], s[28:29], exec
	s_and_saveexec_b64 s[8:9], s[42:43]
	s_cbranch_execz .LBB59_20
; %bb.22:                               ;   in Loop: Header=BB59_21 Depth=3
	v_lshl_add_u64 v[66:67], v[36:37], 1, s[14:15]
	v_add_u32_e32 v36, s30, v63
	global_load_dwordx4 v[66:69], v[66:67], off
	v_lshl_add_u64 v[70:71], v[36:37], 1, s[14:15]
	global_load_dwordx4 v[70:73], v[70:71], off
	s_add_i32 s30, s30, s35
	s_cmp_ge_u32 s30, s34
	s_cselect_b64 s[42:43], -1, 0
	s_andn2_b64 s[28:29], s[28:29], exec
	s_and_b64 s[42:43], s[42:43], exec
	v_add_u32_e32 v36, v65, v43
	s_or_b64 s[28:29], s[28:29], s[42:43]
	s_waitcnt vmcnt(1)
	ds_write_b128 v65, v[66:69]
	v_add_u32_e32 v65, s38, v65
	s_waitcnt vmcnt(0)
	ds_write2_b64 v36, v[70:71], v[72:73] offset1:1
	s_branch .LBB59_20
.LBB59_23:                              ;   in Loop: Header=BB59_17 Depth=2
	s_or_b64 exec, exec, s[26:27]
.LBB59_24:                              ;   in Loop: Header=BB59_17 Depth=2
	s_waitcnt lgkmcnt(0)
	s_barrier
.LBB59_25:                              ;   in Loop: Header=BB59_17 Depth=2
	s_and_saveexec_b64 s[26:27], s[6:7]
	s_cbranch_execz .LBB59_16
; %bb.26:                               ;   in Loop: Header=BB59_17 Depth=2
	v_add_u32_e32 v63, s25, v42
	v_cmp_gt_u32_e32 vcc, s10, v63
	s_and_saveexec_b64 s[28:29], vcc
	s_cbranch_execnz .LBB59_29
; %bb.27:                               ;   in Loop: Header=BB59_17 Depth=2
	s_or_b64 exec, exec, s[28:29]
	s_and_saveexec_b64 s[28:29], vcc
	s_cbranch_execnz .LBB59_32
.LBB59_28:                              ;   in Loop: Header=BB59_17 Depth=2
	s_or_b64 exec, exec, s[28:29]
	s_and_saveexec_b64 s[8:9], vcc
	s_cbranch_execz .LBB59_15
	s_branch .LBB59_35
.LBB59_29:                              ;   in Loop: Header=BB59_17 Depth=2
	v_add_u32_e32 v36, v63, v35
	s_waitcnt vmcnt(0)
	v_lshl_add_u64 v[24:25], v[36:37], 1, s[12:13]
	v_lshl_add_u64 v[26:27], s[18:19], 1, v[24:25]
	global_load_dwordx4 v[28:31], v[24:25], off nt
	s_nop 0
	global_load_dwordx4 v[24:27], v[26:27], off nt
	v_add_u32_e32 v36, 0x200, v63
	v_cmp_gt_u32_e64 s[8:9], s10, v36
	s_and_saveexec_b64 s[30:31], s[8:9]
	s_cbranch_execz .LBB59_31
; %bb.30:                               ;   in Loop: Header=BB59_17 Depth=2
	v_add_u32_e32 v36, v36, v35
	v_lshl_add_u64 v[16:17], v[36:37], 1, s[12:13]
	v_lshl_add_u64 v[18:19], s[18:19], 1, v[16:17]
	global_load_dwordx4 v[20:23], v[16:17], off nt
	s_nop 0
	global_load_dwordx4 v[16:19], v[18:19], off nt
.LBB59_31:                              ;   in Loop: Header=BB59_17 Depth=2
	s_or_b64 exec, exec, s[30:31]
	s_or_b64 exec, exec, s[28:29]
	s_and_saveexec_b64 s[28:29], vcc
	s_cbranch_execz .LBB59_28
.LBB59_32:                              ;   in Loop: Header=BB59_17 Depth=2
	v_subrev_u32_e32 v0, s24, v63
	v_lshlrev_b32_e32 v55, 1, v0
	v_lshl_add_u32 v36, s34, 1, v55
	ds_read_b128 v[12:15], v55
	ds_read_b128 v[0:3], v36
	v_add_u32_e32 v56, 0x200, v63
	v_cmp_gt_u32_e64 s[8:9], s10, v56
	s_and_saveexec_b64 s[30:31], s[8:9]
	s_cbranch_execz .LBB59_34
; %bb.33:                               ;   in Loop: Header=BB59_17 Depth=2
	ds_read_b128 v[8:11], v55 offset:1024
	ds_read_b128 v[4:7], v36 offset:1024
	s_waitcnt lgkmcnt(1)
	v_lshrrev_b32_e32 v54, 16, v8
	v_lshrrev_b32_e32 v53, 16, v9
	v_lshrrev_b32_e32 v52, 16, v10
	v_lshrrev_b32_e32 v51, 16, v11
	s_waitcnt lgkmcnt(0)
	v_lshrrev_b32_e32 v47, 16, v4
	v_lshrrev_b32_e32 v48, 16, v5
	;; [unrolled: 1-line block ×4, first 2 shown]
.LBB59_34:                              ;   in Loop: Header=BB59_17 Depth=2
	s_or_b64 exec, exec, s[30:31]
	s_waitcnt lgkmcnt(1)
	v_lshrrev_b32_e32 v62, 16, v12
	v_lshrrev_b32_e32 v61, 16, v13
	;; [unrolled: 1-line block ×4, first 2 shown]
	s_waitcnt lgkmcnt(0)
	v_lshrrev_b32_e32 v58, 16, v0
	v_lshrrev_b32_e32 v57, 16, v1
	;; [unrolled: 1-line block ×4, first 2 shown]
	s_or_b64 exec, exec, s[28:29]
	s_and_saveexec_b64 s[8:9], vcc
	s_cbranch_execz .LBB59_15
.LBB59_35:                              ;   in Loop: Header=BB59_17 Depth=2
	v_lshlrev_b32_e32 v66, 16, v62
	s_waitcnt vmcnt(1)
	v_and_b32_e32 v69, 0xffff0000, v28
	s_waitcnt vmcnt(0)
	v_and_b32_e32 v68, 0xffff0000, v24
	v_lshlrev_b32_e32 v36, 16, v12
	v_lshlrev_b32_e32 v65, 16, v28
	v_lshlrev_b32_e32 v64, 16, v24
	v_pk_mul_f32 v[66:67], v[66:67], v[68:69] op_sel_hi:[0,1]
	v_lshlrev_b32_e32 v74, 16, v61
	v_and_b32_e32 v77, 0xffff0000, v29
	v_and_b32_e32 v76, 0xffff0000, v25
	v_pk_fma_f32 v[66:67], v[36:37], v[64:65], v[66:67] op_sel_hi:[0,1,1]
	v_lshlrev_b32_e32 v70, 16, v13
	v_lshlrev_b32_e32 v73, 16, v29
	v_lshlrev_b32_e32 v72, 16, v25
	v_pk_add_f32 v[40:41], v[40:41], v[66:67]
	v_pk_mul_f32 v[66:67], v[74:75], v[76:77] op_sel_hi:[0,1]
	v_lshlrev_b32_e32 v80, 16, v60
	v_and_b32_e32 v105, 0xffff0000, v30
	v_and_b32_e32 v104, 0xffff0000, v26
	v_pk_fma_f32 v[66:67], v[70:71], v[72:73], v[66:67] op_sel_hi:[0,1,1]
	v_lshlrev_b32_e32 v78, 16, v14
	v_lshlrev_b32_e32 v103, 16, v30
	v_lshlrev_b32_e32 v102, 16, v26
	v_pk_add_f32 v[40:41], v[40:41], v[66:67]
	;; [unrolled: 9-line block ×3, first 2 shown]
	v_pk_mul_f32 v[66:67], v[84:85], v[108:109] op_sel_hi:[0,1]
	v_lshlrev_b32_e32 v88, 16, v58
	v_pk_fma_f32 v[66:67], v[82:83], v[106:107], v[66:67] op_sel_hi:[0,1,1]
	v_lshlrev_b32_e32 v86, 16, v0
	v_pk_add_f32 v[40:41], v[40:41], v[66:67]
	v_pk_mul_f32 v[66:67], v[88:89], v[68:69] op_sel_hi:[0,1]
	v_lshlrev_b32_e32 v92, 16, v57
	v_pk_fma_f32 v[64:65], v[86:87], v[64:65], v[66:67] op_sel_hi:[0,1,1]
	v_lshlrev_b32_e32 v90, 16, v1
	v_pk_add_f32 v[38:39], v[38:39], v[64:65]
	;; [unrolled: 5-line block ×4, first 2 shown]
	v_pk_mul_f32 v[64:65], v[100:101], v[108:109] op_sel_hi:[0,1]
	v_pk_fma_f32 v[64:65], v[98:99], v[106:107], v[64:65] op_sel_hi:[0,1,1]
	v_add_u32_e32 v36, 0x200, v63
	v_pk_add_f32 v[38:39], v[38:39], v[64:65]
	v_cmp_gt_u32_e32 vcc, s10, v36
	s_and_saveexec_b64 s[28:29], vcc
	s_cbranch_execz .LBB59_14
; %bb.36:                               ;   in Loop: Header=BB59_17 Depth=2
	v_lshlrev_b32_e32 v64, 16, v54
	v_and_b32_e32 v97, 0xffff0000, v20
	v_and_b32_e32 v96, 0xffff0000, v16
	v_lshlrev_b32_e32 v36, 16, v8
	v_lshlrev_b32_e32 v95, 16, v20
	;; [unrolled: 1-line block ×3, first 2 shown]
	v_pk_mul_f32 v[64:65], v[64:65], v[96:97] op_sel_hi:[0,1]
	v_lshlrev_b32_e32 v68, 16, v53
	v_and_b32_e32 v101, 0xffff0000, v21
	v_and_b32_e32 v100, 0xffff0000, v17
	v_pk_fma_f32 v[64:65], v[36:37], v[94:95], v[64:65] op_sel_hi:[0,1,1]
	v_lshlrev_b32_e32 v66, 16, v9
	v_lshlrev_b32_e32 v99, 16, v21
	v_lshlrev_b32_e32 v98, 16, v17
	v_pk_add_f32 v[40:41], v[40:41], v[64:65]
	v_pk_mul_f32 v[64:65], v[68:69], v[100:101] op_sel_hi:[0,1]
	v_lshlrev_b32_e32 v72, 16, v52
	v_and_b32_e32 v105, 0xffff0000, v22
	v_and_b32_e32 v104, 0xffff0000, v18
	v_pk_fma_f32 v[64:65], v[66:67], v[98:99], v[64:65] op_sel_hi:[0,1,1]
	v_lshlrev_b32_e32 v70, 16, v10
	v_lshlrev_b32_e32 v103, 16, v22
	v_lshlrev_b32_e32 v102, 16, v18
	v_pk_add_f32 v[40:41], v[40:41], v[64:65]
	;; [unrolled: 9-line block ×3, first 2 shown]
	v_pk_mul_f32 v[64:65], v[76:77], v[108:109] op_sel_hi:[0,1]
	v_lshlrev_b32_e32 v80, 16, v47
	v_pk_fma_f32 v[64:65], v[74:75], v[106:107], v[64:65] op_sel_hi:[0,1,1]
	v_lshlrev_b32_e32 v78, 16, v4
	v_pk_add_f32 v[40:41], v[40:41], v[64:65]
	v_pk_mul_f32 v[64:65], v[80:81], v[96:97] op_sel_hi:[0,1]
	v_lshlrev_b32_e32 v84, 16, v48
	v_pk_fma_f32 v[64:65], v[78:79], v[94:95], v[64:65] op_sel_hi:[0,1,1]
	v_lshlrev_b32_e32 v82, 16, v5
	v_pk_add_f32 v[38:39], v[38:39], v[64:65]
	;; [unrolled: 5-line block ×4, first 2 shown]
	v_pk_mul_f32 v[64:65], v[92:93], v[108:109] op_sel_hi:[0,1]
	v_pk_fma_f32 v[64:65], v[90:91], v[106:107], v[64:65] op_sel_hi:[0,1,1]
	v_pk_add_f32 v[38:39], v[38:39], v[64:65]
	s_branch .LBB59_14
.LBB59_37:                              ;   in Loop: Header=BB59_12 Depth=1
	v_mov_b32_e32 v39, v37
	v_mov_b32_e32 v38, v37
	v_mov_b32_e32 v41, v37
	v_mov_b32_e32 v40, v37
.LBB59_38:                              ;   in Loop: Header=BB59_12 Depth=1
	v_cmp_le_u32_e32 vcc, s11, v34
	s_and_saveexec_b64 s[6:7], vcc
	s_xor_b64 s[6:7], exec, s[6:7]
; %bb.39:                               ;   in Loop: Header=BB59_12 Depth=1
	v_add_u32_e32 v34, s36, v34
                                        ; implicit-def: $vgpr41
                                        ; implicit-def: $vgpr39
; %bb.40:                               ;   in Loop: Header=BB59_12 Depth=1
	s_andn2_saveexec_b64 s[24:25], s[6:7]
	s_cbranch_execz .LBB59_11
; %bb.41:                               ;   in Loop: Header=BB59_12 Depth=1
	;;#ASMSTART
	s_nop 0
	v_add_f32 v41, v41, v41 row_shr:8 bound_ctrl:0 
	;;#ASMEND
	;;#ASMSTART
	s_nop 0
	v_add_f32 v40, v40, v40 row_shr:8 bound_ctrl:0 
	;;#ASMEND
	;;#ASMSTART
	s_nop 0
	v_add_f32 v39, v39, v39 row_shr:8 bound_ctrl:0 
	;;#ASMEND
	;;#ASMSTART
	s_nop 0
	v_add_f32 v38, v38, v38 row_shr:8 bound_ctrl:0 
	;;#ASMEND
	s_nop 0
	;;#ASMSTART
	s_nop 0
	v_add_f32 v41, v41, v41 row_shr:4 bound_ctrl:0 
	;;#ASMEND
	;;#ASMSTART
	s_nop 0
	v_add_f32 v40, v40, v40 row_shr:4 bound_ctrl:0 
	;;#ASMEND
	;;#ASMSTART
	s_nop 0
	v_add_f32 v39, v39, v39 row_shr:4 bound_ctrl:0 
	;;#ASMEND
	;;#ASMSTART
	s_nop 0
	v_add_f32 v38, v38, v38 row_shr:4 bound_ctrl:0 
	;;#ASMEND
	s_nop 0
	;; [unrolled: 17-line block ×3, first 2 shown]
	;;#ASMSTART
	s_nop 0
	v_add_f32 v41, v41, v41 wave_shr:1 bound_ctrl:0
	;;#ASMEND
	;;#ASMSTART
	s_nop 0
	v_add_f32 v40, v40, v40 wave_shr:1 bound_ctrl:0
	;;#ASMEND
	;; [unrolled: 4-line block ×4, first 2 shown]
	s_nop 0
	;;#ASMSTART
	s_nop 0
	v_add_f32 v41, v41, v41 row_bcast:15 bound_ctrl:0
	;;#ASMEND
	;;#ASMSTART
	s_nop 0
	v_add_f32 v40, v40, v40 row_bcast:15 bound_ctrl:0
	;;#ASMEND
	;; [unrolled: 4-line block ×4, first 2 shown]
	s_nop 0
	;;#ASMSTART
	s_nop 0
	v_add_f32 v41, v41, v41 row_bcast:31 bound_ctrl:0
	;;#ASMEND
	;;#ASMSTART
	s_nop 0
	v_add_f32 v40, v40, v40 row_bcast:31 bound_ctrl:0
	;;#ASMEND
	;; [unrolled: 4-line block ×4, first 2 shown]
	s_and_saveexec_b64 s[26:27], s[0:1]
	s_cbranch_execz .LBB59_66
; %bb.42:                               ;   in Loop: Header=BB59_12 Depth=1
	v_cmp_ne_u32_e32 vcc, 0, v32
	s_and_saveexec_b64 s[8:9], vcc
	s_cbranch_execnz .LBB59_46
; %bb.43:                               ;   in Loop: Header=BB59_12 Depth=1
	s_or_b64 exec, exec, s[8:9]
	v_cmp_ne_u32_e64 s[6:7], 0, v33
	s_and_saveexec_b64 s[28:29], s[6:7]
	s_cbranch_execnz .LBB59_51
.LBB59_44:                              ;   in Loop: Header=BB59_12 Depth=1
	s_or_b64 exec, exec, s[28:29]
	v_add_u32_e32 v36, s11, v34
	s_and_saveexec_b64 s[8:9], vcc
	s_cbranch_execnz .LBB59_56
.LBB59_45:                              ;   in Loop: Header=BB59_12 Depth=1
	s_or_b64 exec, exec, s[8:9]
	s_and_b64 exec, exec, s[6:7]
	s_cbranch_execnz .LBB59_61
	s_branch .LBB59_66
.LBB59_46:                              ;   in Loop: Header=BB59_12 Depth=1
	v_and_b32_e32 v35, 0x7f800000, v41
	v_cmp_ne_u32_e64 s[6:7], s39, v35
                                        ; implicit-def: $vgpr36
	s_and_saveexec_b64 s[28:29], s[6:7]
	s_xor_b64 s[6:7], exec, s[28:29]
; %bb.47:                               ;   in Loop: Header=BB59_12 Depth=1
	v_bfe_u32 v35, v41, 16, 1
	v_add3_u32 v36, v41, v35, s40
; %bb.48:                               ;   in Loop: Header=BB59_12 Depth=1
	s_andn2_saveexec_b64 s[28:29], s[6:7]
; %bb.49:                               ;   in Loop: Header=BB59_12 Depth=1
	v_or_b32_e32 v35, 0x10000, v41
	v_cmp_eq_u32_sdwa s[6:7], v41, v37 src0_sel:WORD_0 src1_sel:DWORD
	s_nop 1
	v_cndmask_b32_e64 v36, v35, v41, s[6:7]
; %bb.50:                               ;   in Loop: Header=BB59_12 Depth=1
	s_or_b64 exec, exec, s[28:29]
	v_mov_b32_e32 v35, v37
	v_lshl_add_u64 v[64:65], v[34:35], 1, s[16:17]
	global_store_short_d16_hi v[64:65], v36, off
	s_or_b64 exec, exec, s[8:9]
	v_cmp_ne_u32_e64 s[6:7], 0, v33
	s_and_saveexec_b64 s[28:29], s[6:7]
	s_cbranch_execz .LBB59_44
.LBB59_51:                              ;   in Loop: Header=BB59_12 Depth=1
	v_and_b32_e32 v35, 0x7f800000, v40
	v_cmp_ne_u32_e64 s[8:9], s39, v35
                                        ; implicit-def: $vgpr36
	s_and_saveexec_b64 s[30:31], s[8:9]
	s_xor_b64 s[8:9], exec, s[30:31]
; %bb.52:                               ;   in Loop: Header=BB59_12 Depth=1
	v_bfe_u32 v35, v40, 16, 1
	v_add3_u32 v36, v40, v35, s40
                                        ; implicit-def: $vgpr40
; %bb.53:                               ;   in Loop: Header=BB59_12 Depth=1
	s_andn2_saveexec_b64 s[30:31], s[8:9]
; %bb.54:                               ;   in Loop: Header=BB59_12 Depth=1
	v_or_b32_e32 v35, 0x10000, v40
	v_cmp_eq_u32_sdwa s[8:9], v40, v37 src0_sel:WORD_0 src1_sel:DWORD
	s_nop 1
	v_cndmask_b32_e64 v36, v35, v40, s[8:9]
; %bb.55:                               ;   in Loop: Header=BB59_12 Depth=1
	s_or_b64 exec, exec, s[30:31]
	v_mov_b32_e32 v35, v37
	v_lshl_add_u64 v[40:41], v[34:35], 1, s[20:21]
	global_store_short_d16_hi v[40:41], v36, off
	s_or_b64 exec, exec, s[28:29]
	v_add_u32_e32 v36, s11, v34
	s_and_saveexec_b64 s[8:9], vcc
	s_cbranch_execz .LBB59_45
.LBB59_56:                              ;   in Loop: Header=BB59_12 Depth=1
	v_and_b32_e32 v35, 0x7f800000, v39
	v_cmp_ne_u32_e32 vcc, s39, v35
                                        ; implicit-def: $vgpr35
	s_and_saveexec_b64 s[28:29], vcc
	s_xor_b64 s[28:29], exec, s[28:29]
; %bb.57:                               ;   in Loop: Header=BB59_12 Depth=1
	v_bfe_u32 v35, v39, 16, 1
	v_add3_u32 v35, v39, v35, s40
; %bb.58:                               ;   in Loop: Header=BB59_12 Depth=1
	s_andn2_saveexec_b64 s[28:29], s[28:29]
; %bb.59:                               ;   in Loop: Header=BB59_12 Depth=1
	v_or_b32_e32 v35, 0x10000, v39
	v_cmp_eq_u32_sdwa vcc, v39, v37 src0_sel:WORD_0 src1_sel:DWORD
	s_nop 1
	v_cndmask_b32_e32 v35, v35, v39, vcc
; %bb.60:                               ;   in Loop: Header=BB59_12 Depth=1
	s_or_b64 exec, exec, s[28:29]
	v_lshl_add_u64 v[40:41], v[36:37], 1, s[16:17]
	global_store_short_d16_hi v[40:41], v35, off
	s_or_b64 exec, exec, s[8:9]
	s_and_b64 exec, exec, s[6:7]
	s_cbranch_execz .LBB59_66
.LBB59_61:                              ;   in Loop: Header=BB59_12 Depth=1
	v_and_b32_e32 v35, 0x7f800000, v38
	v_cmp_ne_u32_e32 vcc, s39, v35
                                        ; implicit-def: $vgpr35
	s_and_saveexec_b64 s[6:7], vcc
	s_xor_b64 s[6:7], exec, s[6:7]
; %bb.62:                               ;   in Loop: Header=BB59_12 Depth=1
	v_bfe_u32 v35, v38, 16, 1
	v_add3_u32 v35, v38, v35, s40
                                        ; implicit-def: $vgpr38
; %bb.63:                               ;   in Loop: Header=BB59_12 Depth=1
	s_andn2_saveexec_b64 s[6:7], s[6:7]
; %bb.64:                               ;   in Loop: Header=BB59_12 Depth=1
	v_or_b32_e32 v35, 0x10000, v38
	v_cmp_eq_u32_sdwa vcc, v38, v37 src0_sel:WORD_0 src1_sel:DWORD
	s_nop 1
	v_cndmask_b32_e32 v35, v35, v38, vcc
; %bb.65:                               ;   in Loop: Header=BB59_12 Depth=1
	s_or_b64 exec, exec, s[6:7]
	v_add_u32_e32 v36, 1, v36
	v_lshl_add_u64 v[38:39], v[36:37], 1, s[16:17]
	global_store_short_d16_hi v[38:39], v35, off
.LBB59_66:                              ;   in Loop: Header=BB59_12 Depth=1
	s_or_b64 exec, exec, s[26:27]
	v_add_u32_e32 v34, s36, v34
	v_add_u32_e32 v35, 2, v34
	v_cmp_gt_u32_e32 vcc, s11, v34
	v_cmp_le_u32_e64 s[6:7], s11, v35
	s_and_b64 s[6:7], vcc, s[6:7]
	s_and_saveexec_b64 s[8:9], s[6:7]
	s_cbranch_execz .LBB59_10
; %bb.67:                               ;   in Loop: Header=BB59_12 Depth=1
	v_cmp_ne_u32_e32 vcc, s37, v34
	s_and_saveexec_b64 s[26:27], vcc
	s_cbranch_execz .LBB59_9
; %bb.68:                               ;   in Loop: Header=BB59_12 Depth=1
	v_subrev_u32_e32 v34, s37, v34
	v_cmp_lt_u32_e32 vcc, 1, v34
	s_mov_b64 s[28:29], 0
	s_mov_b64 s[30:31], 0
	v_cndmask_b32_e32 v34, 1, v34, vcc
.LBB59_69:                              ;   Parent Loop BB59_12 Depth=1
                                        ; =>  This Inner Loop Header: Depth=2
	s_cmp_lg_u32 s30, 1
	s_cselect_b64 vcc, -1, 0
	s_cmp_lg_u32 s30, 0
	v_cndmask_b32_e32 v33, 0, v33, vcc
	s_cselect_b64 vcc, -1, 0
	s_add_u32 s30, s30, 1
	s_addc_u32 s31, s31, 0
	v_cmp_eq_u32_e64 s[6:7], s30, v34
	s_or_b64 s[28:29], s[6:7], s[28:29]
	v_cndmask_b32_e32 v32, 0, v32, vcc
	s_andn2_b64 exec, exec, s[28:29]
	s_cbranch_execnz .LBB59_69
; %bb.70:                               ;   in Loop: Header=BB59_12 Depth=1
	s_or_b64 exec, exec, s[28:29]
	s_branch .LBB59_9
.LBB59_71:
	s_endpgm
	.section	.rodata,"a",@progbits
	.p2align	6, 0x0
	.amdhsa_kernel _ZN5aiter16wvSplitK_hf_big_I14__hip_bfloat16Li64ELi2ELi16ELi8ELi2ELi2EEEviiPKT_S4_PS2_ii
		.amdhsa_group_segment_fixed_size 65536
		.amdhsa_private_segment_fixed_size 0
		.amdhsa_kernarg_size 40
		.amdhsa_user_sgpr_count 2
		.amdhsa_user_sgpr_dispatch_ptr 0
		.amdhsa_user_sgpr_queue_ptr 0
		.amdhsa_user_sgpr_kernarg_segment_ptr 1
		.amdhsa_user_sgpr_dispatch_id 0
		.amdhsa_user_sgpr_kernarg_preload_length 0
		.amdhsa_user_sgpr_kernarg_preload_offset 0
		.amdhsa_user_sgpr_private_segment_size 0
		.amdhsa_uses_dynamic_stack 0
		.amdhsa_enable_private_segment 0
		.amdhsa_system_sgpr_workgroup_id_x 1
		.amdhsa_system_sgpr_workgroup_id_y 0
		.amdhsa_system_sgpr_workgroup_id_z 0
		.amdhsa_system_sgpr_workgroup_info 0
		.amdhsa_system_vgpr_workitem_id 1
		.amdhsa_next_free_vgpr 110
		.amdhsa_next_free_sgpr 44
		.amdhsa_accum_offset 112
		.amdhsa_reserve_vcc 1
		.amdhsa_float_round_mode_32 0
		.amdhsa_float_round_mode_16_64 0
		.amdhsa_float_denorm_mode_32 3
		.amdhsa_float_denorm_mode_16_64 3
		.amdhsa_dx10_clamp 1
		.amdhsa_ieee_mode 1
		.amdhsa_fp16_overflow 0
		.amdhsa_tg_split 0
		.amdhsa_exception_fp_ieee_invalid_op 0
		.amdhsa_exception_fp_denorm_src 0
		.amdhsa_exception_fp_ieee_div_zero 0
		.amdhsa_exception_fp_ieee_overflow 0
		.amdhsa_exception_fp_ieee_underflow 0
		.amdhsa_exception_fp_ieee_inexact 0
		.amdhsa_exception_int_div_zero 0
	.end_amdhsa_kernel
	.section	.text._ZN5aiter16wvSplitK_hf_big_I14__hip_bfloat16Li64ELi2ELi16ELi8ELi2ELi2EEEviiPKT_S4_PS2_ii,"axG",@progbits,_ZN5aiter16wvSplitK_hf_big_I14__hip_bfloat16Li64ELi2ELi16ELi8ELi2ELi2EEEviiPKT_S4_PS2_ii,comdat
.Lfunc_end59:
	.size	_ZN5aiter16wvSplitK_hf_big_I14__hip_bfloat16Li64ELi2ELi16ELi8ELi2ELi2EEEviiPKT_S4_PS2_ii, .Lfunc_end59-_ZN5aiter16wvSplitK_hf_big_I14__hip_bfloat16Li64ELi2ELi16ELi8ELi2ELi2EEEviiPKT_S4_PS2_ii
                                        ; -- End function
	.section	.AMDGPU.csdata,"",@progbits
; Kernel info:
; codeLenInByte = 3032
; NumSgprs: 50
; NumVgprs: 110
; NumAgprs: 0
; TotalNumVgprs: 110
; ScratchSize: 0
; MemoryBound: 0
; FloatMode: 240
; IeeeMode: 1
; LDSByteSize: 65536 bytes/workgroup (compile time only)
; SGPRBlocks: 6
; VGPRBlocks: 13
; NumSGPRsForWavesPerEU: 50
; NumVGPRsForWavesPerEU: 110
; AccumOffset: 112
; Occupancy: 4
; WaveLimiterHint : 0
; COMPUTE_PGM_RSRC2:SCRATCH_EN: 0
; COMPUTE_PGM_RSRC2:USER_SGPR: 2
; COMPUTE_PGM_RSRC2:TRAP_HANDLER: 0
; COMPUTE_PGM_RSRC2:TGID_X_EN: 1
; COMPUTE_PGM_RSRC2:TGID_Y_EN: 0
; COMPUTE_PGM_RSRC2:TGID_Z_EN: 0
; COMPUTE_PGM_RSRC2:TIDIG_COMP_CNT: 1
; COMPUTE_PGM_RSRC3_GFX90A:ACCUM_OFFSET: 27
; COMPUTE_PGM_RSRC3_GFX90A:TG_SPLIT: 0
	.section	.text._ZN5aiter16wvSplitK_hf_sml_I14__hip_bfloat16Li64ELi4ELi16ELi8ELi1ELi3EEEviiPKT_S4_PS2_ii,"axG",@progbits,_ZN5aiter16wvSplitK_hf_sml_I14__hip_bfloat16Li64ELi4ELi16ELi8ELi1ELi3EEEviiPKT_S4_PS2_ii,comdat
	.protected	_ZN5aiter16wvSplitK_hf_sml_I14__hip_bfloat16Li64ELi4ELi16ELi8ELi1ELi3EEEviiPKT_S4_PS2_ii ; -- Begin function _ZN5aiter16wvSplitK_hf_sml_I14__hip_bfloat16Li64ELi4ELi16ELi8ELi1ELi3EEEviiPKT_S4_PS2_ii
	.globl	_ZN5aiter16wvSplitK_hf_sml_I14__hip_bfloat16Li64ELi4ELi16ELi8ELi1ELi3EEEviiPKT_S4_PS2_ii
	.p2align	8
	.type	_ZN5aiter16wvSplitK_hf_sml_I14__hip_bfloat16Li64ELi4ELi16ELi8ELi1ELi3EEEviiPKT_S4_PS2_ii,@function
_ZN5aiter16wvSplitK_hf_sml_I14__hip_bfloat16Li64ELi4ELi16ELi8ELi1ELi3EEEviiPKT_S4_PS2_ii: ; @_ZN5aiter16wvSplitK_hf_sml_I14__hip_bfloat16Li64ELi4ELi16ELi8ELi1ELi3EEEviiPKT_S4_PS2_ii
; %bb.0:
	s_load_dwordx2 s[4:5], s[0:1], 0x0
	v_and_b32_e32 v2, 0x3ff, v0
	v_bfe_u32 v3, v0, 10, 10
	v_lshlrev_b32_e32 v44, 3, v2
	s_mov_b32 s3, 0
	s_waitcnt lgkmcnt(0)
	s_cmp_lg_u32 s4, 0
	s_cselect_b64 s[16:17], -1, 0
	s_cmp_eq_u32 s4, 0
	s_cbranch_scc1 .LBB60_6
; %bb.1:
	s_load_dwordx2 s[6:7], s[0:1], 0x10
	s_mul_i32 s8, s4, 3
	v_lshlrev_b32_e32 v0, 4, v2
	s_min_i32 s14, s8, 0x8000
	v_lshl_add_u32 v4, v3, 10, v0
	v_lshl_add_u32 v5, v3, 9, v44
	s_mov_b64 s[8:9], 0
	v_mov_b32_e32 v1, 0
                                        ; implicit-def: $sgpr10_sgpr11
	s_branch .LBB60_3
.LBB60_2:                               ;   in Loop: Header=BB60_3 Depth=1
	s_or_b64 exec, exec, s[12:13]
	s_and_b64 s[12:13], exec, s[10:11]
	s_or_b64 s[8:9], s[12:13], s[8:9]
	s_andn2_b64 exec, exec, s[8:9]
	s_cbranch_execz .LBB60_5
.LBB60_3:                               ; =>This Inner Loop Header: Depth=1
	v_add_u32_e32 v0, s3, v5
	v_cmp_gt_u32_e32 vcc, s14, v0
	s_or_b64 s[10:11], s[10:11], exec
	s_and_saveexec_b64 s[12:13], vcc
	s_cbranch_execz .LBB60_2
; %bb.4:                                ;   in Loop: Header=BB60_3 Depth=1
	s_waitcnt lgkmcnt(0)
	v_lshl_add_u64 v[6:7], v[0:1], 1, s[6:7]
	global_load_dwordx4 v[6:9], v[6:7], off
	s_addk_i32 s3, 0x2000
	s_cmp_ge_u32 s3, s14
	s_cselect_b64 s[18:19], -1, 0
	s_andn2_b64 s[10:11], s[10:11], exec
	s_and_b64 s[18:19], s[18:19], exec
	s_or_b64 s[10:11], s[10:11], s[18:19]
	s_waitcnt vmcnt(0)
	ds_write_b128 v4, v[6:9]
	v_add_u32_e32 v4, 0x4000, v4
	s_branch .LBB60_2
.LBB60_5:
	s_or_b64 exec, exec, s[8:9]
.LBB60_6:
	s_load_dwordx2 s[10:11], s[0:1], 0x20
	s_waitcnt lgkmcnt(0)
	s_barrier
	v_cmp_gt_u32_e32 vcc, s10, v3
	s_and_saveexec_b64 s[6:7], vcc
	s_cbranch_execz .LBB60_65
; %bb.7:
	s_mul_i32 s2, s2, s10
	v_add_u32_e32 v0, s2, v3
	v_lshlrev_b32_e32 v24, 2, v0
	v_cmp_gt_u32_e32 vcc, s5, v24
	s_and_b64 exec, exec, vcc
	s_cbranch_execz .LBB60_65
; %bb.8:
	s_load_dwordx2 s[6:7], s[0:1], 0x8
	s_load_dwordx2 s[8:9], s[0:1], 0x18
	s_mul_i32 s2, s10, s11
	v_mul_lo_u32 v0, s4, v0
	s_ashr_i32 s11, s4, 31
	s_mov_b32 s10, s4
	s_lshl_b32 s20, s2, 2
	v_lshl_add_u32 v46, v0, 2, v44
	s_mul_i32 s2, s2, s4
	v_cndmask_b32_e64 v0, 0, 1, s[16:17]
	v_cmp_eq_u32_e64 s[0:1], 63, v2
	s_lshl_b64 s[12:13], s[10:11], 1
	s_lshl_b32 s21, s4, 2
	v_lshlrev_b32_e32 v45, 4, v2
	s_lshl_b32 s22, s4, 1
	s_lshl_b32 s23, s2, 2
	s_mov_b64 s[14:15], 0
	v_cmp_ne_u32_e64 s[2:3], 1, v0
	v_mov_b32_e32 v27, 0
	s_mov_b32 s24, 0x7f800000
	s_movk_i32 s25, 0x7fff
	s_branch .LBB60_11
.LBB60_9:                               ;   in Loop: Header=BB60_11 Depth=1
	s_or_b64 exec, exec, s[18:19]
	v_add_u32_e32 v26, 3, v26
	v_lshl_add_u64 v[2:3], v[26:27], 1, s[8:9]
	global_store_short_d16_hi v[2:3], v0, off
.LBB60_10:                              ;   in Loop: Header=BB60_11 Depth=1
	s_or_b64 exec, exec, s[16:17]
	v_add_u32_e32 v24, s20, v24
	v_cmp_le_u32_e32 vcc, s5, v24
	s_or_b64 s[14:15], vcc, s[14:15]
	v_add_u32_e32 v46, s23, v46
	s_andn2_b64 exec, exec, s[14:15]
	s_cbranch_execz .LBB60_65
.LBB60_11:                              ; =>This Loop Header: Depth=1
                                        ;     Child Loop BB60_14 Depth 2
	s_mov_b32 s18, 0
	s_and_b64 vcc, exec, s[2:3]
	v_mov_b32_e32 v29, v27
	v_mov_b32_e32 v28, v27
	;; [unrolled: 1-line block ×12, first 2 shown]
	s_cbranch_vccnz .LBB60_16
; %bb.12:                               ;   in Loop: Header=BB60_11 Depth=1
	v_mov_b32_e32 v50, 0
	v_mov_b32_e32 v25, v45
	;; [unrolled: 1-line block ×13, first 2 shown]
	s_branch .LBB60_14
.LBB60_13:                              ;   in Loop: Header=BB60_14 Depth=2
	s_or_b64 exec, exec, s[16:17]
	s_addk_i32 s18, 0x200
	s_cmp_ge_u32 s18, s4
	v_add_u32_e32 v25, 0x400, v25
	s_cbranch_scc1 .LBB60_16
.LBB60_14:                              ;   Parent Loop BB60_11 Depth=1
                                        ; =>  This Inner Loop Header: Depth=2
	v_add_u32_e32 v0, s18, v44
	v_cmp_gt_u32_e32 vcc, s4, v0
	s_and_saveexec_b64 s[16:17], vcc
	s_cbranch_execz .LBB60_13
; %bb.15:                               ;   in Loop: Header=BB60_14 Depth=2
	v_add_u32_e32 v26, s18, v46
	s_waitcnt lgkmcnt(0)
	v_lshl_add_u64 v[0:1], v[26:27], 1, s[6:7]
	global_load_dwordx4 v[12:15], v[0:1], off nt
	v_lshl_add_u64 v[0:1], s[10:11], 1, v[0:1]
	global_load_dwordx4 v[8:11], v[0:1], off nt
	;; [unrolled: 2-line block ×4, first 2 shown]
	ds_read_b128 v[16:19], v25
	v_add_u32_e32 v20, s22, v25
	v_add_u32_e32 v26, s21, v25
	ds_read_b128 v[20:23], v20
	ds_read2_b32 v[38:39], v26 offset1:1
	ds_read2_b32 v[36:37], v26 offset0:2 offset1:3
	s_waitcnt lgkmcnt(3)
	v_and_b32_e32 v52, 0xffff0000, v16
	v_lshlrev_b32_e32 v26, 16, v16
	v_and_b32_e32 v56, 0xffff0000, v17
	v_lshlrev_b32_e32 v54, 16, v17
	v_and_b32_e32 v60, 0xffff0000, v18
	s_waitcnt lgkmcnt(2)
	v_lshlrev_b32_e32 v66, 16, v20
	v_lshlrev_b32_e32 v58, 16, v18
	v_lshlrev_b32_e32 v62, 16, v19
	v_and_b32_e32 v64, 0xffff0000, v19
	v_and_b32_e32 v67, 0xffff0000, v20
	s_waitcnt vmcnt(3)
	v_and_b32_e32 v70, 0xffff0000, v12
	v_lshlrev_b32_e32 v68, 16, v12
	s_waitcnt vmcnt(2)
	v_and_b32_e32 v71, 0xffff0000, v8
	v_and_b32_e32 v40, 0xffff0000, v13
	v_lshlrev_b32_e32 v69, 16, v8
	v_and_b32_e32 v41, 0xffff0000, v9
	v_pk_mul_f32 v[72:73], v[52:53], v[70:71] op_sel_hi:[0,1]
	v_lshlrev_b32_e32 v42, 16, v13
	v_and_b32_e32 v16, 0xffff0000, v14
	v_lshlrev_b32_e32 v43, 16, v9
	v_and_b32_e32 v17, 0xffff0000, v10
	v_pk_mul_f32 v[74:75], v[56:57], v[40:41] op_sel_hi:[0,1]
	s_waitcnt vmcnt(1)
	v_and_b32_e32 v82, 0xffff0000, v4
	v_pk_fma_f32 v[72:73], v[26:27], v[68:69], v[72:73] op_sel_hi:[0,1,1]
	s_waitcnt vmcnt(0)
	v_and_b32_e32 v83, 0xffff0000, v0
	v_lshlrev_b32_e32 v18, 16, v14
	v_lshlrev_b32_e32 v14, 16, v15
	v_and_b32_e32 v12, 0xffff0000, v15
	v_lshlrev_b32_e32 v19, 16, v10
	v_lshlrev_b32_e32 v15, 16, v11
	v_and_b32_e32 v13, 0xffff0000, v11
	v_mul_f32_e32 v20, v66, v68
	v_pk_mul_f32 v[76:77], v[60:61], v[16:17] op_sel_hi:[0,1]
	v_lshlrev_b32_e32 v80, 16, v4
	v_lshlrev_b32_e32 v84, 16, v5
	v_and_b32_e32 v86, 0xffff0000, v5
	v_lshlrev_b32_e32 v10, 16, v6
	v_and_b32_e32 v8, 0xffff0000, v6
	;; [unrolled: 2-line block ×3, first 2 shown]
	v_mov_b32_e32 v90, v69
	v_pk_fma_f32 v[74:75], v[54:55], v[42:43], v[74:75] op_sel_hi:[0,1,1]
	v_lshlrev_b32_e32 v81, 16, v0
	v_lshlrev_b32_e32 v85, 16, v1
	v_and_b32_e32 v87, 0xffff0000, v1
	v_lshlrev_b32_e32 v11, 16, v2
	v_and_b32_e32 v9, 0xffff0000, v2
	;; [unrolled: 2-line block ×3, first 2 shown]
	v_mov_b32_e32 v91, v82
	v_pk_add_f32 v[0:1], v[34:35], v[72:73]
	v_pk_mul_f32 v[2:3], v[52:53], v[82:83] op_sel_hi:[0,1]
	v_pk_mul_f32 v[78:79], v[64:65], v[12:13] op_sel_hi:[0,1]
	v_fmac_f32_e32 v20, v67, v70
	v_mov_b32_e32 v89, v71
	v_pk_fma_f32 v[76:77], v[58:59], v[18:19], v[76:77] op_sel_hi:[0,1,1]
	v_mov_b32_e32 v88, v80
	v_pk_mul_f32 v[34:35], v[56:57], v[86:87] op_sel_hi:[0,1]
	v_pk_mul_f32 v[56:57], v[66:67], v[90:91]
	v_pk_add_f32 v[0:1], v[0:1], v[74:75]
	v_pk_fma_f32 v[2:3], v[26:27], v[80:81], v[2:3] op_sel_hi:[0,1,1]
	v_pk_fma_f32 v[78:79], v[62:63], v[14:15], v[78:79] op_sel_hi:[0,1,1]
	v_add_f32_e32 v20, v50, v20
	v_pk_mul_f32 v[50:51], v[60:61], v[8:9] op_sel_hi:[0,1]
	v_mul_f32_e32 v59, v81, v66
	v_pk_fma_f32 v[54:55], v[54:55], v[84:85], v[34:35] op_sel_hi:[0,1,1]
	v_pk_fma_f32 v[34:35], v[66:67], v[88:89], v[56:57] op_sel:[0,0,1] op_sel_hi:[1,1,0]
	v_pk_add_f32 v[0:1], v[0:1], v[76:77]
	v_pk_add_f32 v[2:3], v[32:33], v[2:3]
	v_pk_mul_f32 v[52:53], v[64:65], v[4:5] op_sel_hi:[0,1]
	v_pk_fma_f32 v[50:51], v[58:59], v[10:11], v[50:51] op_sel_hi:[0,1,1]
	v_pk_add_f32 v[30:31], v[30:31], v[34:35]
	v_pk_add_f32 v[34:35], v[0:1], v[78:79]
	;; [unrolled: 1-line block ×3, first 2 shown]
	v_pk_fma_f32 v[52:53], v[62:63], v[6:7], v[52:53] op_sel_hi:[0,1,1]
	v_pk_add_f32 v[0:1], v[0:1], v[50:51]
	v_fmac_f32_e32 v59, v67, v83
	v_pk_add_f32 v[32:33], v[0:1], v[52:53]
	v_lshlrev_b32_e32 v0, 16, v21
	v_and_b32_e32 v1, 0xffff0000, v21
	v_mul_f32_e32 v2, v0, v42
	v_fmac_f32_e32 v2, v1, v40
	v_add_f32_e32 v26, v49, v59
	v_add_f32_e32 v49, v20, v2
	v_mov_b32_e32 v20, v43
	v_mov_b32_e32 v21, v86
	;; [unrolled: 1-line block ×4, first 2 shown]
	v_pk_mul_f32 v[50:51], v[0:1], v[20:21]
	v_mov_b32_e32 v54, v19
	v_pk_fma_f32 v[50:51], v[0:1], v[2:3], v[50:51] op_sel:[0,0,1] op_sel_hi:[1,1,0]
	v_mul_f32_e32 v0, v85, v0
	v_fmac_f32_e32 v0, v1, v87
	v_add_f32_e32 v26, v26, v0
	v_and_b32_e32 v1, 0xffff0000, v22
	v_lshlrev_b32_e32 v0, 16, v22
	v_mov_b32_e32 v55, v8
	v_pk_add_f32 v[30:31], v[30:31], v[50:51]
	v_mov_b32_e32 v52, v10
	v_mov_b32_e32 v53, v17
	v_pk_mul_f32 v[50:51], v[0:1], v[54:55]
	v_mul_f32_e32 v22, v0, v18
	v_pk_fma_f32 v[50:51], v[0:1], v[52:53], v[50:51] op_sel:[0,0,1] op_sel_hi:[1,1,0]
	v_mul_f32_e32 v0, v11, v0
	v_fmac_f32_e32 v0, v1, v9
	v_add_f32_e32 v8, v26, v0
	v_lshlrev_b32_e32 v0, 16, v23
	v_fmac_f32_e32 v22, v1, v16
	v_and_b32_e32 v1, 0xffff0000, v23
	v_mul_f32_e32 v10, v0, v14
	v_add_f32_e32 v22, v49, v22
	v_fmac_f32_e32 v10, v1, v12
	v_mov_b32_e32 v56, v15
	v_mov_b32_e32 v57, v4
	v_pk_add_f32 v[30:31], v[30:31], v[50:51]
	v_add_f32_e32 v50, v22, v10
	v_mov_b32_e32 v22, v6
	v_mov_b32_e32 v23, v13
	v_pk_mul_f32 v[58:59], v[0:1], v[56:57]
	s_nop 0
	v_pk_fma_f32 v[58:59], v[0:1], v[22:23], v[58:59] op_sel:[0,0,1] op_sel_hi:[1,1,0]
	v_mul_f32_e32 v0, v7, v0
	v_fmac_f32_e32 v0, v1, v5
	v_add_f32_e32 v49, v8, v0
	s_waitcnt lgkmcnt(1)
	v_and_b32_e32 v1, 0xffff0000, v38
	v_lshlrev_b32_e32 v0, 16, v38
	v_pk_add_f32 v[30:31], v[30:31], v[58:59]
	v_pk_mul_f32 v[58:59], v[0:1], v[90:91]
	v_mul_f32_e32 v4, v0, v68
	v_pk_fma_f32 v[58:59], v[0:1], v[88:89], v[58:59] op_sel:[0,0,1] op_sel_hi:[1,1,0]
	v_mul_f32_e32 v0, v81, v0
	v_fmac_f32_e32 v0, v1, v83
	v_fmac_f32_e32 v4, v1, v70
	v_add_f32_e32 v6, v47, v0
	v_and_b32_e32 v1, 0xffff0000, v39
	v_lshlrev_b32_e32 v0, 16, v39
	v_pk_mul_f32 v[20:21], v[0:1], v[20:21]
	v_mul_f32_e32 v8, v0, v42
	v_pk_fma_f32 v[2:3], v[0:1], v[2:3], v[20:21] op_sel:[0,0,1] op_sel_hi:[1,1,0]
	v_mul_f32_e32 v0, v85, v0
	v_fmac_f32_e32 v0, v1, v87
	v_add_f32_e32 v4, v48, v4
	v_fmac_f32_e32 v8, v1, v40
	v_add_f32_e32 v6, v6, v0
	s_waitcnt lgkmcnt(0)
	v_lshlrev_b32_e32 v0, 16, v36
	v_add_f32_e32 v4, v4, v8
	v_and_b32_e32 v1, 0xffff0000, v36
	v_mul_f32_e32 v8, v0, v18
	v_fmac_f32_e32 v8, v1, v16
	v_pk_mul_f32 v[16:17], v[0:1], v[54:55]
	v_add_f32_e32 v4, v4, v8
	v_pk_fma_f32 v[16:17], v[0:1], v[52:53], v[16:17] op_sel:[0,0,1] op_sel_hi:[1,1,0]
	v_mul_f32_e32 v0, v11, v0
	v_fmac_f32_e32 v0, v1, v9
	v_add_f32_e32 v6, v6, v0
	v_lshlrev_b32_e32 v0, 16, v37
	v_and_b32_e32 v1, 0xffff0000, v37
	v_mul_f32_e32 v8, v0, v14
	v_fmac_f32_e32 v8, v1, v12
	v_pk_add_f32 v[28:29], v[28:29], v[58:59]
	v_add_f32_e32 v48, v4, v8
	v_pk_mul_f32 v[8:9], v[0:1], v[56:57]
	v_pk_add_f32 v[2:3], v[28:29], v[2:3]
	v_pk_fma_f32 v[8:9], v[0:1], v[22:23], v[8:9] op_sel:[0,0,1] op_sel_hi:[1,1,0]
	v_mul_f32_e32 v0, v7, v0
	v_pk_add_f32 v[2:3], v[2:3], v[16:17]
	v_fmac_f32_e32 v0, v1, v5
	v_pk_add_f32 v[28:29], v[2:3], v[8:9]
	v_add_f32_e32 v47, v6, v0
	s_branch .LBB60_13
.LBB60_16:                              ;   in Loop: Header=BB60_11 Depth=1
	;;#ASMSTART
	s_nop 0
	v_add_f32 v34, v34, v34 row_shr:8 bound_ctrl:0 
	;;#ASMEND
	;;#ASMSTART
	s_nop 0
	v_add_f32 v35, v35, v35 row_shr:8 bound_ctrl:0 
	;;#ASMEND
	;;#ASMSTART
	s_nop 0
	v_add_f32 v32, v32, v32 row_shr:8 bound_ctrl:0 
	;;#ASMEND
	;;#ASMSTART
	s_nop 0
	v_add_f32 v33, v33, v33 row_shr:8 bound_ctrl:0 
	;;#ASMEND
	;;#ASMSTART
	s_nop 0
	v_add_f32 v50, v50, v50 row_shr:8 bound_ctrl:0 
	;;#ASMEND
	;;#ASMSTART
	s_nop 0
	v_add_f32 v31, v31, v31 row_shr:8 bound_ctrl:0 
	;;#ASMEND
	;;#ASMSTART
	s_nop 0
	v_add_f32 v30, v30, v30 row_shr:8 bound_ctrl:0 
	;;#ASMEND
	;;#ASMSTART
	s_nop 0
	v_add_f32 v49, v49, v49 row_shr:8 bound_ctrl:0 
	;;#ASMEND
	;;#ASMSTART
	s_nop 0
	v_add_f32 v48, v48, v48 row_shr:8 bound_ctrl:0 
	;;#ASMEND
	;;#ASMSTART
	s_nop 0
	v_add_f32 v29, v29, v29 row_shr:8 bound_ctrl:0 
	;;#ASMEND
	;;#ASMSTART
	s_nop 0
	v_add_f32 v28, v28, v28 row_shr:8 bound_ctrl:0 
	;;#ASMEND
	;;#ASMSTART
	s_nop 0
	v_add_f32 v47, v47, v47 row_shr:8 bound_ctrl:0 
	;;#ASMEND
	s_nop 0
	;;#ASMSTART
	s_nop 0
	v_add_f32 v34, v34, v34 row_shr:4 bound_ctrl:0 
	;;#ASMEND
	;;#ASMSTART
	s_nop 0
	v_add_f32 v35, v35, v35 row_shr:4 bound_ctrl:0 
	;;#ASMEND
	;;#ASMSTART
	s_nop 0
	v_add_f32 v32, v32, v32 row_shr:4 bound_ctrl:0 
	;;#ASMEND
	;;#ASMSTART
	s_nop 0
	v_add_f32 v33, v33, v33 row_shr:4 bound_ctrl:0 
	;;#ASMEND
	;;#ASMSTART
	s_nop 0
	v_add_f32 v50, v50, v50 row_shr:4 bound_ctrl:0 
	;;#ASMEND
	;;#ASMSTART
	s_nop 0
	v_add_f32 v31, v31, v31 row_shr:4 bound_ctrl:0 
	;;#ASMEND
	;;#ASMSTART
	s_nop 0
	v_add_f32 v30, v30, v30 row_shr:4 bound_ctrl:0 
	;;#ASMEND
	;;#ASMSTART
	s_nop 0
	v_add_f32 v49, v49, v49 row_shr:4 bound_ctrl:0 
	;;#ASMEND
	;;#ASMSTART
	s_nop 0
	v_add_f32 v48, v48, v48 row_shr:4 bound_ctrl:0 
	;;#ASMEND
	;;#ASMSTART
	s_nop 0
	v_add_f32 v29, v29, v29 row_shr:4 bound_ctrl:0 
	;;#ASMEND
	;;#ASMSTART
	s_nop 0
	v_add_f32 v28, v28, v28 row_shr:4 bound_ctrl:0 
	;;#ASMEND
	;;#ASMSTART
	s_nop 0
	v_add_f32 v47, v47, v47 row_shr:4 bound_ctrl:0 
	;;#ASMEND
	s_nop 0
	;; [unrolled: 49-line block ×3, first 2 shown]
	;;#ASMSTART
	s_nop 0
	v_add_f32 v34, v34, v34 wave_shr:1 bound_ctrl:0
	;;#ASMEND
	;;#ASMSTART
	s_nop 0
	v_add_f32 v35, v35, v35 wave_shr:1 bound_ctrl:0
	;;#ASMEND
	;; [unrolled: 4-line block ×12, first 2 shown]
	s_nop 0
	;;#ASMSTART
	s_nop 0
	v_add_f32 v34, v34, v34 row_bcast:15 bound_ctrl:0
	;;#ASMEND
	;;#ASMSTART
	s_nop 0
	v_add_f32 v35, v35, v35 row_bcast:15 bound_ctrl:0
	;;#ASMEND
	;; [unrolled: 4-line block ×12, first 2 shown]
	s_nop 0
	;;#ASMSTART
	s_nop 0
	v_add_f32 v34, v34, v34 row_bcast:31 bound_ctrl:0
	;;#ASMEND
	;;#ASMSTART
	s_nop 0
	v_add_f32 v35, v35, v35 row_bcast:31 bound_ctrl:0
	;;#ASMEND
	;; [unrolled: 4-line block ×12, first 2 shown]
	s_and_saveexec_b64 s[16:17], s[0:1]
	s_cbranch_execz .LBB60_10
; %bb.17:                               ;   in Loop: Header=BB60_11 Depth=1
	v_and_b32_e32 v0, 0x7f800000, v34
	v_cmp_ne_u32_e32 vcc, s24, v0
                                        ; implicit-def: $vgpr2
	s_and_saveexec_b64 s[18:19], vcc
	s_xor_b64 s[18:19], exec, s[18:19]
; %bb.18:                               ;   in Loop: Header=BB60_11 Depth=1
	v_bfe_u32 v0, v34, 16, 1
	v_add3_u32 v2, v34, v0, s25
; %bb.19:                               ;   in Loop: Header=BB60_11 Depth=1
	s_andn2_saveexec_b64 s[18:19], s[18:19]
; %bb.20:                               ;   in Loop: Header=BB60_11 Depth=1
	v_or_b32_e32 v0, 0x10000, v34
	v_cmp_eq_u32_sdwa vcc, v34, v27 src0_sel:WORD_0 src1_sel:DWORD
	s_nop 1
	v_cndmask_b32_e32 v2, v0, v34, vcc
; %bb.21:                               ;   in Loop: Header=BB60_11 Depth=1
	s_or_b64 exec, exec, s[18:19]
	v_mov_b32_e32 v25, v27
	s_waitcnt lgkmcnt(0)
	v_lshl_add_u64 v[0:1], v[24:25], 1, s[8:9]
	global_store_short_d16_hi v[0:1], v2, off
	v_and_b32_e32 v2, 0x7f800000, v35
	v_cmp_ne_u32_e32 vcc, s24, v2
                                        ; implicit-def: $vgpr2
	s_and_saveexec_b64 s[18:19], vcc
	s_xor_b64 s[18:19], exec, s[18:19]
; %bb.22:                               ;   in Loop: Header=BB60_11 Depth=1
	v_bfe_u32 v2, v35, 16, 1
	v_add3_u32 v2, v35, v2, s25
                                        ; implicit-def: $vgpr35
; %bb.23:                               ;   in Loop: Header=BB60_11 Depth=1
	s_andn2_saveexec_b64 s[18:19], s[18:19]
; %bb.24:                               ;   in Loop: Header=BB60_11 Depth=1
	v_or_b32_e32 v2, 0x10000, v35
	v_cmp_eq_u32_sdwa vcc, v35, v27 src0_sel:WORD_0 src1_sel:DWORD
	s_nop 1
	v_cndmask_b32_e32 v2, v2, v35, vcc
; %bb.25:                               ;   in Loop: Header=BB60_11 Depth=1
	s_or_b64 exec, exec, s[18:19]
	global_store_short_d16_hi v[0:1], v2, off offset:2
	v_and_b32_e32 v2, 0x7f800000, v32
	v_cmp_ne_u32_e32 vcc, s24, v2
                                        ; implicit-def: $vgpr2
	s_and_saveexec_b64 s[18:19], vcc
	s_xor_b64 s[18:19], exec, s[18:19]
; %bb.26:                               ;   in Loop: Header=BB60_11 Depth=1
	v_bfe_u32 v2, v32, 16, 1
	v_add3_u32 v2, v32, v2, s25
; %bb.27:                               ;   in Loop: Header=BB60_11 Depth=1
	s_andn2_saveexec_b64 s[18:19], s[18:19]
; %bb.28:                               ;   in Loop: Header=BB60_11 Depth=1
	v_or_b32_e32 v2, 0x10000, v32
	v_cmp_eq_u32_sdwa vcc, v32, v27 src0_sel:WORD_0 src1_sel:DWORD
	s_nop 1
	v_cndmask_b32_e32 v2, v2, v32, vcc
; %bb.29:                               ;   in Loop: Header=BB60_11 Depth=1
	s_or_b64 exec, exec, s[18:19]
	global_store_short_d16_hi v[0:1], v2, off offset:4
	v_and_b32_e32 v2, 0x7f800000, v33
	v_cmp_ne_u32_e32 vcc, s24, v2
                                        ; implicit-def: $vgpr2
	s_and_saveexec_b64 s[18:19], vcc
	s_xor_b64 s[18:19], exec, s[18:19]
; %bb.30:                               ;   in Loop: Header=BB60_11 Depth=1
	v_bfe_u32 v2, v33, 16, 1
	v_add3_u32 v2, v33, v2, s25
                                        ; implicit-def: $vgpr33
; %bb.31:                               ;   in Loop: Header=BB60_11 Depth=1
	s_andn2_saveexec_b64 s[18:19], s[18:19]
; %bb.32:                               ;   in Loop: Header=BB60_11 Depth=1
	v_or_b32_e32 v2, 0x10000, v33
	v_cmp_eq_u32_sdwa vcc, v33, v27 src0_sel:WORD_0 src1_sel:DWORD
	s_nop 1
	v_cndmask_b32_e32 v2, v2, v33, vcc
; %bb.33:                               ;   in Loop: Header=BB60_11 Depth=1
	s_or_b64 exec, exec, s[18:19]
	global_store_short_d16_hi v[0:1], v2, off offset:6
	v_and_b32_e32 v0, 0x7f800000, v50
	v_cmp_ne_u32_e32 vcc, s24, v0
                                        ; implicit-def: $vgpr0
	s_and_saveexec_b64 s[18:19], vcc
	s_xor_b64 s[18:19], exec, s[18:19]
; %bb.34:                               ;   in Loop: Header=BB60_11 Depth=1
	v_bfe_u32 v0, v50, 16, 1
	v_add3_u32 v0, v50, v0, s25
                                        ; implicit-def: $vgpr50
; %bb.35:                               ;   in Loop: Header=BB60_11 Depth=1
	s_andn2_saveexec_b64 s[18:19], s[18:19]
; %bb.36:                               ;   in Loop: Header=BB60_11 Depth=1
	v_or_b32_e32 v0, 0x10000, v50
	v_cmp_eq_u32_sdwa vcc, v50, v27 src0_sel:WORD_0 src1_sel:DWORD
	s_nop 1
	v_cndmask_b32_e32 v0, v0, v50, vcc
; %bb.37:                               ;   in Loop: Header=BB60_11 Depth=1
	s_or_b64 exec, exec, s[18:19]
	v_add_u32_e32 v26, s5, v24
	v_lshl_add_u64 v[2:3], v[26:27], 1, s[8:9]
	global_store_short_d16_hi v[2:3], v0, off
	v_and_b32_e32 v0, 0x7f800000, v31
	v_cmp_ne_u32_e32 vcc, s24, v0
                                        ; implicit-def: $vgpr0
	s_and_saveexec_b64 s[18:19], vcc
	s_xor_b64 s[18:19], exec, s[18:19]
; %bb.38:                               ;   in Loop: Header=BB60_11 Depth=1
	v_bfe_u32 v0, v31, 16, 1
	v_add3_u32 v0, v31, v0, s25
; %bb.39:                               ;   in Loop: Header=BB60_11 Depth=1
	s_andn2_saveexec_b64 s[18:19], s[18:19]
; %bb.40:                               ;   in Loop: Header=BB60_11 Depth=1
	v_or_b32_e32 v0, 0x10000, v31
	v_cmp_eq_u32_sdwa vcc, v31, v27 src0_sel:WORD_0 src1_sel:DWORD
	s_nop 1
	v_cndmask_b32_e32 v0, v0, v31, vcc
; %bb.41:                               ;   in Loop: Header=BB60_11 Depth=1
	s_or_b64 exec, exec, s[18:19]
	v_add_u32_e32 v2, 1, v26
	v_mov_b32_e32 v3, v27
	v_lshl_add_u64 v[2:3], v[2:3], 1, s[8:9]
	global_store_short_d16_hi v[2:3], v0, off
	v_and_b32_e32 v0, 0x7f800000, v30
	v_cmp_ne_u32_e32 vcc, s24, v0
                                        ; implicit-def: $vgpr0
	s_and_saveexec_b64 s[18:19], vcc
	s_xor_b64 s[18:19], exec, s[18:19]
; %bb.42:                               ;   in Loop: Header=BB60_11 Depth=1
	v_bfe_u32 v0, v30, 16, 1
	v_add3_u32 v0, v30, v0, s25
                                        ; implicit-def: $vgpr30
; %bb.43:                               ;   in Loop: Header=BB60_11 Depth=1
	s_andn2_saveexec_b64 s[18:19], s[18:19]
; %bb.44:                               ;   in Loop: Header=BB60_11 Depth=1
	v_or_b32_e32 v0, 0x10000, v30
	v_cmp_eq_u32_sdwa vcc, v30, v27 src0_sel:WORD_0 src1_sel:DWORD
	s_nop 1
	v_cndmask_b32_e32 v0, v0, v30, vcc
; %bb.45:                               ;   in Loop: Header=BB60_11 Depth=1
	s_or_b64 exec, exec, s[18:19]
	v_add_u32_e32 v2, 2, v26
	v_mov_b32_e32 v3, v27
	v_lshl_add_u64 v[2:3], v[2:3], 1, s[8:9]
	global_store_short_d16_hi v[2:3], v0, off
	v_and_b32_e32 v0, 0x7f800000, v49
	v_cmp_ne_u32_e32 vcc, s24, v0
                                        ; implicit-def: $vgpr0
	s_and_saveexec_b64 s[18:19], vcc
	s_xor_b64 s[18:19], exec, s[18:19]
; %bb.46:                               ;   in Loop: Header=BB60_11 Depth=1
	v_bfe_u32 v0, v49, 16, 1
	v_add3_u32 v0, v49, v0, s25
                                        ; implicit-def: $vgpr49
; %bb.47:                               ;   in Loop: Header=BB60_11 Depth=1
	s_andn2_saveexec_b64 s[18:19], s[18:19]
; %bb.48:                               ;   in Loop: Header=BB60_11 Depth=1
	v_or_b32_e32 v0, 0x10000, v49
	v_cmp_eq_u32_sdwa vcc, v49, v27 src0_sel:WORD_0 src1_sel:DWORD
	s_nop 1
	v_cndmask_b32_e32 v0, v0, v49, vcc
; %bb.49:                               ;   in Loop: Header=BB60_11 Depth=1
	s_or_b64 exec, exec, s[18:19]
	v_add_u32_e32 v2, 3, v26
	v_mov_b32_e32 v3, v27
	v_lshl_add_u64 v[2:3], v[2:3], 1, s[8:9]
	global_store_short_d16_hi v[2:3], v0, off
	v_and_b32_e32 v0, 0x7f800000, v48
	v_cmp_ne_u32_e32 vcc, s24, v0
                                        ; implicit-def: $vgpr2
	s_and_saveexec_b64 s[18:19], vcc
	s_xor_b64 s[18:19], exec, s[18:19]
; %bb.50:                               ;   in Loop: Header=BB60_11 Depth=1
	v_bfe_u32 v0, v48, 16, 1
	v_add3_u32 v2, v48, v0, s25
                                        ; implicit-def: $vgpr48
; %bb.51:                               ;   in Loop: Header=BB60_11 Depth=1
	s_andn2_saveexec_b64 s[18:19], s[18:19]
; %bb.52:                               ;   in Loop: Header=BB60_11 Depth=1
	v_or_b32_e32 v0, 0x10000, v48
	v_cmp_eq_u32_sdwa vcc, v48, v27 src0_sel:WORD_0 src1_sel:DWORD
	s_nop 1
	v_cndmask_b32_e32 v2, v0, v48, vcc
; %bb.53:                               ;   in Loop: Header=BB60_11 Depth=1
	s_or_b64 exec, exec, s[18:19]
	v_add_u32_e32 v26, s5, v26
	v_lshl_add_u64 v[0:1], v[26:27], 1, s[8:9]
	global_store_short_d16_hi v[0:1], v2, off
	v_and_b32_e32 v2, 0x7f800000, v29
	v_cmp_ne_u32_e32 vcc, s24, v2
                                        ; implicit-def: $vgpr2
	s_and_saveexec_b64 s[18:19], vcc
	s_xor_b64 s[18:19], exec, s[18:19]
; %bb.54:                               ;   in Loop: Header=BB60_11 Depth=1
	v_bfe_u32 v2, v29, 16, 1
	v_add3_u32 v2, v29, v2, s25
; %bb.55:                               ;   in Loop: Header=BB60_11 Depth=1
	s_andn2_saveexec_b64 s[18:19], s[18:19]
; %bb.56:                               ;   in Loop: Header=BB60_11 Depth=1
	v_or_b32_e32 v2, 0x10000, v29
	v_cmp_eq_u32_sdwa vcc, v29, v27 src0_sel:WORD_0 src1_sel:DWORD
	s_nop 1
	v_cndmask_b32_e32 v2, v2, v29, vcc
; %bb.57:                               ;   in Loop: Header=BB60_11 Depth=1
	s_or_b64 exec, exec, s[18:19]
	global_store_short_d16_hi v[0:1], v2, off offset:2
	v_and_b32_e32 v0, 0x7f800000, v28
	v_cmp_ne_u32_e32 vcc, s24, v0
                                        ; implicit-def: $vgpr0
	s_and_saveexec_b64 s[18:19], vcc
	s_xor_b64 s[18:19], exec, s[18:19]
; %bb.58:                               ;   in Loop: Header=BB60_11 Depth=1
	v_bfe_u32 v0, v28, 16, 1
	v_add3_u32 v0, v28, v0, s25
                                        ; implicit-def: $vgpr28
; %bb.59:                               ;   in Loop: Header=BB60_11 Depth=1
	s_andn2_saveexec_b64 s[18:19], s[18:19]
; %bb.60:                               ;   in Loop: Header=BB60_11 Depth=1
	v_or_b32_e32 v0, 0x10000, v28
	v_cmp_eq_u32_sdwa vcc, v28, v27 src0_sel:WORD_0 src1_sel:DWORD
	s_nop 1
	v_cndmask_b32_e32 v0, v0, v28, vcc
; %bb.61:                               ;   in Loop: Header=BB60_11 Depth=1
	s_or_b64 exec, exec, s[18:19]
	v_add_u32_e32 v2, 2, v26
	v_mov_b32_e32 v3, v27
	v_lshl_add_u64 v[2:3], v[2:3], 1, s[8:9]
	global_store_short_d16_hi v[2:3], v0, off
	v_and_b32_e32 v0, 0x7f800000, v47
	v_cmp_ne_u32_e32 vcc, s24, v0
                                        ; implicit-def: $vgpr0
	s_and_saveexec_b64 s[18:19], vcc
	s_xor_b64 s[18:19], exec, s[18:19]
; %bb.62:                               ;   in Loop: Header=BB60_11 Depth=1
	v_bfe_u32 v0, v47, 16, 1
	v_add3_u32 v0, v47, v0, s25
                                        ; implicit-def: $vgpr47
; %bb.63:                               ;   in Loop: Header=BB60_11 Depth=1
	s_andn2_saveexec_b64 s[18:19], s[18:19]
	s_cbranch_execz .LBB60_9
; %bb.64:                               ;   in Loop: Header=BB60_11 Depth=1
	v_or_b32_e32 v0, 0x10000, v47
	v_cmp_eq_u32_sdwa vcc, v47, v27 src0_sel:WORD_0 src1_sel:DWORD
	s_nop 1
	v_cndmask_b32_e32 v0, v0, v47, vcc
	s_branch .LBB60_9
.LBB60_65:
	s_endpgm
	.section	.rodata,"a",@progbits
	.p2align	6, 0x0
	.amdhsa_kernel _ZN5aiter16wvSplitK_hf_sml_I14__hip_bfloat16Li64ELi4ELi16ELi8ELi1ELi3EEEviiPKT_S4_PS2_ii
		.amdhsa_group_segment_fixed_size 65536
		.amdhsa_private_segment_fixed_size 0
		.amdhsa_kernarg_size 40
		.amdhsa_user_sgpr_count 2
		.amdhsa_user_sgpr_dispatch_ptr 0
		.amdhsa_user_sgpr_queue_ptr 0
		.amdhsa_user_sgpr_kernarg_segment_ptr 1
		.amdhsa_user_sgpr_dispatch_id 0
		.amdhsa_user_sgpr_kernarg_preload_length 0
		.amdhsa_user_sgpr_kernarg_preload_offset 0
		.amdhsa_user_sgpr_private_segment_size 0
		.amdhsa_uses_dynamic_stack 0
		.amdhsa_enable_private_segment 0
		.amdhsa_system_sgpr_workgroup_id_x 1
		.amdhsa_system_sgpr_workgroup_id_y 0
		.amdhsa_system_sgpr_workgroup_id_z 0
		.amdhsa_system_sgpr_workgroup_info 0
		.amdhsa_system_vgpr_workitem_id 1
		.amdhsa_next_free_vgpr 92
		.amdhsa_next_free_sgpr 26
		.amdhsa_accum_offset 92
		.amdhsa_reserve_vcc 1
		.amdhsa_float_round_mode_32 0
		.amdhsa_float_round_mode_16_64 0
		.amdhsa_float_denorm_mode_32 3
		.amdhsa_float_denorm_mode_16_64 3
		.amdhsa_dx10_clamp 1
		.amdhsa_ieee_mode 1
		.amdhsa_fp16_overflow 0
		.amdhsa_tg_split 0
		.amdhsa_exception_fp_ieee_invalid_op 0
		.amdhsa_exception_fp_denorm_src 0
		.amdhsa_exception_fp_ieee_div_zero 0
		.amdhsa_exception_fp_ieee_overflow 0
		.amdhsa_exception_fp_ieee_underflow 0
		.amdhsa_exception_fp_ieee_inexact 0
		.amdhsa_exception_int_div_zero 0
	.end_amdhsa_kernel
	.section	.text._ZN5aiter16wvSplitK_hf_sml_I14__hip_bfloat16Li64ELi4ELi16ELi8ELi1ELi3EEEviiPKT_S4_PS2_ii,"axG",@progbits,_ZN5aiter16wvSplitK_hf_sml_I14__hip_bfloat16Li64ELi4ELi16ELi8ELi1ELi3EEEviiPKT_S4_PS2_ii,comdat
.Lfunc_end60:
	.size	_ZN5aiter16wvSplitK_hf_sml_I14__hip_bfloat16Li64ELi4ELi16ELi8ELi1ELi3EEEviiPKT_S4_PS2_ii, .Lfunc_end60-_ZN5aiter16wvSplitK_hf_sml_I14__hip_bfloat16Li64ELi4ELi16ELi8ELi1ELi3EEEviiPKT_S4_PS2_ii
                                        ; -- End function
	.section	.AMDGPU.csdata,"",@progbits
; Kernel info:
; codeLenInByte = 3920
; NumSgprs: 32
; NumVgprs: 92
; NumAgprs: 0
; TotalNumVgprs: 92
; ScratchSize: 0
; MemoryBound: 0
; FloatMode: 240
; IeeeMode: 1
; LDSByteSize: 65536 bytes/workgroup (compile time only)
; SGPRBlocks: 3
; VGPRBlocks: 11
; NumSGPRsForWavesPerEU: 32
; NumVGPRsForWavesPerEU: 92
; AccumOffset: 92
; Occupancy: 4
; WaveLimiterHint : 0
; COMPUTE_PGM_RSRC2:SCRATCH_EN: 0
; COMPUTE_PGM_RSRC2:USER_SGPR: 2
; COMPUTE_PGM_RSRC2:TRAP_HANDLER: 0
; COMPUTE_PGM_RSRC2:TGID_X_EN: 1
; COMPUTE_PGM_RSRC2:TGID_Y_EN: 0
; COMPUTE_PGM_RSRC2:TGID_Z_EN: 0
; COMPUTE_PGM_RSRC2:TIDIG_COMP_CNT: 1
; COMPUTE_PGM_RSRC3_GFX90A:ACCUM_OFFSET: 22
; COMPUTE_PGM_RSRC3_GFX90A:TG_SPLIT: 0
	.section	.text._ZN5aiter12wvSplitK_hf_I14__hip_bfloat16Li64ELi7ELi16ELi8ELi1ELi3EEEviiPKT_S4_PS2_ii,"axG",@progbits,_ZN5aiter12wvSplitK_hf_I14__hip_bfloat16Li64ELi7ELi16ELi8ELi1ELi3EEEviiPKT_S4_PS2_ii,comdat
	.protected	_ZN5aiter12wvSplitK_hf_I14__hip_bfloat16Li64ELi7ELi16ELi8ELi1ELi3EEEviiPKT_S4_PS2_ii ; -- Begin function _ZN5aiter12wvSplitK_hf_I14__hip_bfloat16Li64ELi7ELi16ELi8ELi1ELi3EEEviiPKT_S4_PS2_ii
	.globl	_ZN5aiter12wvSplitK_hf_I14__hip_bfloat16Li64ELi7ELi16ELi8ELi1ELi3EEEviiPKT_S4_PS2_ii
	.p2align	8
	.type	_ZN5aiter12wvSplitK_hf_I14__hip_bfloat16Li64ELi7ELi16ELi8ELi1ELi3EEEviiPKT_S4_PS2_ii,@function
_ZN5aiter12wvSplitK_hf_I14__hip_bfloat16Li64ELi7ELi16ELi8ELi1ELi3EEEviiPKT_S4_PS2_ii: ; @_ZN5aiter12wvSplitK_hf_I14__hip_bfloat16Li64ELi7ELi16ELi8ELi1ELi3EEEviiPKT_S4_PS2_ii
; %bb.0:
	s_load_dwordx2 s[12:13], s[0:1], 0x20
	s_load_dwordx2 s[18:19], s[0:1], 0x0
	;; [unrolled: 1-line block ×3, first 2 shown]
	v_bfe_u32 v9, v0, 10, 10
	s_mov_b32 s4, 1
	s_waitcnt lgkmcnt(0)
	s_mul_i32 s2, s2, s12
	v_add_u32_e32 v1, s2, v9
	v_mul_lo_u32 v18, v1, 7
	v_add_u32_e32 v1, 7, v18
	v_cmp_gt_u32_e32 vcc, s19, v18
	v_cmp_le_u32_e64 s[2:3], s19, v1
	s_mov_b32 s5, s4
	s_mov_b32 s6, s4
	;; [unrolled: 1-line block ×6, first 2 shown]
	v_mov_b32_e32 v2, s4
	s_and_b64 s[14:15], vcc, s[2:3]
	v_mov_b32_e32 v3, s5
	v_mov_b32_e32 v4, s6
	;; [unrolled: 1-line block ×6, first 2 shown]
	s_and_saveexec_b64 s[2:3], s[14:15]
	s_cbranch_execz .LBB61_6
; %bb.1:
	s_add_i32 s11, s19, -7
	v_mov_b32_e32 v2, s4
	v_cmp_ne_u32_e32 vcc, s11, v18
	v_mov_b32_e32 v3, s5
	v_mov_b32_e32 v4, s6
	;; [unrolled: 1-line block ×6, first 2 shown]
	s_and_saveexec_b64 s[14:15], vcc
	s_cbranch_execz .LBB61_5
; %bb.2:
	v_subrev_u32_e32 v1, s11, v18
	v_cmp_lt_u32_e32 vcc, 1, v1
	s_mov_b64 s[16:17], 0
	s_mov_b64 s[22:23], 0
	v_cndmask_b32_e32 v10, 1, v1, vcc
	s_mov_b32 s5, s4
	s_mov_b32 s6, s4
	s_mov_b32 s7, s4
	s_mov_b32 s8, s4
	s_mov_b32 s9, s4
	s_mov_b32 s10, s4
.LBB61_3:                               ; =>This Inner Loop Header: Depth=1
	s_cmp_lg_u32 s22, 6
	s_cselect_b32 s10, s10, 0
	s_cmp_lg_u32 s22, 5
	s_cselect_b32 s9, s9, 0
	s_cmp_lg_u32 s22, 4
	s_cselect_b32 s8, s8, 0
	s_cmp_lg_u32 s22, 3
	s_cselect_b32 s7, s7, 0
	s_cmp_lg_u32 s22, 2
	s_cselect_b32 s6, s6, 0
	s_cmp_lg_u32 s22, 1
	s_cselect_b32 s5, s5, 0
	s_cmp_lg_u32 s22, 0
	s_cselect_b32 s4, s4, 0
	s_add_u32 s22, s22, 1
	s_addc_u32 s23, s23, 0
	v_cmp_eq_u32_e32 vcc, s22, v10
	v_mov_b32_e32 v2, s4
	s_or_b64 s[16:17], vcc, s[16:17]
	v_mov_b32_e32 v3, s5
	v_mov_b32_e32 v4, s6
	;; [unrolled: 1-line block ×6, first 2 shown]
	s_andn2_b64 exec, exec, s[16:17]
	s_cbranch_execnz .LBB61_3
; %bb.4:
	s_or_b64 exec, exec, s[16:17]
	v_mov_b32_e32 v18, s11
.LBB61_5:
	s_or_b64 exec, exec, s[14:15]
.LBB61_6:
	s_or_b64 exec, exec, s[2:3]
	v_and_b32_e32 v10, 0x3ff, v0
	s_cmp_lg_u32 s18, 0
	v_lshlrev_b32_e32 v0, 3, v10
	s_cselect_b64 s[4:5], -1, 0
	s_cmp_eq_u32 s18, 0
	s_mov_b32 s10, 0
	scratch_store_dword off, v0, off offset:56 ; 4-byte Folded Spill
	s_cbranch_scc1 .LBB61_12
; %bb.7:
	v_lshlrev_b32_e32 v0, 4, v10
	s_mul_i32 s2, s18, 3
	v_lshl_add_u32 v11, v9, 10, v0
	v_lshlrev_b32_e32 v0, 3, v10
	s_min_i32 s11, s2, 0x8000
	v_lshl_add_u32 v12, v9, 9, v0
	s_mov_b64 s[2:3], 0
	v_mov_b32_e32 v1, 0
                                        ; implicit-def: $sgpr6_sgpr7
	s_branch .LBB61_9
.LBB61_8:                               ;   in Loop: Header=BB61_9 Depth=1
	s_or_b64 exec, exec, s[8:9]
	s_and_b64 s[8:9], exec, s[6:7]
	s_or_b64 s[2:3], s[8:9], s[2:3]
	s_andn2_b64 exec, exec, s[2:3]
	s_cbranch_execz .LBB61_11
.LBB61_9:                               ; =>This Inner Loop Header: Depth=1
	v_add_u32_e32 v0, s10, v12
	v_cmp_gt_u32_e32 vcc, s11, v0
	s_or_b64 s[6:7], s[6:7], exec
	s_and_saveexec_b64 s[8:9], vcc
	s_cbranch_execz .LBB61_8
; %bb.10:                               ;   in Loop: Header=BB61_9 Depth=1
	v_lshl_add_u64 v[14:15], v[0:1], 1, s[20:21]
	global_load_dwordx4 v[14:17], v[14:15], off
	s_addk_i32 s10, 0x2000
	s_cmp_ge_u32 s10, s11
	s_cselect_b64 s[14:15], -1, 0
	s_andn2_b64 s[6:7], s[6:7], exec
	s_and_b64 s[14:15], s[14:15], exec
	s_or_b64 s[6:7], s[6:7], s[14:15]
	s_waitcnt vmcnt(0)
	ds_write_b128 v11, v[14:17]
	v_add_u32_e32 v11, 0x4000, v11
	s_branch .LBB61_8
.LBB61_11:
	s_or_b64 exec, exec, s[2:3]
.LBB61_12:
	v_cmp_gt_u32_e32 vcc, s12, v9
	v_cmp_gt_u32_e64 s[2:3], s19, v18
	v_mov_b32_e32 v0, v18
	s_and_b64 s[2:3], vcc, s[2:3]
	s_waitcnt lgkmcnt(0)
	s_barrier
	scratch_store_dwordx2 off, v[0:1], off offset:64 ; 8-byte Folded Spill
	s_and_saveexec_b64 s[6:7], s[2:3]
	s_cbranch_execz .LBB61_172
; %bb.13:
	s_load_dwordx2 s[22:23], s[0:1], 0x8
	s_load_dwordx2 s[24:25], s[0:1], 0x18
	s_mul_i32 s33, s12, s13
	s_ashr_i32 s27, s18, 31
	s_mov_b32 s26, s18
	v_cndmask_b32_e64 v0, 0, 1, s[4:5]
	v_cmp_eq_u32_e64 s[0:1], 63, v10
	s_mul_i32 s33, s33, 7
	s_add_i32 s40, s19, -7
	s_lshl_b64 s[28:29], s[26:27], 1
	s_mov_b64 s[30:31], 0
	v_cmp_ne_u32_e64 s[2:3], 1, v0
	v_mov_b32_e32 v1, 0
	s_movk_i32 s41, 0x7fff
	s_mov_b32 s42, 0x7f800000
                                        ; implicit-def: $vgpr34_vgpr35_vgpr36_vgpr37
                                        ; implicit-def: $vgpr30_vgpr31_vgpr32_vgpr33
                                        ; implicit-def: $vgpr26_vgpr27_vgpr28_vgpr29
                                        ; implicit-def: $vgpr22_vgpr23_vgpr24_vgpr25
                                        ; implicit-def: $vgpr18_vgpr19_vgpr20_vgpr21
                                        ; implicit-def: $vgpr14_vgpr15_vgpr16_vgpr17
                                        ; implicit-def: $vgpr10_vgpr11_vgpr12_vgpr13
                                        ; implicit-def: $vgpr41
                                        ; implicit-def: $vgpr45
                                        ; implicit-def: $vgpr49
	s_branch .LBB61_16
.LBB61_14:                              ;   in Loop: Header=BB61_16 Depth=1
	s_or_b64 exec, exec, s[8:9]
	v_mov_b32_e32 v50, s40
.LBB61_15:                              ;   in Loop: Header=BB61_16 Depth=1
	s_or_b64 exec, exec, s[6:7]
	v_cmp_le_u32_e32 vcc, s19, v50
	v_mov_b32_e32 v0, v50
	s_or_b64 s[30:31], vcc, s[30:31]
	scratch_store_dwordx2 off, v[0:1], off offset:64 ; 8-byte Folded Spill
	s_andn2_b64 exec, exec, s[30:31]
	s_cbranch_execz .LBB61_172
.LBB61_16:                              ; =>This Loop Header: Depth=1
                                        ;     Child Loop BB61_19 Depth 2
                                        ;     Child Loop BB61_170 Depth 2
	s_and_b64 vcc, exec, s[2:3]
	s_mov_b32 s8, 0
	s_cbranch_vccnz .LBB61_39
; %bb.17:                               ;   in Loop: Header=BB61_16 Depth=1
	scratch_load_dwordx2 v[50:51], off, off offset:64 ; 8-byte Folded Reload
	v_mov_b32_e32 v61, 0
	s_waitcnt vmcnt(0)
	v_mov_b32_e32 v51, v61
	v_mov_b32_e32 v63, 0
	;; [unrolled: 1-line block ×7, first 2 shown]
	v_mul_lo_u32 v0, v50, s18
	v_mov_b32_e32 v50, 0
	scratch_store_dwordx2 off, v[50:51], off offset:40 ; 8-byte Folded Spill
	v_mov_b32_e32 v50, 0
	scratch_store_dwordx2 off, v[50:51], off offset:48 ; 8-byte Folded Spill
	;; [unrolled: 2-line block ×5, first 2 shown]
	v_mov_b32_e32 v50, 0
	scratch_store_dwordx2 off, v[50:51], off ; 8-byte Folded Spill
	v_mov_b32_e32 v50, 0
	scratch_store_dword off, v0, off offset:60 ; 4-byte Folded Spill
	scratch_store_dwordx2 off, v[50:51], off offset:8 ; 8-byte Folded Spill
	s_branch .LBB61_19
.LBB61_18:                              ;   in Loop: Header=BB61_19 Depth=2
	s_or_b64 exec, exec, s[4:5]
	s_addk_i32 s8, 0x200
	s_cmp_ge_u32 s8, s18
	s_cbranch_scc1 .LBB61_40
.LBB61_19:                              ;   Parent Loop BB61_16 Depth=1
                                        ; =>  This Inner Loop Header: Depth=2
	scratch_load_dword v0, off, off offset:56 ; 4-byte Folded Reload
	s_waitcnt vmcnt(0)
	v_add_u32_e32 v50, s8, v0
	v_cmp_gt_u32_e32 vcc, s18, v50
	s_and_saveexec_b64 s[6:7], vcc
	s_cbranch_execz .LBB61_33
; %bb.20:                               ;   in Loop: Header=BB61_19 Depth=2
	scratch_load_dword v0, off, off offset:60 ; 4-byte Folded Reload
	v_cmp_lt_u32_e64 s[4:5], s41, v50
                                        ; implicit-def: $vgpr38
	s_waitcnt vmcnt(0)
	v_add_u32_e32 v0, v50, v0
	s_waitcnt lgkmcnt(0)
	v_lshl_add_u64 v[18:19], v[0:1], 1, s[22:23]
	v_lshl_add_u64 v[20:21], s[26:27], 1, v[18:19]
	;; [unrolled: 1-line block ×6, first 2 shown]
	global_load_dwordx4 v[10:13], v[18:19], off nt
	global_load_dwordx4 v[14:17], v[20:21], off nt
	s_nop 0
	global_load_dwordx4 v[18:21], v[26:27], off nt
	global_load_dwordx4 v[22:25], v[28:29], off nt
	s_nop 0
	global_load_dwordx4 v[26:29], v[34:35], off nt
	global_load_dwordx4 v[30:33], v[36:37], off nt
	v_lshl_add_u64 v[34:35], v[36:37], 0, s[28:29]
	global_load_dwordx4 v[34:37], v[34:35], off nt
	s_and_saveexec_b64 s[10:11], s[4:5]
	s_xor_b64 s[4:5], exec, s[10:11]
	s_cbranch_execz .LBB61_22
; %bb.21:                               ;   in Loop: Header=BB61_19 Depth=2
	v_mov_b32_e32 v51, v1
	v_lshl_add_u64 v[38:39], v[50:51], 1, s[20:21]
	global_load_dwordx4 v[38:41], v[38:39], off
.LBB61_22:                              ;   in Loop: Header=BB61_19 Depth=2
	s_andn2_saveexec_b64 s[4:5], s[4:5]
	s_cbranch_execz .LBB61_24
; %bb.23:                               ;   in Loop: Header=BB61_19 Depth=2
	v_lshlrev_b32_e32 v0, 1, v50
	s_waitcnt vmcnt(0)
	ds_read_b128 v[38:41], v0
.LBB61_24:                              ;   in Loop: Header=BB61_19 Depth=2
	s_or_b64 exec, exec, s[4:5]
	v_add_u32_e32 v0, s18, v50
	v_cmp_lt_u32_e64 s[4:5], s41, v0
                                        ; implicit-def: $vgpr42
	s_and_saveexec_b64 s[10:11], s[4:5]
	s_xor_b64 s[4:5], exec, s[10:11]
	s_cbranch_execz .LBB61_26
; %bb.25:                               ;   in Loop: Header=BB61_19 Depth=2
	v_lshl_add_u64 v[42:43], v[0:1], 1, s[20:21]
	global_load_dwordx4 v[42:45], v[42:43], off
.LBB61_26:                              ;   in Loop: Header=BB61_19 Depth=2
	s_andn2_saveexec_b64 s[4:5], s[4:5]
	s_cbranch_execz .LBB61_28
; %bb.27:                               ;   in Loop: Header=BB61_19 Depth=2
	s_waitcnt vmcnt(0)
	v_lshlrev_b32_e32 v42, 1, v0
	ds_read_b128 v[42:45], v42
.LBB61_28:                              ;   in Loop: Header=BB61_19 Depth=2
	s_or_b64 exec, exec, s[4:5]
	v_add_u32_e32 v0, s18, v0
	v_cmp_lt_u32_e64 s[4:5], s41, v0
                                        ; implicit-def: $vgpr46
	s_and_saveexec_b64 s[10:11], s[4:5]
	s_xor_b64 s[4:5], exec, s[10:11]
	s_cbranch_execz .LBB61_30
; %bb.29:                               ;   in Loop: Header=BB61_19 Depth=2
	v_lshl_add_u64 v[46:47], v[0:1], 1, s[20:21]
	global_load_dwordx4 v[46:49], v[46:47], off
.LBB61_30:                              ;   in Loop: Header=BB61_19 Depth=2
	s_andn2_saveexec_b64 s[4:5], s[4:5]
	s_cbranch_execz .LBB61_32
; %bb.31:                               ;   in Loop: Header=BB61_19 Depth=2
	v_lshlrev_b32_e32 v0, 1, v0
	s_waitcnt vmcnt(0)
	ds_read2_b32 v[46:47], v0 offset1:1
	ds_read2_b32 v[48:49], v0 offset0:2 offset1:3
.LBB61_32:                              ;   in Loop: Header=BB61_19 Depth=2
	s_or_b64 exec, exec, s[4:5]
.LBB61_33:                              ;   in Loop: Header=BB61_19 Depth=2
	s_or_b64 exec, exec, s[6:7]
	s_waitcnt vmcnt(6)
	v_lshlrev_b32_e32 v120, 16, v10
	v_lshlrev_b32_e32 v75, 16, v11
	v_and_b32_e32 v116, 0xffff0000, v10
	v_and_b32_e32 v77, 0xffff0000, v11
	v_lshlrev_b32_e32 v98, 16, v12
	v_lshlrev_b32_e32 v71, 16, v13
	v_and_b32_e32 v96, 0xffff0000, v12
	v_and_b32_e32 v73, 0xffff0000, v13
	s_waitcnt vmcnt(5)
	v_lshlrev_b32_e32 v53, 16, v14
	s_waitcnt vmcnt(4)
	v_lshlrev_b32_e32 v52, 16, v18
	v_and_b32_e32 v55, 0xffff0000, v14
	v_and_b32_e32 v54, 0xffff0000, v18
	v_lshlrev_b32_e32 v127, 16, v15
	v_lshlrev_b32_e32 v126, 16, v19
	v_and_b32_e32 v51, 0xffff0000, v15
	v_and_b32_e32 v50, 0xffff0000, v19
	v_lshlrev_b32_e32 v123, 16, v16
	v_lshlrev_b32_e32 v122, 16, v20
	v_and_b32_e32 v125, 0xffff0000, v16
	v_and_b32_e32 v124, 0xffff0000, v20
	v_lshlrev_b32_e32 v115, 16, v17
	v_lshlrev_b32_e32 v114, 16, v21
	v_and_b32_e32 v119, 0xffff0000, v17
	v_and_b32_e32 v118, 0xffff0000, v21
	s_waitcnt vmcnt(3)
	v_lshlrev_b32_e32 v111, 16, v22
	s_waitcnt vmcnt(2)
	v_lshlrev_b32_e32 v110, 16, v26
	v_and_b32_e32 v113, 0xffff0000, v22
	v_and_b32_e32 v112, 0xffff0000, v26
	v_lshlrev_b32_e32 v107, 16, v23
	v_lshlrev_b32_e32 v106, 16, v27
	v_and_b32_e32 v109, 0xffff0000, v23
	v_and_b32_e32 v108, 0xffff0000, v27
	;; [unrolled: 18-line block ×3, first 2 shown]
	v_lshlrev_b32_e32 v83, 16, v32
	v_lshlrev_b32_e32 v82, 16, v36
	v_and_b32_e32 v85, 0xffff0000, v32
	v_and_b32_e32 v84, 0xffff0000, v36
	v_lshlrev_b32_e32 v79, 16, v33
	v_lshlrev_b32_e32 v78, 16, v37
	v_and_b32_e32 v81, 0xffff0000, v33
	v_and_b32_e32 v80, 0xffff0000, v37
	s_and_saveexec_b64 s[4:5], vcc
	s_cbranch_execnz .LBB61_36
; %bb.34:                               ;   in Loop: Header=BB61_19 Depth=2
	s_or_b64 exec, exec, s[4:5]
	s_and_saveexec_b64 s[4:5], vcc
	s_cbranch_execnz .LBB61_37
.LBB61_35:                              ;   in Loop: Header=BB61_19 Depth=2
	s_or_b64 exec, exec, s[4:5]
	s_and_saveexec_b64 s[4:5], vcc
	s_cbranch_execz .LBB61_18
	s_branch .LBB61_38
.LBB61_36:                              ;   in Loop: Header=BB61_19 Depth=2
	scratch_load_dwordx2 v[66:67], off, off offset:48 ; 8-byte Folded Reload
	s_waitcnt lgkmcnt(0)
	v_and_b32_e32 v117, 0xffff0000, v39
	v_and_b32_e32 v76, 0xffff0000, v38
	v_lshlrev_b32_e32 v121, 16, v39
	v_lshlrev_b32_e32 v74, 16, v38
	v_pk_mul_f32 v[56:57], v[116:117], v[76:77]
	v_and_b32_e32 v97, 0xffff0000, v41
	v_pk_fma_f32 v[56:57], v[120:121], v[74:75], v[56:57]
	v_and_b32_e32 v72, 0xffff0000, v40
	v_add_f32_e32 v0, v9, v56
	v_add_f32_e32 v0, v0, v57
	v_lshlrev_b32_e32 v99, 16, v41
	v_lshlrev_b32_e32 v70, 16, v40
	v_pk_mul_f32 v[56:57], v[96:97], v[72:73]
	v_mov_b32_e32 v58, v117
	v_pk_fma_f32 v[56:57], v[98:99], v[70:71], v[56:57]
	v_mov_b32_e32 v62, v97
	v_add_f32_e32 v0, v0, v56
	v_add_f32_e32 v9, v0, v57
	v_pk_mul_f32 v[56:57], v[76:77], v[54:55] op_sel_hi:[0,1]
	v_pk_fma_f32 v[56:57], v[74:75], v[52:53], v[56:57] op_sel_hi:[0,1,1]
	v_pk_add_f32 v[56:57], v[68:69], v[56:57]
	v_mov_b32_e32 v0, v121
	v_pk_mul_f32 v[68:69], v[58:59], v[50:51] op_sel_hi:[0,1]
	v_pk_fma_f32 v[68:69], v[0:1], v[126:127], v[68:69] op_sel_hi:[0,1,1]
	v_pk_add_f32 v[56:57], v[56:57], v[68:69]
	v_pk_mul_f32 v[68:69], v[72:73], v[124:125] op_sel_hi:[0,1]
	v_pk_fma_f32 v[68:69], v[70:71], v[122:123], v[68:69] op_sel_hi:[0,1,1]
	v_pk_add_f32 v[56:57], v[56:57], v[68:69]
	v_mov_b32_e32 v60, v99
	v_pk_mul_f32 v[68:69], v[62:63], v[118:119] op_sel_hi:[0,1]
	v_pk_fma_f32 v[68:69], v[60:61], v[114:115], v[68:69] op_sel_hi:[0,1,1]
	v_pk_add_f32 v[68:69], v[56:57], v[68:69]
	v_pk_mul_f32 v[56:57], v[76:77], v[112:113] op_sel_hi:[0,1]
	v_pk_fma_f32 v[56:57], v[74:75], v[110:111], v[56:57] op_sel_hi:[0,1,1]
	s_waitcnt vmcnt(0)
	v_pk_add_f32 v[56:57], v[66:67], v[56:57]
	v_pk_mul_f32 v[66:67], v[58:59], v[108:109] op_sel_hi:[0,1]
	v_pk_fma_f32 v[66:67], v[0:1], v[106:107], v[66:67] op_sel_hi:[0,1,1]
	v_pk_add_f32 v[56:57], v[56:57], v[66:67]
	v_pk_mul_f32 v[66:67], v[72:73], v[104:105] op_sel_hi:[0,1]
	v_pk_fma_f32 v[66:67], v[70:71], v[102:103], v[66:67] op_sel_hi:[0,1,1]
	;; [unrolled: 3-line block ×3, first 2 shown]
	v_pk_add_f32 v[56:57], v[56:57], v[66:67]
	scratch_load_dwordx2 v[66:67], off, off offset:40 ; 8-byte Folded Reload
	v_pk_mul_f32 v[58:59], v[58:59], v[88:89] op_sel_hi:[0,1]
	scratch_store_dwordx2 off, v[56:57], off offset:48 ; 8-byte Folded Spill
	v_pk_mul_f32 v[56:57], v[76:77], v[92:93] op_sel_hi:[0,1]
	v_pk_fma_f32 v[56:57], v[74:75], v[90:91], v[56:57] op_sel_hi:[0,1,1]
	v_pk_fma_f32 v[58:59], v[0:1], v[86:87], v[58:59] op_sel_hi:[0,1,1]
	s_waitcnt vmcnt(1)
	v_pk_add_f32 v[56:57], v[66:67], v[56:57]
	s_nop 0
	v_pk_add_f32 v[56:57], v[56:57], v[58:59]
	v_pk_mul_f32 v[58:59], v[72:73], v[84:85] op_sel_hi:[0,1]
	v_pk_fma_f32 v[58:59], v[70:71], v[82:83], v[58:59] op_sel_hi:[0,1,1]
	v_pk_add_f32 v[56:57], v[56:57], v[58:59]
	v_pk_mul_f32 v[58:59], v[62:63], v[80:81] op_sel_hi:[0,1]
	v_pk_fma_f32 v[58:59], v[60:61], v[78:79], v[58:59] op_sel_hi:[0,1,1]
	v_pk_add_f32 v[56:57], v[56:57], v[58:59]
	scratch_store_dwordx2 off, v[56:57], off offset:40 ; 8-byte Folded Spill
	s_or_b64 exec, exec, s[4:5]
	s_and_saveexec_b64 s[4:5], vcc
	s_cbranch_execz .LBB61_35
.LBB61_37:                              ;   in Loop: Header=BB61_19 Depth=2
	scratch_load_dwordx2 v[58:59], off, off offset:32 ; 8-byte Folded Reload
	s_waitcnt lgkmcnt(0)
	v_and_b32_e32 v117, 0xffff0000, v43
	v_and_b32_e32 v76, 0xffff0000, v42
	v_lshlrev_b32_e32 v121, 16, v43
	v_lshlrev_b32_e32 v74, 16, v42
	v_pk_mul_f32 v[56:57], v[116:117], v[76:77]
	v_and_b32_e32 v97, 0xffff0000, v45
	v_pk_fma_f32 v[56:57], v[120:121], v[74:75], v[56:57]
	v_and_b32_e32 v72, 0xffff0000, v44
	v_add_f32_e32 v0, v63, v56
	v_add_f32_e32 v0, v0, v57
	v_lshlrev_b32_e32 v99, 16, v45
	v_lshlrev_b32_e32 v70, 16, v44
	v_pk_mul_f32 v[56:57], v[96:97], v[72:73]
	v_mov_b32_e32 v62, v97
	v_pk_fma_f32 v[56:57], v[98:99], v[70:71], v[56:57]
	v_mov_b64_e32 v[66:67], v[64:65]
	v_add_f32_e32 v0, v0, v56
	v_add_f32_e32 v63, v0, v57
	v_pk_mul_f32 v[56:57], v[76:77], v[54:55] op_sel_hi:[0,1]
	v_pk_fma_f32 v[56:57], v[74:75], v[52:53], v[56:57] op_sel_hi:[0,1,1]
	v_mov_b32_e32 v0, v121
	v_pk_mul_f32 v[64:65], v[62:63], v[118:119] op_sel_hi:[0,1]
	s_waitcnt vmcnt(0)
	v_pk_add_f32 v[56:57], v[58:59], v[56:57]
	v_mov_b32_e32 v58, v117
	v_mov_b32_e32 v59, v61
	v_pk_mul_f32 v[60:61], v[58:59], v[50:51] op_sel_hi:[0,1]
	v_pk_fma_f32 v[60:61], v[0:1], v[126:127], v[60:61] op_sel_hi:[0,1,1]
	v_pk_add_f32 v[56:57], v[56:57], v[60:61]
	v_pk_mul_f32 v[60:61], v[72:73], v[124:125] op_sel_hi:[0,1]
	v_pk_fma_f32 v[60:61], v[70:71], v[122:123], v[60:61] op_sel_hi:[0,1,1]
	v_pk_add_f32 v[56:57], v[56:57], v[60:61]
	v_mov_b32_e32 v61, v59
	v_mov_b32_e32 v60, v99
	v_pk_fma_f32 v[64:65], v[60:61], v[114:115], v[64:65] op_sel_hi:[0,1,1]
	v_pk_add_f32 v[56:57], v[56:57], v[64:65]
	scratch_load_dwordx2 v[64:65], off, off offset:24 ; 8-byte Folded Reload
	s_nop 0
	scratch_store_dwordx2 off, v[56:57], off offset:32 ; 8-byte Folded Spill
	v_pk_mul_f32 v[56:57], v[76:77], v[112:113] op_sel_hi:[0,1]
	v_pk_fma_f32 v[56:57], v[74:75], v[110:111], v[56:57] op_sel_hi:[0,1,1]
	s_waitcnt vmcnt(1)
	v_pk_add_f32 v[56:57], v[64:65], v[56:57]
	v_pk_mul_f32 v[64:65], v[58:59], v[108:109] op_sel_hi:[0,1]
	v_pk_fma_f32 v[64:65], v[0:1], v[106:107], v[64:65] op_sel_hi:[0,1,1]
	v_pk_add_f32 v[56:57], v[56:57], v[64:65]
	v_pk_mul_f32 v[64:65], v[72:73], v[104:105] op_sel_hi:[0,1]
	v_pk_fma_f32 v[64:65], v[70:71], v[102:103], v[64:65] op_sel_hi:[0,1,1]
	;; [unrolled: 3-line block ×3, first 2 shown]
	v_pk_add_f32 v[56:57], v[56:57], v[64:65]
	v_mov_b64_e32 v[64:65], v[66:67]
	scratch_load_dwordx2 v[66:67], off, off offset:16 ; 8-byte Folded Reload
	v_pk_mul_f32 v[58:59], v[58:59], v[88:89] op_sel_hi:[0,1]
	scratch_store_dwordx2 off, v[56:57], off offset:24 ; 8-byte Folded Spill
	v_pk_mul_f32 v[56:57], v[76:77], v[92:93] op_sel_hi:[0,1]
	v_pk_fma_f32 v[56:57], v[74:75], v[90:91], v[56:57] op_sel_hi:[0,1,1]
	v_pk_fma_f32 v[58:59], v[0:1], v[86:87], v[58:59] op_sel_hi:[0,1,1]
	s_waitcnt vmcnt(1)
	v_pk_add_f32 v[56:57], v[66:67], v[56:57]
	s_nop 0
	v_pk_add_f32 v[56:57], v[56:57], v[58:59]
	v_pk_mul_f32 v[58:59], v[72:73], v[84:85] op_sel_hi:[0,1]
	v_pk_fma_f32 v[58:59], v[70:71], v[82:83], v[58:59] op_sel_hi:[0,1,1]
	v_pk_add_f32 v[56:57], v[56:57], v[58:59]
	v_pk_mul_f32 v[58:59], v[62:63], v[80:81] op_sel_hi:[0,1]
	v_pk_fma_f32 v[58:59], v[60:61], v[78:79], v[58:59] op_sel_hi:[0,1,1]
	v_pk_add_f32 v[56:57], v[56:57], v[58:59]
	scratch_store_dwordx2 off, v[56:57], off offset:16 ; 8-byte Folded Spill
	s_or_b64 exec, exec, s[4:5]
	s_and_saveexec_b64 s[4:5], vcc
	s_cbranch_execz .LBB61_18
.LBB61_38:                              ;   in Loop: Header=BB61_19 Depth=2
	s_waitcnt lgkmcnt(0)
	v_and_b32_e32 v76, 0xffff0000, v46
	v_lshlrev_b32_e32 v74, 16, v46
	v_pk_mul_f32 v[54:55], v[76:77], v[54:55] op_sel_hi:[0,1]
	v_pk_fma_f32 v[52:53], v[74:75], v[52:53], v[54:55] op_sel_hi:[0,1,1]
	scratch_load_dwordx2 v[54:55], off, off offset:8 ; 8-byte Folded Reload
	v_and_b32_e32 v117, 0xffff0000, v47
	v_lshlrev_b32_e32 v121, 16, v47
	v_pk_mul_f32 v[56:57], v[116:117], v[76:77]
	v_and_b32_e32 v97, 0xffff0000, v49
	v_pk_fma_f32 v[56:57], v[120:121], v[74:75], v[56:57]
	v_and_b32_e32 v72, 0xffff0000, v48
	v_add_f32_e32 v0, v61, v56
	v_add_f32_e32 v0, v0, v57
	v_lshlrev_b32_e32 v99, 16, v49
	v_lshlrev_b32_e32 v70, 16, v48
	v_pk_mul_f32 v[56:57], v[96:97], v[72:73]
	s_waitcnt vmcnt(0)
	v_pk_add_f32 v[52:53], v[54:55], v[52:53]
	v_pk_fma_f32 v[56:57], v[98:99], v[70:71], v[56:57]
	v_mov_b32_e32 v54, v117
	v_add_f32_e32 v0, v0, v56
	v_add_f32_e32 v61, v0, v57
	v_mov_b32_e32 v0, v121
	v_pk_mul_f32 v[50:51], v[54:55], v[50:51] op_sel_hi:[0,1]
	v_pk_fma_f32 v[50:51], v[0:1], v[126:127], v[50:51] op_sel_hi:[0,1,1]
	v_pk_add_f32 v[50:51], v[52:53], v[50:51]
	v_pk_mul_f32 v[52:53], v[72:73], v[124:125] op_sel_hi:[0,1]
	v_pk_fma_f32 v[52:53], v[70:71], v[122:123], v[52:53] op_sel_hi:[0,1,1]
	v_mov_b32_e32 v56, v97
	v_pk_add_f32 v[50:51], v[50:51], v[52:53]
	v_mov_b32_e32 v52, v99
	v_pk_mul_f32 v[58:59], v[56:57], v[118:119] op_sel_hi:[0,1]
	v_pk_fma_f32 v[58:59], v[52:53], v[114:115], v[58:59] op_sel_hi:[0,1,1]
	v_pk_add_f32 v[50:51], v[50:51], v[58:59]
	scratch_load_dwordx2 v[58:59], off, off ; 8-byte Folded Reload
	s_nop 0
	scratch_store_dwordx2 off, v[50:51], off offset:8 ; 8-byte Folded Spill
	v_pk_mul_f32 v[50:51], v[76:77], v[112:113] op_sel_hi:[0,1]
	v_pk_fma_f32 v[50:51], v[74:75], v[110:111], v[50:51] op_sel_hi:[0,1,1]
	s_waitcnt vmcnt(1)
	v_pk_add_f32 v[50:51], v[58:59], v[50:51]
	v_pk_mul_f32 v[58:59], v[54:55], v[108:109] op_sel_hi:[0,1]
	v_pk_fma_f32 v[58:59], v[0:1], v[106:107], v[58:59] op_sel_hi:[0,1,1]
	v_pk_add_f32 v[50:51], v[50:51], v[58:59]
	v_pk_mul_f32 v[58:59], v[72:73], v[104:105] op_sel_hi:[0,1]
	v_pk_fma_f32 v[58:59], v[70:71], v[102:103], v[58:59] op_sel_hi:[0,1,1]
	;; [unrolled: 3-line block ×3, first 2 shown]
	v_pk_add_f32 v[50:51], v[50:51], v[58:59]
	scratch_store_dwordx2 off, v[50:51], off ; 8-byte Folded Spill
	v_pk_mul_f32 v[50:51], v[76:77], v[92:93] op_sel_hi:[0,1]
	v_pk_fma_f32 v[50:51], v[74:75], v[90:91], v[50:51] op_sel_hi:[0,1,1]
	v_pk_mul_f32 v[54:55], v[54:55], v[88:89] op_sel_hi:[0,1]
	v_pk_add_f32 v[50:51], v[64:65], v[50:51]
	v_pk_fma_f32 v[54:55], v[0:1], v[86:87], v[54:55] op_sel_hi:[0,1,1]
	v_pk_add_f32 v[50:51], v[50:51], v[54:55]
	v_pk_mul_f32 v[54:55], v[72:73], v[84:85] op_sel_hi:[0,1]
	v_pk_fma_f32 v[54:55], v[70:71], v[82:83], v[54:55] op_sel_hi:[0,1,1]
	v_pk_add_f32 v[50:51], v[50:51], v[54:55]
	v_pk_mul_f32 v[54:55], v[56:57], v[80:81] op_sel_hi:[0,1]
	v_pk_fma_f32 v[52:53], v[52:53], v[78:79], v[54:55] op_sel_hi:[0,1,1]
	v_pk_add_f32 v[64:65], v[50:51], v[52:53]
	s_branch .LBB61_18
.LBB61_39:                              ;   in Loop: Header=BB61_16 Depth=1
	v_mov_b32_e32 v51, v1
	v_mov_b32_e32 v50, v1
	;; [unrolled: 1-line block ×9, first 2 shown]
	scratch_store_dwordx2 off, v[50:51], off offset:8 ; 8-byte Folded Spill
	scratch_store_dwordx2 off, v[50:51], off ; 8-byte Folded Spill
	scratch_store_dwordx2 off, v[50:51], off offset:32 ; 8-byte Folded Spill
	scratch_store_dwordx2 off, v[50:51], off offset:24 ; 8-byte Folded Spill
	;; [unrolled: 1-line block ×5, first 2 shown]
.LBB61_40:                              ;   in Loop: Header=BB61_16 Depth=1
	scratch_load_dwordx2 v[72:73], off, off offset:48 ; 8-byte Folded Reload
	s_nop 0
	scratch_load_dwordx2 v[50:51], off, off offset:40 ; 8-byte Folded Reload
	scratch_load_dwordx2 v[70:71], off, off offset:32 ; 8-byte Folded Reload
	;;#ASMSTART
	s_nop 0
	v_add_f32 v63, v63, v63 row_shr:8 bound_ctrl:0 
	;;#ASMEND
	scratch_load_dwordx2 v[66:67], off, off offset:24 ; 8-byte Folded Reload
	scratch_load_dwordx2 v[58:59], off, off offset:16 ; 8-byte Folded Reload
	;; [unrolled: 1-line block ×3, first 2 shown]
	scratch_load_dwordx2 v[54:55], off, off ; 8-byte Folded Reload
	;;#ASMSTART
	s_nop 0
	v_add_f32 v9, v9, v9 row_shr:8 bound_ctrl:0 
	;;#ASMEND
	;;#ASMSTART
	s_nop 0
	v_add_f32 v69, v69, v69 row_shr:8 bound_ctrl:0 
	;;#ASMEND
	;; [unrolled: 4-line block ×3, first 2 shown]
	s_waitcnt vmcnt(6)
	;;#ASMSTART
	s_nop 0
	v_add_f32 v73, v73, v73 row_shr:8 bound_ctrl:0 
	;;#ASMEND
	;;#ASMSTART
	s_nop 0
	v_add_f32 v72, v72, v72 row_shr:8 bound_ctrl:0 
	;;#ASMEND
	s_waitcnt vmcnt(5)
	;;#ASMSTART
	s_nop 0
	v_add_f32 v51, v51, v51 row_shr:8 bound_ctrl:0 
	;;#ASMEND
	;;#ASMSTART
	s_nop 0
	v_add_f32 v50, v50, v50 row_shr:8 bound_ctrl:0 
	;;#ASMEND
	;; [unrolled: 4-line block ×3, first 2 shown]
	s_waitcnt vmcnt(4)
	;;#ASMSTART
	s_nop 0
	v_add_f32 v71, v71, v71 row_shr:8 bound_ctrl:0 
	;;#ASMEND
	;;#ASMSTART
	s_nop 0
	v_add_f32 v70, v70, v70 row_shr:8 bound_ctrl:0 
	;;#ASMEND
	s_waitcnt vmcnt(3)
	;;#ASMSTART
	s_nop 0
	v_add_f32 v67, v67, v67 row_shr:8 bound_ctrl:0 
	;;#ASMEND
	;;#ASMSTART
	s_nop 0
	v_add_f32 v66, v66, v66 row_shr:8 bound_ctrl:0 
	;;#ASMEND
	;; [unrolled: 9-line block ×3, first 2 shown]
	;;#ASMSTART
	s_nop 0
	v_add_f32 v61, v61, v61 row_shr:8 bound_ctrl:0 
	;;#ASMEND
	s_waitcnt vmcnt(1)
	;;#ASMSTART
	s_nop 0
	v_add_f32 v57, v57, v57 row_shr:8 bound_ctrl:0 
	;;#ASMEND
	;;#ASMSTART
	s_nop 0
	v_add_f32 v56, v56, v56 row_shr:8 bound_ctrl:0 
	;;#ASMEND
	s_waitcnt vmcnt(0)
	;;#ASMSTART
	s_nop 0
	v_add_f32 v55, v55, v55 row_shr:8 bound_ctrl:0 
	;;#ASMEND
	;;#ASMSTART
	s_nop 0
	v_add_f32 v54, v54, v54 row_shr:8 bound_ctrl:0 
	;;#ASMEND
	;; [unrolled: 4-line block ×21, first 2 shown]
	s_nop 0
	;;#ASMSTART
	s_nop 0
	v_add_f32 v55, v55, v55 row_shr:4 bound_ctrl:0 
	;;#ASMEND
	;;#ASMSTART
	s_nop 0
	v_add_f32 v54, v54, v54 row_shr:4 bound_ctrl:0 
	;;#ASMEND
	;; [unrolled: 4-line block ×11, first 2 shown]
	;;#ASMSTART
	s_nop 0
	v_add_f32 v63, v63, v63 wave_shr:1 bound_ctrl:0
	;;#ASMEND
	;;#ASMSTART
	s_nop 0
	v_add_f32 v71, v71, v71 row_shr:2 bound_ctrl:0 
	;;#ASMEND
	;;#ASMSTART
	s_nop 0
	v_add_f32 v70, v70, v70 row_shr:2 bound_ctrl:0 
	;; [unrolled: 4-line block ×9, first 2 shown]
	;;#ASMEND
	s_nop 0
	;;#ASMSTART
	s_nop 0
	v_add_f32 v55, v55, v55 row_shr:2 bound_ctrl:0 
	;;#ASMEND
	;;#ASMSTART
	s_nop 0
	v_add_f32 v54, v54, v54 row_shr:2 bound_ctrl:0 
	;;#ASMEND
	;; [unrolled: 4-line block ×4, first 2 shown]
	;;#ASMSTART
	s_nop 0
	v_add_f32 v9, v9, v9 wave_shr:1 bound_ctrl:0
	;;#ASMEND
	;;#ASMSTART
	s_nop 0
	v_add_f32 v69, v69, v69 wave_shr:1 bound_ctrl:0
	;;#ASMEND
	;; [unrolled: 4-line block ×7, first 2 shown]
	;;#ASMSTART
	s_nop 0
	v_add_f32 v63, v63, v63 row_bcast:15 bound_ctrl:0
	;;#ASMEND
	;;#ASMSTART
	s_nop 0
	v_add_f32 v71, v71, v71 wave_shr:1 bound_ctrl:0
	;;#ASMEND
	;;#ASMSTART
	s_nop 0
	v_add_f32 v70, v70, v70 wave_shr:1 bound_ctrl:0
	;; [unrolled: 4-line block ×9, first 2 shown]
	;;#ASMEND
	s_nop 0
	;;#ASMSTART
	s_nop 0
	v_add_f32 v55, v55, v55 wave_shr:1 bound_ctrl:0
	;;#ASMEND
	;;#ASMSTART
	s_nop 0
	v_add_f32 v54, v54, v54 wave_shr:1 bound_ctrl:0
	;;#ASMEND
	;; [unrolled: 4-line block ×4, first 2 shown]
	;;#ASMSTART
	s_nop 0
	v_add_f32 v9, v9, v9 row_bcast:15 bound_ctrl:0
	;;#ASMEND
	;;#ASMSTART
	s_nop 0
	v_add_f32 v69, v69, v69 row_bcast:15 bound_ctrl:0
	;;#ASMEND
	;; [unrolled: 4-line block ×13, first 2 shown]
	s_nop 0
	v_mov_b32_e32 v53, v63
	;;#ASMSTART
	s_nop 0
	v_add_f32 v58, v58, v58 row_bcast:15 bound_ctrl:0
	;;#ASMEND
	;;#ASMSTART
	s_nop 0
	v_add_f32 v61, v61, v61 row_bcast:15 bound_ctrl:0
	;;#ASMEND
	;; [unrolled: 4-line block ×20, first 2 shown]
	s_nop 0
	;;#ASMSTART
	s_nop 0
	v_add_f32 v58, v58, v58 row_bcast:31 bound_ctrl:0
	;;#ASMEND
	;;#ASMSTART
	s_nop 0
	v_add_f32 v61, v61, v61 row_bcast:31 bound_ctrl:0
	;;#ASMEND
	;; [unrolled: 4-line block ×8, first 2 shown]
	s_and_saveexec_b64 s[34:35], s[0:1]
	s_cbranch_execz .LBB61_167
; %bb.41:                               ;   in Loop: Header=BB61_16 Depth=1
	v_cmp_ne_u32_e32 vcc, 0, v2
	s_mov_b64 s[6:7], exec
	s_and_b64 s[4:5], s[6:7], vcc
	v_mov_b64_e32 v[62:63], v[50:51]
	s_mov_b64 exec, s[4:5]
	s_cbranch_execnz .LBB61_48
; %bb.42:                               ;   in Loop: Header=BB61_16 Depth=1
	s_or_b64 exec, exec, s[6:7]
	v_cmp_ne_u32_e64 s[4:5], 0, v3
	s_and_saveexec_b64 s[8:9], s[4:5]
	s_cbranch_execnz .LBB61_53
.LBB61_43:                              ;   in Loop: Header=BB61_16 Depth=1
	s_or_b64 exec, exec, s[8:9]
	v_cmp_ne_u32_e64 s[6:7], 0, v4
	s_and_saveexec_b64 s[10:11], s[6:7]
	s_cbranch_execnz .LBB61_58
.LBB61_44:                              ;   in Loop: Header=BB61_16 Depth=1
	s_or_b64 exec, exec, s[10:11]
	v_cmp_ne_u32_e64 s[8:9], 0, v5
	s_and_saveexec_b64 s[12:13], s[8:9]
	s_cbranch_execnz .LBB61_63
.LBB61_45:                              ;   in Loop: Header=BB61_16 Depth=1
	s_or_b64 exec, exec, s[12:13]
	v_cmp_ne_u32_e64 s[10:11], 0, v6
	s_and_saveexec_b64 s[14:15], s[10:11]
	s_cbranch_execnz .LBB61_68
.LBB61_46:                              ;   in Loop: Header=BB61_16 Depth=1
	s_or_b64 exec, exec, s[14:15]
	v_cmp_ne_u32_e64 s[12:13], 0, v7
	s_and_saveexec_b64 s[16:17], s[12:13]
	s_cbranch_execnz .LBB61_73
.LBB61_47:                              ;   in Loop: Header=BB61_16 Depth=1
	s_or_b64 exec, exec, s[16:17]
	v_cmp_ne_u32_e64 s[14:15], 0, v8
	s_and_saveexec_b64 s[36:37], s[14:15]
	s_cbranch_execnz .LBB61_78
	s_branch .LBB61_83
.LBB61_48:                              ;   in Loop: Header=BB61_16 Depth=1
	v_and_b32_e32 v0, 0x7f800000, v9
	v_cmp_ne_u32_e64 s[4:5], s42, v0
                                        ; implicit-def: $vgpr0
	s_and_saveexec_b64 s[8:9], s[4:5]
	s_xor_b64 s[4:5], exec, s[8:9]
; %bb.49:                               ;   in Loop: Header=BB61_16 Depth=1
	v_bfe_u32 v0, v9, 16, 1
	v_add3_u32 v0, v9, v0, s41
                                        ; implicit-def: $vgpr9
; %bb.50:                               ;   in Loop: Header=BB61_16 Depth=1
	s_andn2_saveexec_b64 s[8:9], s[4:5]
; %bb.51:                               ;   in Loop: Header=BB61_16 Depth=1
	v_or_b32_e32 v0, 0x10000, v9
	v_cmp_eq_u32_sdwa s[4:5], v9, v1 src0_sel:WORD_0 src1_sel:DWORD
	s_nop 1
	v_cndmask_b32_e64 v0, v0, v9, s[4:5]
; %bb.52:                               ;   in Loop: Header=BB61_16 Depth=1
	s_or_b64 exec, exec, s[8:9]
	scratch_load_dwordx2 v[50:51], off, off offset:64 ; 8-byte Folded Reload
	s_waitcnt vmcnt(0)
	v_mov_b32_e32 v51, v1
	v_mov_b32_e32 v52, v50
	s_waitcnt lgkmcnt(0)
	v_lshl_add_u64 v[50:51], v[50:51], 1, s[24:25]
	scratch_store_dwordx2 off, v[52:53], off offset:64 ; 8-byte Folded Spill
	global_store_short_d16_hi v[50:51], v0, off
	s_or_b64 exec, exec, s[6:7]
	v_cmp_ne_u32_e64 s[4:5], 0, v3
	s_and_saveexec_b64 s[8:9], s[4:5]
	s_cbranch_execz .LBB61_43
.LBB61_53:                              ;   in Loop: Header=BB61_16 Depth=1
	v_and_b32_e32 v0, 0x7f800000, v69
	v_cmp_ne_u32_e64 s[6:7], s42, v0
                                        ; implicit-def: $vgpr9
	s_and_saveexec_b64 s[10:11], s[6:7]
	s_xor_b64 s[6:7], exec, s[10:11]
; %bb.54:                               ;   in Loop: Header=BB61_16 Depth=1
	v_bfe_u32 v0, v69, 16, 1
	v_add3_u32 v9, v69, v0, s41
; %bb.55:                               ;   in Loop: Header=BB61_16 Depth=1
	s_andn2_saveexec_b64 s[10:11], s[6:7]
; %bb.56:                               ;   in Loop: Header=BB61_16 Depth=1
	v_or_b32_e32 v0, 0x10000, v69
	v_cmp_eq_u32_sdwa s[6:7], v69, v1 src0_sel:WORD_0 src1_sel:DWORD
	s_nop 1
	v_cndmask_b32_e64 v9, v0, v69, s[6:7]
; %bb.57:                               ;   in Loop: Header=BB61_16 Depth=1
	s_or_b64 exec, exec, s[10:11]
	scratch_load_dwordx2 v[50:51], off, off offset:64 ; 8-byte Folded Reload
	s_waitcnt vmcnt(0)
	v_add_u32_e32 v0, 1, v50
	s_waitcnt lgkmcnt(0)
	v_lshl_add_u64 v[50:51], v[0:1], 1, s[24:25]
	global_store_short_d16_hi v[50:51], v9, off
	s_or_b64 exec, exec, s[8:9]
	v_cmp_ne_u32_e64 s[6:7], 0, v4
	s_and_saveexec_b64 s[10:11], s[6:7]
	s_cbranch_execz .LBB61_44
.LBB61_58:                              ;   in Loop: Header=BB61_16 Depth=1
	v_and_b32_e32 v0, 0x7f800000, v68
	v_cmp_ne_u32_e64 s[8:9], s42, v0
                                        ; implicit-def: $vgpr9
	s_and_saveexec_b64 s[12:13], s[8:9]
	s_xor_b64 s[8:9], exec, s[12:13]
; %bb.59:                               ;   in Loop: Header=BB61_16 Depth=1
	v_bfe_u32 v0, v68, 16, 1
	v_add3_u32 v9, v68, v0, s41
                                        ; implicit-def: $vgpr68
; %bb.60:                               ;   in Loop: Header=BB61_16 Depth=1
	s_andn2_saveexec_b64 s[12:13], s[8:9]
; %bb.61:                               ;   in Loop: Header=BB61_16 Depth=1
	v_or_b32_e32 v0, 0x10000, v68
	v_cmp_eq_u32_sdwa s[8:9], v68, v1 src0_sel:WORD_0 src1_sel:DWORD
	s_nop 1
	v_cndmask_b32_e64 v9, v0, v68, s[8:9]
; %bb.62:                               ;   in Loop: Header=BB61_16 Depth=1
	s_or_b64 exec, exec, s[12:13]
	scratch_load_dwordx2 v[50:51], off, off offset:64 ; 8-byte Folded Reload
	s_waitcnt vmcnt(0)
	v_add_u32_e32 v0, 2, v50
	s_waitcnt lgkmcnt(0)
	v_lshl_add_u64 v[50:51], v[0:1], 1, s[24:25]
	global_store_short_d16_hi v[50:51], v9, off
	s_or_b64 exec, exec, s[10:11]
	v_cmp_ne_u32_e64 s[8:9], 0, v5
	s_and_saveexec_b64 s[12:13], s[8:9]
	s_cbranch_execz .LBB61_45
.LBB61_63:                              ;   in Loop: Header=BB61_16 Depth=1
	v_mov_b64_e32 v[50:51], v[72:73]
	v_and_b32_e32 v0, 0x7f800000, v51
	v_cmp_ne_u32_e64 s[10:11], s42, v0
                                        ; implicit-def: $vgpr9
	s_and_saveexec_b64 s[14:15], s[10:11]
	s_xor_b64 s[10:11], exec, s[14:15]
; %bb.64:                               ;   in Loop: Header=BB61_16 Depth=1
	v_mov_b64_e32 v[50:51], v[72:73]
	v_bfe_u32 v0, v51, 16, 1
	v_add3_u32 v9, v51, v0, s41
; %bb.65:                               ;   in Loop: Header=BB61_16 Depth=1
	s_andn2_saveexec_b64 s[14:15], s[10:11]
; %bb.66:                               ;   in Loop: Header=BB61_16 Depth=1
	v_mov_b64_e32 v[50:51], v[72:73]
	v_or_b32_e32 v0, 0x10000, v51
	v_cmp_eq_u32_sdwa s[10:11], v51, v1 src0_sel:WORD_0 src1_sel:DWORD
	s_nop 1
	v_cndmask_b32_e64 v9, v0, v51, s[10:11]
; %bb.67:                               ;   in Loop: Header=BB61_16 Depth=1
	s_or_b64 exec, exec, s[14:15]
	scratch_load_dwordx2 v[50:51], off, off offset:64 ; 8-byte Folded Reload
	s_waitcnt vmcnt(0)
	v_add_u32_e32 v0, 3, v50
	s_waitcnt lgkmcnt(0)
	v_lshl_add_u64 v[50:51], v[0:1], 1, s[24:25]
	global_store_short_d16_hi v[50:51], v9, off
	s_or_b64 exec, exec, s[12:13]
	v_cmp_ne_u32_e64 s[10:11], 0, v6
	s_and_saveexec_b64 s[14:15], s[10:11]
	s_cbranch_execz .LBB61_46
.LBB61_68:                              ;   in Loop: Header=BB61_16 Depth=1
	v_mov_b32_e32 v0, v72
	v_and_b32_e32 v0, 0x7f800000, v0
	v_cmp_ne_u32_e64 s[12:13], s42, v0
                                        ; implicit-def: $vgpr9
	s_and_saveexec_b64 s[16:17], s[12:13]
	s_xor_b64 s[12:13], exec, s[16:17]
; %bb.69:                               ;   in Loop: Header=BB61_16 Depth=1
	v_bfe_u32 v0, v72, 16, 1
	v_add3_u32 v9, v72, v0, s41
                                        ; implicit-def: $vgpr72
; %bb.70:                               ;   in Loop: Header=BB61_16 Depth=1
	s_andn2_saveexec_b64 s[16:17], s[12:13]
; %bb.71:                               ;   in Loop: Header=BB61_16 Depth=1
	v_or_b32_e32 v0, 0x10000, v72
	v_cmp_eq_u32_sdwa s[12:13], v72, v1 src0_sel:WORD_0 src1_sel:DWORD
	s_nop 1
	v_cndmask_b32_e64 v9, v0, v72, s[12:13]
; %bb.72:                               ;   in Loop: Header=BB61_16 Depth=1
	s_or_b64 exec, exec, s[16:17]
	scratch_load_dwordx2 v[50:51], off, off offset:64 ; 8-byte Folded Reload
	s_waitcnt vmcnt(0)
	v_add_u32_e32 v0, 4, v50
	s_waitcnt lgkmcnt(0)
	v_lshl_add_u64 v[50:51], v[0:1], 1, s[24:25]
	global_store_short_d16_hi v[50:51], v9, off
	s_or_b64 exec, exec, s[14:15]
	v_cmp_ne_u32_e64 s[12:13], 0, v7
	s_and_saveexec_b64 s[16:17], s[12:13]
	s_cbranch_execz .LBB61_47
.LBB61_73:                              ;   in Loop: Header=BB61_16 Depth=1
	v_and_b32_e32 v0, 0x7f800000, v63
	v_cmp_ne_u32_e64 s[14:15], s42, v0
                                        ; implicit-def: $vgpr9
	s_and_saveexec_b64 s[36:37], s[14:15]
	s_xor_b64 s[14:15], exec, s[36:37]
; %bb.74:                               ;   in Loop: Header=BB61_16 Depth=1
	v_bfe_u32 v0, v63, 16, 1
	v_add3_u32 v9, v63, v0, s41
; %bb.75:                               ;   in Loop: Header=BB61_16 Depth=1
	s_andn2_saveexec_b64 s[36:37], s[14:15]
; %bb.76:                               ;   in Loop: Header=BB61_16 Depth=1
	v_or_b32_e32 v0, 0x10000, v63
	v_cmp_eq_u32_sdwa s[14:15], v63, v1 src0_sel:WORD_0 src1_sel:DWORD
	s_nop 1
	v_cndmask_b32_e64 v9, v0, v63, s[14:15]
; %bb.77:                               ;   in Loop: Header=BB61_16 Depth=1
	s_or_b64 exec, exec, s[36:37]
	scratch_load_dwordx2 v[50:51], off, off offset:64 ; 8-byte Folded Reload
	s_waitcnt vmcnt(0)
	v_add_u32_e32 v0, 5, v50
	s_waitcnt lgkmcnt(0)
	v_lshl_add_u64 v[50:51], v[0:1], 1, s[24:25]
	global_store_short_d16_hi v[50:51], v9, off
	s_or_b64 exec, exec, s[16:17]
	v_cmp_ne_u32_e64 s[14:15], 0, v8
	s_and_saveexec_b64 s[36:37], s[14:15]
	s_cbranch_execz .LBB61_83
.LBB61_78:                              ;   in Loop: Header=BB61_16 Depth=1
	v_and_b32_e32 v0, 0x7f800000, v62
	v_cmp_ne_u32_e64 s[16:17], s42, v0
                                        ; implicit-def: $vgpr9
	s_and_saveexec_b64 s[38:39], s[16:17]
	s_xor_b64 s[16:17], exec, s[38:39]
; %bb.79:                               ;   in Loop: Header=BB61_16 Depth=1
	v_bfe_u32 v0, v62, 16, 1
	v_add3_u32 v9, v62, v0, s41
                                        ; implicit-def: $vgpr62
; %bb.80:                               ;   in Loop: Header=BB61_16 Depth=1
	s_andn2_saveexec_b64 s[38:39], s[16:17]
; %bb.81:                               ;   in Loop: Header=BB61_16 Depth=1
	v_or_b32_e32 v0, 0x10000, v62
	v_cmp_eq_u32_sdwa s[16:17], v62, v1 src0_sel:WORD_0 src1_sel:DWORD
	s_nop 1
	v_cndmask_b32_e64 v9, v0, v62, s[16:17]
; %bb.82:                               ;   in Loop: Header=BB61_16 Depth=1
	s_or_b64 exec, exec, s[38:39]
	scratch_load_dwordx2 v[50:51], off, off offset:64 ; 8-byte Folded Reload
	s_waitcnt vmcnt(0)
	v_add_u32_e32 v0, 6, v50
	s_waitcnt lgkmcnt(0)
	v_lshl_add_u64 v[50:51], v[0:1], 1, s[24:25]
	global_store_short_d16_hi v[50:51], v9, off
.LBB61_83:                              ;   in Loop: Header=BB61_16 Depth=1
	s_or_b64 exec, exec, s[36:37]
	scratch_load_dwordx2 v[50:51], off, off offset:64 ; 8-byte Folded Reload
	s_waitcnt vmcnt(0)
	v_add_u32_e32 v0, s19, v50
	s_and_saveexec_b64 s[36:37], vcc
	s_cbranch_execnz .LBB61_97
; %bb.84:                               ;   in Loop: Header=BB61_16 Depth=1
	s_or_b64 exec, exec, s[36:37]
	s_and_saveexec_b64 s[36:37], s[4:5]
	s_cbranch_execnz .LBB61_102
.LBB61_85:                              ;   in Loop: Header=BB61_16 Depth=1
	s_or_b64 exec, exec, s[36:37]
	s_and_saveexec_b64 s[36:37], s[6:7]
	s_cbranch_execnz .LBB61_107
.LBB61_86:                              ;   in Loop: Header=BB61_16 Depth=1
	s_or_b64 exec, exec, s[36:37]
	s_and_saveexec_b64 s[36:37], s[8:9]
	s_cbranch_execnz .LBB61_112
.LBB61_87:                              ;   in Loop: Header=BB61_16 Depth=1
	s_or_b64 exec, exec, s[36:37]
	s_and_saveexec_b64 s[36:37], s[10:11]
	s_cbranch_execnz .LBB61_117
.LBB61_88:                              ;   in Loop: Header=BB61_16 Depth=1
	s_or_b64 exec, exec, s[36:37]
	s_and_saveexec_b64 s[36:37], s[12:13]
	s_cbranch_execnz .LBB61_122
.LBB61_89:                              ;   in Loop: Header=BB61_16 Depth=1
	s_or_b64 exec, exec, s[36:37]
	s_and_saveexec_b64 s[36:37], s[14:15]
	s_cbranch_execnz .LBB61_127
.LBB61_90:                              ;   in Loop: Header=BB61_16 Depth=1
	s_or_b64 exec, exec, s[36:37]
	v_add_u32_e32 v0, s19, v0
	s_and_saveexec_b64 s[16:17], vcc
	s_cbranch_execnz .LBB61_132
.LBB61_91:                              ;   in Loop: Header=BB61_16 Depth=1
	s_or_b64 exec, exec, s[16:17]
	s_and_saveexec_b64 s[16:17], s[4:5]
	s_cbranch_execnz .LBB61_137
.LBB61_92:                              ;   in Loop: Header=BB61_16 Depth=1
	s_or_b64 exec, exec, s[16:17]
	s_and_saveexec_b64 s[4:5], s[6:7]
	s_cbranch_execnz .LBB61_142
.LBB61_93:                              ;   in Loop: Header=BB61_16 Depth=1
	s_or_b64 exec, exec, s[4:5]
	s_and_saveexec_b64 s[4:5], s[8:9]
	s_cbranch_execnz .LBB61_147
.LBB61_94:                              ;   in Loop: Header=BB61_16 Depth=1
	s_or_b64 exec, exec, s[4:5]
	s_and_saveexec_b64 s[4:5], s[10:11]
	s_cbranch_execnz .LBB61_152
.LBB61_95:                              ;   in Loop: Header=BB61_16 Depth=1
	s_or_b64 exec, exec, s[4:5]
	s_and_saveexec_b64 s[4:5], s[12:13]
	s_cbranch_execnz .LBB61_157
.LBB61_96:                              ;   in Loop: Header=BB61_16 Depth=1
	s_or_b64 exec, exec, s[4:5]
	s_and_b64 exec, exec, s[14:15]
	s_cbranch_execnz .LBB61_162
	s_branch .LBB61_167
.LBB61_97:                              ;   in Loop: Header=BB61_16 Depth=1
	v_mov_b32_e32 v9, v53
	v_and_b32_e32 v9, 0x7f800000, v9
	v_cmp_ne_u32_e64 s[16:17], s42, v9
                                        ; implicit-def: $vgpr9
	s_and_saveexec_b64 s[38:39], s[16:17]
	s_xor_b64 s[16:17], exec, s[38:39]
; %bb.98:                               ;   in Loop: Header=BB61_16 Depth=1
	v_bfe_u32 v9, v53, 16, 1
	v_add3_u32 v9, v53, v9, s41
                                        ; implicit-def: $vgpr53
; %bb.99:                               ;   in Loop: Header=BB61_16 Depth=1
	s_andn2_saveexec_b64 s[38:39], s[16:17]
; %bb.100:                              ;   in Loop: Header=BB61_16 Depth=1
	v_or_b32_e32 v9, 0x10000, v53
	v_cmp_eq_u32_sdwa s[16:17], v53, v1 src0_sel:WORD_0 src1_sel:DWORD
	s_nop 1
	v_cndmask_b32_e64 v9, v9, v53, s[16:17]
; %bb.101:                              ;   in Loop: Header=BB61_16 Depth=1
	s_or_b64 exec, exec, s[38:39]
	s_waitcnt lgkmcnt(0)
	v_lshl_add_u64 v[50:51], v[0:1], 1, s[24:25]
	global_store_short_d16_hi v[50:51], v9, off
	s_or_b64 exec, exec, s[36:37]
	s_and_saveexec_b64 s[36:37], s[4:5]
	s_cbranch_execz .LBB61_85
.LBB61_102:                             ;   in Loop: Header=BB61_16 Depth=1
	v_mov_b64_e32 v[50:51], v[70:71]
	v_and_b32_e32 v9, 0x7f800000, v51
	v_cmp_ne_u32_e64 s[16:17], s42, v9
                                        ; implicit-def: $vgpr9
	s_and_saveexec_b64 s[38:39], s[16:17]
	s_xor_b64 s[16:17], exec, s[38:39]
; %bb.103:                              ;   in Loop: Header=BB61_16 Depth=1
	v_mov_b64_e32 v[50:51], v[70:71]
	v_bfe_u32 v9, v51, 16, 1
	v_add3_u32 v9, v51, v9, s41
; %bb.104:                              ;   in Loop: Header=BB61_16 Depth=1
	s_andn2_saveexec_b64 s[38:39], s[16:17]
; %bb.105:                              ;   in Loop: Header=BB61_16 Depth=1
	v_mov_b64_e32 v[50:51], v[70:71]
	v_or_b32_e32 v9, 0x10000, v51
	v_cmp_eq_u32_sdwa s[16:17], v51, v1 src0_sel:WORD_0 src1_sel:DWORD
	s_nop 1
	v_cndmask_b32_e64 v9, v9, v51, s[16:17]
; %bb.106:                              ;   in Loop: Header=BB61_16 Depth=1
	s_or_b64 exec, exec, s[38:39]
	v_add_u32_e32 v50, 1, v0
	v_mov_b32_e32 v51, v1
	s_waitcnt lgkmcnt(0)
	v_lshl_add_u64 v[50:51], v[50:51], 1, s[24:25]
	global_store_short_d16_hi v[50:51], v9, off
	s_or_b64 exec, exec, s[36:37]
	s_and_saveexec_b64 s[36:37], s[6:7]
	s_cbranch_execz .LBB61_86
.LBB61_107:                             ;   in Loop: Header=BB61_16 Depth=1
	v_mov_b32_e32 v50, v70
	v_and_b32_e32 v9, 0x7f800000, v50
	v_cmp_ne_u32_e64 s[16:17], s42, v9
                                        ; implicit-def: $vgpr9
	s_and_saveexec_b64 s[38:39], s[16:17]
	s_xor_b64 s[16:17], exec, s[38:39]
; %bb.108:                              ;   in Loop: Header=BB61_16 Depth=1
	v_bfe_u32 v9, v70, 16, 1
	v_add3_u32 v9, v70, v9, s41
                                        ; implicit-def: $vgpr70
; %bb.109:                              ;   in Loop: Header=BB61_16 Depth=1
	s_andn2_saveexec_b64 s[38:39], s[16:17]
; %bb.110:                              ;   in Loop: Header=BB61_16 Depth=1
	v_or_b32_e32 v9, 0x10000, v70
	v_cmp_eq_u32_sdwa s[16:17], v70, v1 src0_sel:WORD_0 src1_sel:DWORD
	s_nop 1
	v_cndmask_b32_e64 v9, v9, v70, s[16:17]
; %bb.111:                              ;   in Loop: Header=BB61_16 Depth=1
	s_or_b64 exec, exec, s[38:39]
	v_add_u32_e32 v50, 2, v0
	v_mov_b32_e32 v51, v1
	s_waitcnt lgkmcnt(0)
	v_lshl_add_u64 v[50:51], v[50:51], 1, s[24:25]
	global_store_short_d16_hi v[50:51], v9, off
	s_or_b64 exec, exec, s[36:37]
	s_and_saveexec_b64 s[36:37], s[8:9]
	s_cbranch_execz .LBB61_87
.LBB61_112:                             ;   in Loop: Header=BB61_16 Depth=1
	v_mov_b64_e32 v[50:51], v[66:67]
	v_and_b32_e32 v9, 0x7f800000, v51
	v_cmp_ne_u32_e64 s[16:17], s42, v9
                                        ; implicit-def: $vgpr9
	s_and_saveexec_b64 s[38:39], s[16:17]
	s_xor_b64 s[16:17], exec, s[38:39]
; %bb.113:                              ;   in Loop: Header=BB61_16 Depth=1
	v_mov_b64_e32 v[50:51], v[66:67]
	v_bfe_u32 v9, v51, 16, 1
	v_add3_u32 v9, v51, v9, s41
; %bb.114:                              ;   in Loop: Header=BB61_16 Depth=1
	s_andn2_saveexec_b64 s[38:39], s[16:17]
; %bb.115:                              ;   in Loop: Header=BB61_16 Depth=1
	v_mov_b64_e32 v[50:51], v[66:67]
	v_or_b32_e32 v9, 0x10000, v51
	v_cmp_eq_u32_sdwa s[16:17], v51, v1 src0_sel:WORD_0 src1_sel:DWORD
	s_nop 1
	v_cndmask_b32_e64 v9, v9, v51, s[16:17]
; %bb.116:                              ;   in Loop: Header=BB61_16 Depth=1
	s_or_b64 exec, exec, s[38:39]
	v_add_u32_e32 v50, 3, v0
	v_mov_b32_e32 v51, v1
	s_waitcnt lgkmcnt(0)
	v_lshl_add_u64 v[50:51], v[50:51], 1, s[24:25]
	global_store_short_d16_hi v[50:51], v9, off
	s_or_b64 exec, exec, s[36:37]
	s_and_saveexec_b64 s[36:37], s[10:11]
	s_cbranch_execz .LBB61_88
.LBB61_117:                             ;   in Loop: Header=BB61_16 Depth=1
	v_mov_b32_e32 v50, v66
	v_and_b32_e32 v9, 0x7f800000, v50
	v_cmp_ne_u32_e64 s[16:17], s42, v9
                                        ; implicit-def: $vgpr9
	s_and_saveexec_b64 s[38:39], s[16:17]
	s_xor_b64 s[16:17], exec, s[38:39]
; %bb.118:                              ;   in Loop: Header=BB61_16 Depth=1
	v_bfe_u32 v9, v66, 16, 1
	v_add3_u32 v9, v66, v9, s41
                                        ; implicit-def: $vgpr66
; %bb.119:                              ;   in Loop: Header=BB61_16 Depth=1
	s_andn2_saveexec_b64 s[38:39], s[16:17]
; %bb.120:                              ;   in Loop: Header=BB61_16 Depth=1
	v_or_b32_e32 v9, 0x10000, v66
	v_cmp_eq_u32_sdwa s[16:17], v66, v1 src0_sel:WORD_0 src1_sel:DWORD
	s_nop 1
	v_cndmask_b32_e64 v9, v9, v66, s[16:17]
; %bb.121:                              ;   in Loop: Header=BB61_16 Depth=1
	s_or_b64 exec, exec, s[38:39]
	v_add_u32_e32 v50, 4, v0
	v_mov_b32_e32 v51, v1
	s_waitcnt lgkmcnt(0)
	v_lshl_add_u64 v[50:51], v[50:51], 1, s[24:25]
	global_store_short_d16_hi v[50:51], v9, off
	s_or_b64 exec, exec, s[36:37]
	s_and_saveexec_b64 s[36:37], s[12:13]
	s_cbranch_execz .LBB61_89
.LBB61_122:                             ;   in Loop: Header=BB61_16 Depth=1
	v_mov_b64_e32 v[50:51], v[58:59]
	v_and_b32_e32 v9, 0x7f800000, v51
	v_cmp_ne_u32_e64 s[16:17], s42, v9
                                        ; implicit-def: $vgpr9
	s_and_saveexec_b64 s[38:39], s[16:17]
	s_xor_b64 s[16:17], exec, s[38:39]
; %bb.123:                              ;   in Loop: Header=BB61_16 Depth=1
	v_mov_b64_e32 v[50:51], v[58:59]
	v_bfe_u32 v9, v51, 16, 1
	v_add3_u32 v9, v51, v9, s41
; %bb.124:                              ;   in Loop: Header=BB61_16 Depth=1
	s_andn2_saveexec_b64 s[38:39], s[16:17]
; %bb.125:                              ;   in Loop: Header=BB61_16 Depth=1
	v_mov_b64_e32 v[50:51], v[58:59]
	v_or_b32_e32 v9, 0x10000, v51
	v_cmp_eq_u32_sdwa s[16:17], v51, v1 src0_sel:WORD_0 src1_sel:DWORD
	s_nop 1
	v_cndmask_b32_e64 v9, v9, v51, s[16:17]
; %bb.126:                              ;   in Loop: Header=BB61_16 Depth=1
	s_or_b64 exec, exec, s[38:39]
	v_add_u32_e32 v50, 5, v0
	v_mov_b32_e32 v51, v1
	s_waitcnt lgkmcnt(0)
	v_lshl_add_u64 v[50:51], v[50:51], 1, s[24:25]
	global_store_short_d16_hi v[50:51], v9, off
	s_or_b64 exec, exec, s[36:37]
	s_and_saveexec_b64 s[36:37], s[14:15]
	s_cbranch_execz .LBB61_90
.LBB61_127:                             ;   in Loop: Header=BB61_16 Depth=1
	v_mov_b32_e32 v50, v58
	v_and_b32_e32 v9, 0x7f800000, v50
	v_cmp_ne_u32_e64 s[16:17], s42, v9
                                        ; implicit-def: $vgpr9
	s_and_saveexec_b64 s[38:39], s[16:17]
	s_xor_b64 s[16:17], exec, s[38:39]
; %bb.128:                              ;   in Loop: Header=BB61_16 Depth=1
	v_bfe_u32 v9, v58, 16, 1
	v_add3_u32 v9, v58, v9, s41
                                        ; implicit-def: $vgpr58
; %bb.129:                              ;   in Loop: Header=BB61_16 Depth=1
	s_andn2_saveexec_b64 s[38:39], s[16:17]
; %bb.130:                              ;   in Loop: Header=BB61_16 Depth=1
	v_or_b32_e32 v9, 0x10000, v58
	v_cmp_eq_u32_sdwa s[16:17], v58, v1 src0_sel:WORD_0 src1_sel:DWORD
	s_nop 1
	v_cndmask_b32_e64 v9, v9, v58, s[16:17]
; %bb.131:                              ;   in Loop: Header=BB61_16 Depth=1
	s_or_b64 exec, exec, s[38:39]
	v_add_u32_e32 v50, 6, v0
	v_mov_b32_e32 v51, v1
	s_waitcnt lgkmcnt(0)
	v_lshl_add_u64 v[50:51], v[50:51], 1, s[24:25]
	global_store_short_d16_hi v[50:51], v9, off
	s_or_b64 exec, exec, s[36:37]
	v_add_u32_e32 v0, s19, v0
	s_and_saveexec_b64 s[16:17], vcc
	s_cbranch_execz .LBB61_91
.LBB61_132:                             ;   in Loop: Header=BB61_16 Depth=1
	v_and_b32_e32 v9, 0x7f800000, v61
	v_cmp_ne_u32_e32 vcc, s42, v9
                                        ; implicit-def: $vgpr9
	s_and_saveexec_b64 s[36:37], vcc
	s_xor_b64 s[36:37], exec, s[36:37]
; %bb.133:                              ;   in Loop: Header=BB61_16 Depth=1
	v_bfe_u32 v9, v61, 16, 1
	v_add3_u32 v9, v61, v9, s41
                                        ; implicit-def: $vgpr61
; %bb.134:                              ;   in Loop: Header=BB61_16 Depth=1
	s_andn2_saveexec_b64 s[36:37], s[36:37]
; %bb.135:                              ;   in Loop: Header=BB61_16 Depth=1
	v_or_b32_e32 v9, 0x10000, v61
	v_cmp_eq_u32_sdwa vcc, v61, v1 src0_sel:WORD_0 src1_sel:DWORD
	s_nop 1
	v_cndmask_b32_e32 v9, v9, v61, vcc
; %bb.136:                              ;   in Loop: Header=BB61_16 Depth=1
	s_or_b64 exec, exec, s[36:37]
	s_waitcnt lgkmcnt(0)
	v_lshl_add_u64 v[50:51], v[0:1], 1, s[24:25]
	global_store_short_d16_hi v[50:51], v9, off
	s_or_b64 exec, exec, s[16:17]
	s_and_saveexec_b64 s[16:17], s[4:5]
	s_cbranch_execz .LBB61_92
.LBB61_137:                             ;   in Loop: Header=BB61_16 Depth=1
	v_mov_b64_e32 v[50:51], v[56:57]
	v_and_b32_e32 v9, 0x7f800000, v51
	v_cmp_ne_u32_e32 vcc, s42, v9
                                        ; implicit-def: $vgpr9
	s_and_saveexec_b64 s[4:5], vcc
	s_xor_b64 s[4:5], exec, s[4:5]
; %bb.138:                              ;   in Loop: Header=BB61_16 Depth=1
	v_mov_b64_e32 v[50:51], v[56:57]
	v_bfe_u32 v9, v51, 16, 1
	v_add3_u32 v9, v51, v9, s41
; %bb.139:                              ;   in Loop: Header=BB61_16 Depth=1
	s_andn2_saveexec_b64 s[4:5], s[4:5]
; %bb.140:                              ;   in Loop: Header=BB61_16 Depth=1
	v_mov_b64_e32 v[50:51], v[56:57]
	v_or_b32_e32 v9, 0x10000, v51
	v_cmp_eq_u32_sdwa vcc, v51, v1 src0_sel:WORD_0 src1_sel:DWORD
	s_nop 1
	v_cndmask_b32_e32 v9, v9, v51, vcc
; %bb.141:                              ;   in Loop: Header=BB61_16 Depth=1
	s_or_b64 exec, exec, s[4:5]
	v_add_u32_e32 v50, 1, v0
	v_mov_b32_e32 v51, v1
	s_waitcnt lgkmcnt(0)
	v_lshl_add_u64 v[50:51], v[50:51], 1, s[24:25]
	global_store_short_d16_hi v[50:51], v9, off
	s_or_b64 exec, exec, s[16:17]
	s_and_saveexec_b64 s[4:5], s[6:7]
	s_cbranch_execz .LBB61_93
.LBB61_142:                             ;   in Loop: Header=BB61_16 Depth=1
	v_mov_b32_e32 v50, v56
	v_and_b32_e32 v9, 0x7f800000, v50
	v_cmp_ne_u32_e32 vcc, s42, v9
                                        ; implicit-def: $vgpr9
	s_and_saveexec_b64 s[6:7], vcc
	s_xor_b64 s[6:7], exec, s[6:7]
; %bb.143:                              ;   in Loop: Header=BB61_16 Depth=1
	v_bfe_u32 v9, v56, 16, 1
	v_add3_u32 v9, v56, v9, s41
                                        ; implicit-def: $vgpr56
; %bb.144:                              ;   in Loop: Header=BB61_16 Depth=1
	s_andn2_saveexec_b64 s[6:7], s[6:7]
; %bb.145:                              ;   in Loop: Header=BB61_16 Depth=1
	v_or_b32_e32 v9, 0x10000, v56
	v_cmp_eq_u32_sdwa vcc, v56, v1 src0_sel:WORD_0 src1_sel:DWORD
	s_nop 1
	v_cndmask_b32_e32 v9, v9, v56, vcc
; %bb.146:                              ;   in Loop: Header=BB61_16 Depth=1
	s_or_b64 exec, exec, s[6:7]
	v_add_u32_e32 v50, 2, v0
	v_mov_b32_e32 v51, v1
	s_waitcnt lgkmcnt(0)
	v_lshl_add_u64 v[50:51], v[50:51], 1, s[24:25]
	global_store_short_d16_hi v[50:51], v9, off
	s_or_b64 exec, exec, s[4:5]
	s_and_saveexec_b64 s[4:5], s[8:9]
	s_cbranch_execz .LBB61_94
.LBB61_147:                             ;   in Loop: Header=BB61_16 Depth=1
	v_mov_b64_e32 v[50:51], v[54:55]
	v_and_b32_e32 v9, 0x7f800000, v51
	v_cmp_ne_u32_e32 vcc, s42, v9
                                        ; implicit-def: $vgpr9
	s_and_saveexec_b64 s[6:7], vcc
	s_xor_b64 s[6:7], exec, s[6:7]
; %bb.148:                              ;   in Loop: Header=BB61_16 Depth=1
	v_mov_b64_e32 v[50:51], v[54:55]
	v_bfe_u32 v9, v51, 16, 1
	v_add3_u32 v9, v51, v9, s41
; %bb.149:                              ;   in Loop: Header=BB61_16 Depth=1
	s_andn2_saveexec_b64 s[6:7], s[6:7]
; %bb.150:                              ;   in Loop: Header=BB61_16 Depth=1
	v_mov_b64_e32 v[50:51], v[54:55]
	v_or_b32_e32 v9, 0x10000, v51
	v_cmp_eq_u32_sdwa vcc, v51, v1 src0_sel:WORD_0 src1_sel:DWORD
	s_nop 1
	v_cndmask_b32_e32 v9, v9, v51, vcc
; %bb.151:                              ;   in Loop: Header=BB61_16 Depth=1
	s_or_b64 exec, exec, s[6:7]
	v_add_u32_e32 v50, 3, v0
	v_mov_b32_e32 v51, v1
	s_waitcnt lgkmcnt(0)
	v_lshl_add_u64 v[50:51], v[50:51], 1, s[24:25]
	global_store_short_d16_hi v[50:51], v9, off
	s_or_b64 exec, exec, s[4:5]
	s_and_saveexec_b64 s[4:5], s[10:11]
	s_cbranch_execz .LBB61_95
.LBB61_152:                             ;   in Loop: Header=BB61_16 Depth=1
	v_mov_b32_e32 v50, v54
	v_and_b32_e32 v9, 0x7f800000, v50
	v_cmp_ne_u32_e32 vcc, s42, v9
                                        ; implicit-def: $vgpr9
	s_and_saveexec_b64 s[6:7], vcc
	s_xor_b64 s[6:7], exec, s[6:7]
; %bb.153:                              ;   in Loop: Header=BB61_16 Depth=1
	v_bfe_u32 v9, v54, 16, 1
	v_add3_u32 v9, v54, v9, s41
                                        ; implicit-def: $vgpr54
; %bb.154:                              ;   in Loop: Header=BB61_16 Depth=1
	s_andn2_saveexec_b64 s[6:7], s[6:7]
; %bb.155:                              ;   in Loop: Header=BB61_16 Depth=1
	v_or_b32_e32 v9, 0x10000, v54
	v_cmp_eq_u32_sdwa vcc, v54, v1 src0_sel:WORD_0 src1_sel:DWORD
	s_nop 1
	v_cndmask_b32_e32 v9, v9, v54, vcc
; %bb.156:                              ;   in Loop: Header=BB61_16 Depth=1
	s_or_b64 exec, exec, s[6:7]
	v_add_u32_e32 v50, 4, v0
	v_mov_b32_e32 v51, v1
	s_waitcnt lgkmcnt(0)
	v_lshl_add_u64 v[50:51], v[50:51], 1, s[24:25]
	global_store_short_d16_hi v[50:51], v9, off
	s_or_b64 exec, exec, s[4:5]
	s_and_saveexec_b64 s[4:5], s[12:13]
	s_cbranch_execz .LBB61_96
.LBB61_157:                             ;   in Loop: Header=BB61_16 Depth=1
	v_and_b32_e32 v9, 0x7f800000, v65
	v_cmp_ne_u32_e32 vcc, s42, v9
                                        ; implicit-def: $vgpr9
	s_and_saveexec_b64 s[6:7], vcc
	s_xor_b64 s[6:7], exec, s[6:7]
; %bb.158:                              ;   in Loop: Header=BB61_16 Depth=1
	v_bfe_u32 v9, v65, 16, 1
	v_add3_u32 v9, v65, v9, s41
; %bb.159:                              ;   in Loop: Header=BB61_16 Depth=1
	s_andn2_saveexec_b64 s[6:7], s[6:7]
; %bb.160:                              ;   in Loop: Header=BB61_16 Depth=1
	v_or_b32_e32 v9, 0x10000, v65
	v_cmp_eq_u32_sdwa vcc, v65, v1 src0_sel:WORD_0 src1_sel:DWORD
	s_nop 1
	v_cndmask_b32_e32 v9, v9, v65, vcc
; %bb.161:                              ;   in Loop: Header=BB61_16 Depth=1
	s_or_b64 exec, exec, s[6:7]
	v_add_u32_e32 v50, 5, v0
	v_mov_b32_e32 v51, v1
	s_waitcnt lgkmcnt(0)
	v_lshl_add_u64 v[50:51], v[50:51], 1, s[24:25]
	global_store_short_d16_hi v[50:51], v9, off
	s_or_b64 exec, exec, s[4:5]
	s_and_b64 exec, exec, s[14:15]
	s_cbranch_execz .LBB61_167
.LBB61_162:                             ;   in Loop: Header=BB61_16 Depth=1
	v_and_b32_e32 v9, 0x7f800000, v64
	v_cmp_ne_u32_e32 vcc, s42, v9
                                        ; implicit-def: $vgpr9
	s_and_saveexec_b64 s[4:5], vcc
	s_xor_b64 s[4:5], exec, s[4:5]
; %bb.163:                              ;   in Loop: Header=BB61_16 Depth=1
	v_bfe_u32 v9, v64, 16, 1
	v_add3_u32 v9, v64, v9, s41
                                        ; implicit-def: $vgpr64
; %bb.164:                              ;   in Loop: Header=BB61_16 Depth=1
	s_andn2_saveexec_b64 s[4:5], s[4:5]
; %bb.165:                              ;   in Loop: Header=BB61_16 Depth=1
	v_or_b32_e32 v9, 0x10000, v64
	v_cmp_eq_u32_sdwa vcc, v64, v1 src0_sel:WORD_0 src1_sel:DWORD
	s_nop 1
	v_cndmask_b32_e32 v9, v9, v64, vcc
; %bb.166:                              ;   in Loop: Header=BB61_16 Depth=1
	s_or_b64 exec, exec, s[4:5]
	v_add_u32_e32 v0, 6, v0
	s_waitcnt lgkmcnt(0)
	v_lshl_add_u64 v[50:51], v[0:1], 1, s[24:25]
	global_store_short_d16_hi v[50:51], v9, off
.LBB61_167:                             ;   in Loop: Header=BB61_16 Depth=1
	s_or_b64 exec, exec, s[34:35]
	scratch_load_dwordx2 v[50:51], off, off offset:64 ; 8-byte Folded Reload
	s_waitcnt vmcnt(0)
	v_add_u32_e32 v50, s33, v50
	v_add_u32_e32 v0, 7, v50
	v_cmp_gt_u32_e32 vcc, s19, v50
	v_cmp_le_u32_e64 s[4:5], s19, v0
	s_and_b64 s[4:5], vcc, s[4:5]
	s_and_saveexec_b64 s[6:7], s[4:5]
	s_cbranch_execz .LBB61_15
; %bb.168:                              ;   in Loop: Header=BB61_16 Depth=1
	v_cmp_ne_u32_e32 vcc, s40, v50
	s_and_saveexec_b64 s[8:9], vcc
	s_cbranch_execz .LBB61_14
; %bb.169:                              ;   in Loop: Header=BB61_16 Depth=1
	v_subrev_u32_e32 v0, s40, v50
	v_cmp_lt_u32_e32 vcc, 1, v0
	s_mov_b64 s[10:11], 0
	s_mov_b64 s[12:13], 0
	v_cndmask_b32_e32 v0, 1, v0, vcc
.LBB61_170:                             ;   Parent Loop BB61_16 Depth=1
                                        ; =>  This Inner Loop Header: Depth=2
	s_cmp_lg_u32 s12, 6
	s_cselect_b64 vcc, -1, 0
	s_cmp_lg_u32 s12, 5
	v_cndmask_b32_e32 v8, 0, v8, vcc
	s_cselect_b64 vcc, -1, 0
	s_cmp_lg_u32 s12, 4
	v_cndmask_b32_e32 v7, 0, v7, vcc
	;; [unrolled: 3-line block ×6, first 2 shown]
	s_cselect_b64 vcc, -1, 0
	s_add_u32 s12, s12, 1
	s_addc_u32 s13, s13, 0
	v_cmp_eq_u32_e64 s[4:5], s12, v0
	s_or_b64 s[10:11], s[4:5], s[10:11]
	v_cndmask_b32_e32 v2, 0, v2, vcc
	s_andn2_b64 exec, exec, s[10:11]
	s_cbranch_execnz .LBB61_170
; %bb.171:                              ;   in Loop: Header=BB61_16 Depth=1
	s_or_b64 exec, exec, s[10:11]
	s_branch .LBB61_14
.LBB61_172:
	s_endpgm
	.section	.rodata,"a",@progbits
	.p2align	6, 0x0
	.amdhsa_kernel _ZN5aiter12wvSplitK_hf_I14__hip_bfloat16Li64ELi7ELi16ELi8ELi1ELi3EEEviiPKT_S4_PS2_ii
		.amdhsa_group_segment_fixed_size 65536
		.amdhsa_private_segment_fixed_size 76
		.amdhsa_kernarg_size 40
		.amdhsa_user_sgpr_count 2
		.amdhsa_user_sgpr_dispatch_ptr 0
		.amdhsa_user_sgpr_queue_ptr 0
		.amdhsa_user_sgpr_kernarg_segment_ptr 1
		.amdhsa_user_sgpr_dispatch_id 0
		.amdhsa_user_sgpr_kernarg_preload_length 0
		.amdhsa_user_sgpr_kernarg_preload_offset 0
		.amdhsa_user_sgpr_private_segment_size 0
		.amdhsa_uses_dynamic_stack 0
		.amdhsa_enable_private_segment 1
		.amdhsa_system_sgpr_workgroup_id_x 1
		.amdhsa_system_sgpr_workgroup_id_y 0
		.amdhsa_system_sgpr_workgroup_id_z 0
		.amdhsa_system_sgpr_workgroup_info 0
		.amdhsa_system_vgpr_workitem_id 1
		.amdhsa_next_free_vgpr 128
		.amdhsa_next_free_sgpr 43
		.amdhsa_accum_offset 128
		.amdhsa_reserve_vcc 1
		.amdhsa_float_round_mode_32 0
		.amdhsa_float_round_mode_16_64 0
		.amdhsa_float_denorm_mode_32 3
		.amdhsa_float_denorm_mode_16_64 3
		.amdhsa_dx10_clamp 1
		.amdhsa_ieee_mode 1
		.amdhsa_fp16_overflow 0
		.amdhsa_tg_split 0
		.amdhsa_exception_fp_ieee_invalid_op 0
		.amdhsa_exception_fp_denorm_src 0
		.amdhsa_exception_fp_ieee_div_zero 0
		.amdhsa_exception_fp_ieee_overflow 0
		.amdhsa_exception_fp_ieee_underflow 0
		.amdhsa_exception_fp_ieee_inexact 0
		.amdhsa_exception_int_div_zero 0
	.end_amdhsa_kernel
	.section	.text._ZN5aiter12wvSplitK_hf_I14__hip_bfloat16Li64ELi7ELi16ELi8ELi1ELi3EEEviiPKT_S4_PS2_ii,"axG",@progbits,_ZN5aiter12wvSplitK_hf_I14__hip_bfloat16Li64ELi7ELi16ELi8ELi1ELi3EEEviiPKT_S4_PS2_ii,comdat
.Lfunc_end61:
	.size	_ZN5aiter12wvSplitK_hf_I14__hip_bfloat16Li64ELi7ELi16ELi8ELi1ELi3EEEviiPKT_S4_PS2_ii, .Lfunc_end61-_ZN5aiter12wvSplitK_hf_I14__hip_bfloat16Li64ELi7ELi16ELi8ELi1ELi3EEEviiPKT_S4_PS2_ii
                                        ; -- End function
	.section	.AMDGPU.csdata,"",@progbits
; Kernel info:
; codeLenInByte = 8416
; NumSgprs: 49
; NumVgprs: 128
; NumAgprs: 0
; TotalNumVgprs: 128
; ScratchSize: 76
; MemoryBound: 0
; FloatMode: 240
; IeeeMode: 1
; LDSByteSize: 65536 bytes/workgroup (compile time only)
; SGPRBlocks: 6
; VGPRBlocks: 15
; NumSGPRsForWavesPerEU: 49
; NumVGPRsForWavesPerEU: 128
; AccumOffset: 128
; Occupancy: 4
; WaveLimiterHint : 0
; COMPUTE_PGM_RSRC2:SCRATCH_EN: 1
; COMPUTE_PGM_RSRC2:USER_SGPR: 2
; COMPUTE_PGM_RSRC2:TRAP_HANDLER: 0
; COMPUTE_PGM_RSRC2:TGID_X_EN: 1
; COMPUTE_PGM_RSRC2:TGID_Y_EN: 0
; COMPUTE_PGM_RSRC2:TGID_Z_EN: 0
; COMPUTE_PGM_RSRC2:TIDIG_COMP_CNT: 1
; COMPUTE_PGM_RSRC3_GFX90A:ACCUM_OFFSET: 31
; COMPUTE_PGM_RSRC3_GFX90A:TG_SPLIT: 0
	.section	.text._ZN5aiter16wvSplitK_hf_big_I14__hip_bfloat16Li64ELi7ELi16ELi8ELi1ELi3EEEviiPKT_S4_PS2_ii,"axG",@progbits,_ZN5aiter16wvSplitK_hf_big_I14__hip_bfloat16Li64ELi7ELi16ELi8ELi1ELi3EEEviiPKT_S4_PS2_ii,comdat
	.protected	_ZN5aiter16wvSplitK_hf_big_I14__hip_bfloat16Li64ELi7ELi16ELi8ELi1ELi3EEEviiPKT_S4_PS2_ii ; -- Begin function _ZN5aiter16wvSplitK_hf_big_I14__hip_bfloat16Li64ELi7ELi16ELi8ELi1ELi3EEEviiPKT_S4_PS2_ii
	.globl	_ZN5aiter16wvSplitK_hf_big_I14__hip_bfloat16Li64ELi7ELi16ELi8ELi1ELi3EEEviiPKT_S4_PS2_ii
	.p2align	8
	.type	_ZN5aiter16wvSplitK_hf_big_I14__hip_bfloat16Li64ELi7ELi16ELi8ELi1ELi3EEEviiPKT_S4_PS2_ii,@function
_ZN5aiter16wvSplitK_hf_big_I14__hip_bfloat16Li64ELi7ELi16ELi8ELi1ELi3EEEviiPKT_S4_PS2_ii: ; @_ZN5aiter16wvSplitK_hf_big_I14__hip_bfloat16Li64ELi7ELi16ELi8ELi1ELi3EEEviiPKT_S4_PS2_ii
; %bb.0:
	s_load_dwordx2 s[12:13], s[0:1], 0x20
	v_bfe_u32 v1, v0, 10, 10
	s_waitcnt lgkmcnt(0)
	v_cmp_gt_u32_e32 vcc, s12, v1
	s_and_saveexec_b64 s[4:5], vcc
	s_cbranch_execz .LBB62_162
; %bb.1:
	s_load_dwordx2 s[24:25], s[0:1], 0x0
	s_mul_i32 s2, s2, s12
	v_add_u32_e32 v2, s2, v1
	v_mul_lo_u32 v48, v2, 7
	v_add_u32_e32 v2, 7, v48
	s_mov_b32 s4, 1
	s_waitcnt lgkmcnt(0)
	v_cmp_gt_u32_e32 vcc, s25, v48
	v_cmp_le_u32_e64 s[2:3], s25, v2
	s_mov_b32 s5, s4
	s_mov_b32 s6, s4
	;; [unrolled: 1-line block ×6, first 2 shown]
	v_mov_b32_e32 v2, s4
	s_and_b64 s[14:15], vcc, s[2:3]
	v_mov_b32_e32 v3, s5
	v_mov_b32_e32 v4, s6
	;; [unrolled: 1-line block ×6, first 2 shown]
	s_and_saveexec_b64 s[2:3], s[14:15]
	s_cbranch_execz .LBB62_7
; %bb.2:
	s_add_i32 s11, s25, -7
	v_mov_b32_e32 v2, s4
	v_cmp_ne_u32_e32 vcc, s11, v48
	v_mov_b32_e32 v3, s5
	v_mov_b32_e32 v4, s6
	;; [unrolled: 1-line block ×6, first 2 shown]
	s_and_saveexec_b64 s[14:15], vcc
	s_cbranch_execz .LBB62_6
; %bb.3:
	v_subrev_u32_e32 v2, s11, v48
	v_cmp_lt_u32_e32 vcc, 1, v2
	s_mov_b64 s[16:17], 0
	s_mov_b64 s[18:19], 0
	v_cndmask_b32_e32 v10, 1, v2, vcc
	s_mov_b32 s5, s4
	s_mov_b32 s6, s4
	;; [unrolled: 1-line block ×6, first 2 shown]
.LBB62_4:                               ; =>This Inner Loop Header: Depth=1
	s_cmp_lg_u32 s18, 6
	s_cselect_b32 s10, s10, 0
	s_cmp_lg_u32 s18, 5
	s_cselect_b32 s9, s9, 0
	;; [unrolled: 2-line block ×7, first 2 shown]
	s_add_u32 s18, s18, 1
	s_addc_u32 s19, s19, 0
	v_cmp_eq_u32_e32 vcc, s18, v10
	v_mov_b32_e32 v2, s4
	s_or_b64 s[16:17], vcc, s[16:17]
	v_mov_b32_e32 v3, s5
	v_mov_b32_e32 v4, s6
	;; [unrolled: 1-line block ×6, first 2 shown]
	s_andn2_b64 exec, exec, s[16:17]
	s_cbranch_execnz .LBB62_4
; %bb.5:
	s_or_b64 exec, exec, s[16:17]
	v_mov_b32_e32 v48, s11
.LBB62_6:
	s_or_b64 exec, exec, s[14:15]
.LBB62_7:
	s_or_b64 exec, exec, s[2:3]
	s_mul_i32 s48, s12, 7
	s_abs_i32 s2, s48
	v_cvt_f32_u32_e32 v9, s2
	s_sub_i32 s5, 0, s2
	s_abs_i32 s4, s25
	s_ashr_i32 s3, s25, 31
	v_rcp_iflag_f32_e32 v9, v9
	s_nop 0
	v_mul_f32_e32 v9, 0x4f7ffffe, v9
	v_cvt_u32_f32_e32 v9, v9
	s_nop 0
	v_readfirstlane_b32 s6, v9
	s_mul_i32 s5, s5, s6
	s_mul_hi_u32 s5, s6, s5
	s_add_i32 s6, s6, s5
	s_mul_hi_u32 s5, s4, s6
	s_mul_i32 s5, s5, s2
	s_sub_i32 s4, s4, s5
	s_sub_i32 s5, s4, s2
	s_cmp_ge_u32 s4, s2
	s_cselect_b32 s4, s5, s4
	s_sub_i32 s5, s4, s2
	s_cmp_ge_u32 s4, s2
	s_cselect_b32 s2, s5, s4
	s_xor_b32 s2, s2, s3
	s_sub_i32 s2, s2, s3
	s_add_i32 s3, s48, s25
	s_sub_i32 s3, s3, s2
	s_cmp_eq_u32 s2, 0
	s_cselect_b32 s33, s25, s3
	v_cmp_gt_u32_e32 vcc, s33, v48
	s_and_b64 exec, exec, vcc
	s_cbranch_execz .LBB62_162
; %bb.8:
	s_mov_b32 s2, 0
	s_load_dwordx4 s[20:23], s[0:1], 0x8
	s_load_dwordx2 s[26:27], s[0:1], 0x18
	v_cvt_f64_i32_e32 v[10:11], s24
	s_mov_b32 s3, 0x40c50000
	v_min_f64 v[10:11], v[10:11], s[2:3]
	s_cmp_lg_u32 s24, 0
	v_and_b32_e32 v0, 0x3ff, v0
	v_cvt_u32_f64_e32 v10, v[10:11]
	v_lshlrev_b32_e32 v9, 3, v0
	s_cselect_b64 s[2:3], -1, 0
	s_ashr_i32 s29, s24, 31
	s_mov_b32 s28, s24
	v_cmp_eq_u32_e64 s[0:1], 63, v0
	v_lshlrev_b32_e32 v0, 4, v0
	s_lshl_b32 s47, s12, 9
	s_add_i32 s49, s25, -7
	s_lshl_b64 s[30:31], s[28:29], 1
	v_lshl_add_u32 v99, v1, 10, v0
	v_cndmask_b32_e64 v0, 0, 1, s[2:3]
	v_cmp_ne_u32_e32 vcc, 0, v10
	v_readfirstlane_b32 s46, v10
	s_waitcnt lgkmcnt(0)
	s_add_u32 s34, s26, 2
	v_lshl_add_u32 v101, v1, 9, v9
	v_cmp_ne_u32_e64 s[2:3], 1, v0
	v_cndmask_b32_e64 v0, 0, 1, vcc
	s_mul_i32 s48, s48, s13
	s_addc_u32 s35, s27, 0
	v_lshlrev_b32_e32 v98, 2, v10
	s_lshl_b32 s50, s12, 10
	v_lshlrev_b32_e32 v100, 1, v10
	v_lshl_add_u32 v102, s24, 1, v101
	v_add_u32_e32 v103, s24, v101
	s_mov_b64 s[36:37], 0
	v_cmp_ne_u32_e64 s[4:5], 1, v0
	v_mov_b32_e32 v1, 0
	s_lshl_b32 s51, s46, 1
	s_mov_b32 s52, 0x7f800000
	s_movk_i32 s53, 0x7fff
	s_branch .LBB62_12
.LBB62_9:                               ;   in Loop: Header=BB62_12 Depth=1
	s_or_b64 exec, exec, s[10:11]
	v_mov_b32_e32 v48, s49
.LBB62_10:                              ;   in Loop: Header=BB62_12 Depth=1
	s_or_b64 exec, exec, s[8:9]
.LBB62_11:                              ;   in Loop: Header=BB62_12 Depth=1
	s_or_b64 exec, exec, s[38:39]
	v_cmp_le_u32_e32 vcc, s33, v48
	s_or_b64 s[36:37], vcc, s[36:37]
	s_andn2_b64 exec, exec, s[36:37]
	s_cbranch_execz .LBB62_162
.LBB62_12:                              ; =>This Loop Header: Depth=1
                                        ;     Child Loop BB62_16 Depth 2
                                        ;       Child Loop BB62_21 Depth 3
                                        ;     Child Loop BB62_160 Depth 2
	s_mov_b32 s14, 0
	s_and_b64 vcc, exec, s[2:3]
	v_mov_b32_e32 v51, v1
	v_mov_b32_e32 v50, v1
	v_mov_b32_e32 v53, v1
	v_mov_b32_e32 v52, v1
	v_mov_b32_e32 v55, v1
	v_mov_b32_e32 v54, v1
	v_mov_b32_e32 v57, v1
	v_mov_b32_e32 v56, v1
	v_mov_b32_e32 v59, v1
	v_mov_b32_e32 v58, v1
	v_mov_b32_e32 v104, v1
	v_mov_b32_e32 v105, v1
	v_mov_b32_e32 v106, v1
	v_mov_b32_e32 v107, v1
	v_mov_b32_e32 v108, v1
	v_mov_b32_e32 v109, v1
	v_mov_b32_e32 v110, v1
	v_mov_b32_e32 v111, v1
	v_mov_b32_e32 v112, v1
	v_mov_b32_e32 v113, v1
	v_mov_b32_e32 v114, v1
	s_cbranch_vccnz .LBB62_27
; %bb.13:                               ;   in Loop: Header=BB62_12 Depth=1
	v_mov_b32_e32 v114, 0
	v_cmp_gt_u32_e64 s[6:7], s25, v48
	v_mul_lo_u32 v49, v48, s24
	v_mov_b32_e32 v113, 0
	v_mov_b32_e32 v112, 0
	;; [unrolled: 1-line block ×10, first 2 shown]
	s_mov_b32 s15, 0
	v_mov_b32_e32 v58, 0
	v_mov_b32_e32 v59, v114
	;; [unrolled: 1-line block ×10, first 2 shown]
	s_branch .LBB62_16
.LBB62_14:                              ;   in Loop: Header=BB62_16 Depth=2
	s_or_b64 exec, exec, s[10:11]
.LBB62_15:                              ;   in Loop: Header=BB62_16 Depth=2
	s_or_b64 exec, exec, s[8:9]
	s_addk_i32 s15, 0x200
	s_cmp_ge_u32 s15, s24
	s_cbranch_scc1 .LBB62_27
.LBB62_16:                              ;   Parent Loop BB62_12 Depth=1
                                        ; =>  This Loop Header: Depth=2
                                        ;       Child Loop BB62_21 Depth 3
	s_cmp_eq_u32 s15, 0
	s_cselect_b64 s[8:9], -1, 0
	s_add_i32 s10, s14, s46
	s_cmp_eq_u32 s15, s10
	s_cselect_b64 s[12:13], -1, 0
	s_or_b64 s[12:13], s[8:9], s[12:13]
	s_andn2_b64 vcc, exec, s[12:13]
	s_cbranch_vccz .LBB62_18
; %bb.17:                               ;   in Loop: Header=BB62_16 Depth=2
	s_and_saveexec_b64 s[8:9], s[6:7]
	s_cbranch_execz .LBB62_15
	s_branch .LBB62_25
.LBB62_18:                              ;   in Loop: Header=BB62_16 Depth=2
	s_and_b64 s[8:9], s[8:9], exec
	s_cselect_b32 s14, s14, s10
	s_and_b64 vcc, exec, s[4:5]
	s_barrier
	s_cbranch_vccnz .LBB62_24
; %bb.19:                               ;   in Loop: Header=BB62_16 Depth=2
	v_add_u32_e32 v10, s14, v102
	v_add_u32_e32 v11, s14, v103
	;; [unrolled: 1-line block ×3, first 2 shown]
	s_mov_b32 s16, 0
	s_mov_b64 s[10:11], 0
	v_mov_b32_e32 v13, v99
                                        ; implicit-def: $sgpr12_sgpr13
	s_branch .LBB62_21
.LBB62_20:                              ;   in Loop: Header=BB62_21 Depth=3
	s_or_b64 exec, exec, s[8:9]
	s_and_b64 s[8:9], exec, s[12:13]
	s_or_b64 s[10:11], s[8:9], s[10:11]
	s_andn2_b64 exec, exec, s[10:11]
	s_cbranch_execz .LBB62_23
.LBB62_21:                              ;   Parent Loop BB62_12 Depth=1
                                        ;     Parent Loop BB62_16 Depth=2
                                        ; =>    This Inner Loop Header: Depth=3
	v_add_u32_e32 v14, s16, v101
	v_add_u32_e32 v0, s16, v12
	v_cmp_gt_u32_e32 vcc, s24, v0
	v_cmp_gt_u32_e64 s[8:9], s46, v14
	s_and_b64 s[18:19], vcc, s[8:9]
	s_or_b64 s[12:13], s[12:13], exec
	s_and_saveexec_b64 s[8:9], s[18:19]
	s_cbranch_execz .LBB62_20
; %bb.22:                               ;   in Loop: Header=BB62_21 Depth=3
	v_lshl_add_u64 v[22:23], v[0:1], 1, s[22:23]
	v_add_u32_e32 v0, s16, v11
	v_lshl_add_u64 v[24:25], v[0:1], 1, s[22:23]
	v_add_u32_e32 v0, s16, v10
	global_load_dwordx4 v[14:17], v[22:23], off
	global_load_dwordx4 v[18:21], v[24:25], off
	v_lshl_add_u64 v[22:23], v[0:1], 1, s[22:23]
	global_load_dwordx4 v[22:25], v[22:23], off
	s_add_i32 s16, s16, s47
	s_cmp_ge_u32 s16, s46
	s_cselect_b64 s[18:19], -1, 0
	s_andn2_b64 s[12:13], s[12:13], exec
	s_and_b64 s[18:19], s[18:19], exec
	v_add_u32_e32 v0, v13, v100
	v_add_u32_e32 v26, v13, v98
	s_or_b64 s[12:13], s[12:13], s[18:19]
	s_waitcnt vmcnt(2)
	ds_write_b128 v13, v[14:17]
	v_add_u32_e32 v13, s50, v13
	s_waitcnt vmcnt(1)
	ds_write2_b64 v0, v[18:19], v[20:21] offset1:1
	s_waitcnt vmcnt(0)
	ds_write2_b32 v26, v22, v23 offset1:1
	ds_write2_b32 v26, v24, v25 offset0:2 offset1:3
	s_branch .LBB62_20
.LBB62_23:                              ;   in Loop: Header=BB62_16 Depth=2
	s_or_b64 exec, exec, s[10:11]
.LBB62_24:                              ;   in Loop: Header=BB62_16 Depth=2
	s_waitcnt lgkmcnt(0)
	s_barrier
	s_and_saveexec_b64 s[8:9], s[6:7]
	s_cbranch_execz .LBB62_15
.LBB62_25:                              ;   in Loop: Header=BB62_16 Depth=2
	v_add_u32_e32 v10, s15, v9
	v_cmp_gt_u32_e32 vcc, s24, v10
	s_and_saveexec_b64 s[10:11], vcc
	s_cbranch_execz .LBB62_14
; %bb.26:                               ;   in Loop: Header=BB62_16 Depth=2
	v_add_u32_e32 v0, v10, v49
	v_lshl_add_u64 v[12:13], v[0:1], 1, s[20:21]
	global_load_dwordx4 v[44:47], v[12:13], off nt
	v_lshl_add_u64 v[12:13], s[28:29], 1, v[12:13]
	global_load_dwordx4 v[40:43], v[12:13], off nt
	;; [unrolled: 2-line block ×4, first 2 shown]
	v_lshl_add_u64 v[12:13], v[12:13], 0, s[30:31]
	v_lshl_add_u64 v[14:15], v[12:13], 0, s[30:31]
	global_load_dwordx4 v[28:31], v[12:13], off nt
	global_load_dwordx4 v[24:27], v[14:15], off nt
	v_subrev_u32_e32 v0, s14, v10
	v_lshlrev_b32_e32 v0, 1, v0
	v_add_u32_e32 v10, s51, v0
	ds_read_b128 v[16:19], v0
	ds_read_b128 v[20:23], v10
	v_lshl_add_u64 v[14:15], v[14:15], 0, s[30:31]
	v_add_u32_e32 v0, s51, v10
	ds_read_b128 v[10:13], v0
	s_waitcnt lgkmcnt(2)
	v_lshlrev_b32_e32 v70, 16, v16
	v_and_b32_e32 v72, 0xffff0000, v16
	v_lshlrev_b32_e32 v74, 16, v17
	v_and_b32_e32 v76, 0xffff0000, v17
	global_load_dwordx4 v[14:17], v[14:15], off nt
	s_waitcnt lgkmcnt(1)
	v_and_b32_e32 v73, 0xffff0000, v20
	v_lshlrev_b32_e32 v71, 16, v20
	v_and_b32_e32 v77, 0xffff0000, v21
	v_and_b32_e32 v88, 0xffff0000, v18
	v_lshlrev_b32_e32 v75, 16, v21
	v_and_b32_e32 v89, 0xffff0000, v22
	v_lshlrev_b32_e32 v84, 16, v18
	v_lshlrev_b32_e32 v85, 16, v22
	v_and_b32_e32 v22, 0xffff0000, v19
	s_waitcnt lgkmcnt(0)
	v_and_b32_e32 v121, 0xffff0000, v11
	v_and_b32_e32 v123, 0xffff0000, v12
	s_waitcnt vmcnt(6)
	v_and_b32_e32 v82, 0xffff0000, v44
	v_lshlrev_b32_e32 v86, 16, v44
	s_waitcnt vmcnt(5)
	v_and_b32_e32 v83, 0xffff0000, v40
	v_and_b32_e32 v62, 0xffff0000, v45
	v_lshlrev_b32_e32 v87, 16, v40
	v_and_b32_e32 v63, 0xffff0000, v41
	v_pk_mul_f32 v[78:79], v[72:73], v[82:83] op_sel_hi:[0,1]
	v_lshlrev_b32_e32 v64, 16, v45
	v_lshlrev_b32_e32 v60, 16, v46
	v_and_b32_e32 v46, 0xffff0000, v46
	v_lshlrev_b32_e32 v44, 16, v47
	v_and_b32_e32 v20, 0xffff0000, v47
	;; [unrolled: 2-line block ×3, first 2 shown]
	v_pk_mul_f32 v[80:81], v[76:77], v[62:63] op_sel_hi:[0,1]
	v_pk_fma_f32 v[116:117], v[70:71], v[86:87], v[78:79] op_sel_hi:[0,1,1]
	v_lshlrev_b32_e32 v61, 16, v42
	v_lshlrev_b32_e32 v45, 16, v43
	v_and_b32_e32 v21, 0xffff0000, v43
	s_waitcnt vmcnt(4)
	v_lshlrev_b32_e32 v92, 16, v36
	v_and_b32_e32 v90, 0xffff0000, v36
	v_lshlrev_b32_e32 v68, 16, v37
	v_and_b32_e32 v66, 0xffff0000, v37
	v_lshlrev_b32_e32 v42, 16, v38
	v_and_b32_e32 v40, 0xffff0000, v38
	v_lshlrev_b32_e32 v38, 16, v39
	v_and_b32_e32 v36, 0xffff0000, v39
	s_waitcnt vmcnt(3)
	v_lshlrev_b32_e32 v93, 16, v32
	v_and_b32_e32 v91, 0xffff0000, v32
	v_lshlrev_b32_e32 v69, 16, v33
	v_and_b32_e32 v67, 0xffff0000, v33
	;; [unrolled: 2-line block ×4, first 2 shown]
	v_pk_fma_f32 v[118:119], v[74:75], v[64:65], v[80:81] op_sel_hi:[0,1,1]
	s_waitcnt vmcnt(2)
	v_lshlrev_b32_e32 v96, 16, v28
	v_and_b32_e32 v94, 0xffff0000, v28
	v_lshlrev_b32_e32 v80, 16, v29
	v_and_b32_e32 v78, 0xffff0000, v29
	;; [unrolled: 2-line block ×4, first 2 shown]
	v_pk_add_f32 v[58:59], v[58:59], v[116:117]
	s_waitcnt vmcnt(1)
	v_lshlrev_b32_e32 v35, 16, v26
	v_and_b32_e32 v33, 0xffff0000, v26
	v_lshlrev_b32_e32 v31, 16, v27
	v_and_b32_e32 v29, 0xffff0000, v27
	v_pk_mul_f32 v[26:27], v[88:89], v[46:47] op_sel_hi:[0,1]
	v_lshlrev_b32_e32 v97, 16, v24
	v_and_b32_e32 v95, 0xffff0000, v24
	v_lshlrev_b32_e32 v81, 16, v25
	v_and_b32_e32 v79, 0xffff0000, v25
	v_pk_add_f32 v[24:25], v[58:59], v[118:119]
	v_pk_fma_f32 v[26:27], v[84:85], v[60:61], v[26:27] op_sel_hi:[0,1,1]
	v_pk_add_f32 v[26:27], v[24:25], v[26:27]
	v_lshlrev_b32_e32 v25, 16, v23
	v_and_b32_e32 v23, 0xffff0000, v23
	v_lshlrev_b32_e32 v24, 16, v19
	v_pk_mul_f32 v[18:19], v[22:23], v[20:21] op_sel_hi:[0,1]
	v_pk_fma_f32 v[18:19], v[24:25], v[44:45], v[18:19] op_sel_hi:[0,1,1]
	v_pk_add_f32 v[58:59], v[26:27], v[18:19]
	v_pk_mul_f32 v[18:19], v[72:73], v[90:91] op_sel_hi:[0,1]
	v_pk_fma_f32 v[18:19], v[70:71], v[92:93], v[18:19] op_sel_hi:[0,1,1]
	v_pk_mul_f32 v[26:27], v[76:77], v[66:67] op_sel_hi:[0,1]
	v_pk_add_f32 v[18:19], v[56:57], v[18:19]
	v_pk_fma_f32 v[26:27], v[74:75], v[68:69], v[26:27] op_sel_hi:[0,1,1]
	v_pk_add_f32 v[18:19], v[18:19], v[26:27]
	v_pk_mul_f32 v[26:27], v[88:89], v[40:41] op_sel_hi:[0,1]
	v_pk_fma_f32 v[26:27], v[84:85], v[42:43], v[26:27] op_sel_hi:[0,1,1]
	v_pk_add_f32 v[18:19], v[18:19], v[26:27]
	v_pk_mul_f32 v[26:27], v[22:23], v[36:37] op_sel_hi:[0,1]
	;; [unrolled: 3-line block ×3, first 2 shown]
	v_pk_fma_f32 v[18:19], v[70:71], v[96:97], v[18:19] op_sel_hi:[0,1,1]
	v_pk_mul_f32 v[26:27], v[76:77], v[78:79] op_sel_hi:[0,1]
	v_pk_add_f32 v[18:19], v[54:55], v[18:19]
	v_pk_fma_f32 v[26:27], v[74:75], v[80:81], v[26:27] op_sel_hi:[0,1,1]
	v_pk_add_f32 v[18:19], v[18:19], v[26:27]
	v_pk_mul_f32 v[26:27], v[88:89], v[32:33] op_sel_hi:[0,1]
	v_pk_fma_f32 v[26:27], v[84:85], v[34:35], v[26:27] op_sel_hi:[0,1,1]
	v_pk_add_f32 v[18:19], v[18:19], v[26:27]
	v_pk_mul_f32 v[26:27], v[22:23], v[28:29] op_sel_hi:[0,1]
	v_pk_fma_f32 v[26:27], v[24:25], v[30:31], v[26:27] op_sel_hi:[0,1,1]
	v_pk_add_f32 v[54:55], v[18:19], v[26:27]
	v_mul_f32_e32 v27, v71, v97
	v_mul_f32_e32 v0, v71, v87
	v_fmac_f32_e32 v27, v73, v95
	v_fmac_f32_e32 v0, v73, v83
	v_add_f32_e32 v27, v110, v27
	v_mul_f32_e32 v110, v75, v65
	v_add_f32_e32 v0, v114, v0
	v_mul_f32_e32 v18, v71, v92
	v_fmac_f32_e32 v110, v77, v63
	v_fmac_f32_e32 v18, v73, v90
	v_add_f32_e32 v0, v0, v110
	v_mul_f32_e32 v110, v75, v68
	v_add_f32_e32 v18, v113, v18
	;; [unrolled: 6-line block ×4, first 2 shown]
	v_fmac_f32_e32 v110, v77, v78
	v_add_f32_e32 v26, v26, v110
	v_mul_f32_e32 v110, v75, v81
	v_fmac_f32_e32 v110, v77, v79
	v_add_f32_e32 v27, v27, v110
	v_mul_f32_e32 v110, v85, v61
	;; [unrolled: 3-line block ×11, first 2 shown]
	s_waitcnt vmcnt(0)
	v_and_b32_e32 v116, 0xffff0000, v14
	v_fmac_f32_e32 v0, v23, v29
	v_lshlrev_b32_e32 v18, 16, v14
	v_mov_b32_e32 v118, v116
	v_mov_b32_e32 v119, v82
	v_add_f32_e32 v110, v27, v0
	v_mov_b32_e32 v26, v18
	v_mov_b32_e32 v27, v86
	v_pk_mul_f32 v[118:119], v[118:119], v[72:73]
	v_and_b32_e32 v120, 0xffff0000, v15
	v_lshlrev_b32_e32 v19, 16, v10
	v_and_b32_e32 v117, 0xffff0000, v10
	v_pk_fma_f32 v[26:27], v[26:27], v[70:71], v[118:119]
	v_lshlrev_b32_e32 v119, 16, v11
	v_lshlrev_b32_e32 v118, 16, v15
	v_mov_b32_e32 v10, v120
	v_mov_b32_e32 v11, v62
	v_pk_add_f32 v[26:27], v[52:53], v[26:27]
	v_mov_b32_e32 v52, v118
	v_mov_b32_e32 v53, v64
	v_pk_mul_f32 v[10:11], v[10:11], v[76:77]
	v_and_b32_e32 v122, 0xffff0000, v16
	v_pk_fma_f32 v[10:11], v[52:53], v[74:75], v[10:11]
	v_lshlrev_b32_e32 v14, 16, v16
	v_mov_b32_e32 v52, v122
	v_mov_b32_e32 v53, v46
	v_pk_add_f32 v[10:11], v[26:27], v[10:11]
	v_mov_b32_e32 v26, v14
	v_mov_b32_e32 v27, v60
	v_pk_mul_f32 v[52:53], v[52:53], v[88:89]
	v_lshlrev_b32_e32 v15, 16, v12
	v_pk_fma_f32 v[26:27], v[26:27], v[84:85], v[52:53]
	v_and_b32_e32 v12, 0xffff0000, v17
	v_pk_add_f32 v[26:27], v[10:11], v[26:27]
	v_lshlrev_b32_e32 v10, 16, v17
	v_mov_b32_e32 v16, v12
	v_mov_b32_e32 v17, v20
	;; [unrolled: 1-line block ×4, first 2 shown]
	v_pk_mul_f32 v[16:17], v[16:17], v[22:23]
	v_lshlrev_b32_e32 v11, 16, v13
	v_pk_fma_f32 v[16:17], v[52:53], v[24:25], v[16:17]
	v_and_b32_e32 v13, 0xffff0000, v13
	v_pk_add_f32 v[52:53], v[26:27], v[16:17]
	v_mov_b32_e32 v26, v73
	v_mov_b32_e32 v27, v82
	;; [unrolled: 1-line block ×4, first 2 shown]
	v_pk_mul_f32 v[26:27], v[26:27], v[116:117]
	v_mov_b32_e32 v22, v23
	v_pk_fma_f32 v[16:17], v[16:17], v[18:19], v[26:27]
	v_mov_b32_e32 v26, v75
	v_pk_add_f32 v[16:17], v[50:51], v[16:17]
	v_mov_b32_e32 v50, v77
	v_mov_b32_e32 v51, v62
	;; [unrolled: 1-line block ×3, first 2 shown]
	v_pk_mul_f32 v[50:51], v[50:51], v[120:121]
	v_mov_b32_e32 v23, v20
	v_pk_fma_f32 v[26:27], v[26:27], v[118:119], v[50:51]
	v_mov_b32_e32 v50, v89
	v_mov_b32_e32 v51, v46
	v_pk_add_f32 v[16:17], v[16:17], v[26:27]
	v_mov_b32_e32 v26, v85
	v_mov_b32_e32 v27, v60
	v_pk_mul_f32 v[50:51], v[50:51], v[122:123]
	v_mov_b32_e32 v24, v25
	v_pk_fma_f32 v[26:27], v[26:27], v[14:15], v[50:51]
	v_mov_b32_e32 v25, v44
	v_pk_mul_f32 v[22:23], v[22:23], v[12:13]
	v_mul_f32_e32 v0, v19, v87
	v_pk_add_f32 v[16:17], v[16:17], v[26:27]
	v_pk_fma_f32 v[22:23], v[24:25], v[10:11], v[22:23]
	v_fmac_f32_e32 v0, v117, v83
	v_mul_f32_e32 v20, v19, v92
	v_mul_f32_e32 v24, v19, v93
	;; [unrolled: 1-line block ×6, first 2 shown]
	v_add_f32_e32 v0, v109, v0
	v_fmac_f32_e32 v19, v121, v63
	v_fmac_f32_e32 v20, v117, v90
	v_add_f32_e32 v0, v0, v19
	v_mul_f32_e32 v19, v119, v68
	v_add_f32_e32 v20, v108, v20
	v_fmac_f32_e32 v19, v121, v66
	v_fmac_f32_e32 v24, v117, v91
	v_add_f32_e32 v19, v20, v19
	v_mul_f32_e32 v20, v119, v69
	;; [unrolled: 5-line block ×5, first 2 shown]
	v_add_f32_e32 v18, v104, v18
	v_fmac_f32_e32 v26, v121, v120
	v_add_f32_e32 v18, v18, v26
	v_mul_f32_e32 v26, v15, v61
	v_fmac_f32_e32 v26, v123, v47
	v_add_f32_e32 v0, v0, v26
	v_mul_f32_e32 v26, v15, v42
	v_fmac_f32_e32 v26, v123, v40
	v_add_f32_e32 v19, v19, v26
	v_mul_f32_e32 v26, v15, v43
	v_fmac_f32_e32 v26, v123, v41
	v_add_f32_e32 v20, v20, v26
	v_mul_f32_e32 v26, v15, v34
	v_fmac_f32_e32 v26, v123, v32
	v_add_f32_e32 v24, v24, v26
	v_mul_f32_e32 v26, v15, v35
	v_mul_f32_e32 v14, v15, v14
	v_mul_f32_e32 v15, v11, v45
	v_fmac_f32_e32 v15, v13, v21
	v_add_f32_e32 v109, v0, v15
	v_mul_f32_e32 v0, v11, v38
	v_fmac_f32_e32 v0, v13, v36
	v_add_f32_e32 v108, v19, v0
	;; [unrolled: 3-line block ×3, first 2 shown]
	v_mul_f32_e32 v0, v11, v30
	v_fmac_f32_e32 v0, v13, v28
	v_fmac_f32_e32 v26, v123, v33
	v_add_f32_e32 v106, v24, v0
	v_mul_f32_e32 v0, v11, v31
	v_add_f32_e32 v25, v25, v26
	v_fmac_f32_e32 v0, v13, v29
	v_fmac_f32_e32 v14, v123, v122
	v_add_f32_e32 v105, v25, v0
	v_mul_f32_e32 v0, v11, v10
	v_add_f32_e32 v14, v18, v14
	v_fmac_f32_e32 v0, v13, v12
	v_pk_add_f32 v[50:51], v[16:17], v[22:23]
	v_add_f32_e32 v104, v14, v0
	s_branch .LBB62_14
.LBB62_27:                              ;   in Loop: Header=BB62_12 Depth=1
	v_cmp_le_u32_e32 vcc, s25, v48
	s_and_saveexec_b64 s[6:7], vcc
	s_xor_b64 s[6:7], exec, s[6:7]
; %bb.28:                               ;   in Loop: Header=BB62_12 Depth=1
	v_add_u32_e32 v48, s48, v48
                                        ; implicit-def: $vgpr51
                                        ; implicit-def: $vgpr53
                                        ; implicit-def: $vgpr55
                                        ; implicit-def: $vgpr57
                                        ; implicit-def: $vgpr59
                                        ; implicit-def: $vgpr104
                                        ; implicit-def: $vgpr105
                                        ; implicit-def: $vgpr106
                                        ; implicit-def: $vgpr107
                                        ; implicit-def: $vgpr108
                                        ; implicit-def: $vgpr109
                                        ; implicit-def: $vgpr110
                                        ; implicit-def: $vgpr111
                                        ; implicit-def: $vgpr112
                                        ; implicit-def: $vgpr113
                                        ; implicit-def: $vgpr114
; %bb.29:                               ;   in Loop: Header=BB62_12 Depth=1
	s_andn2_saveexec_b64 s[38:39], s[6:7]
	s_cbranch_execz .LBB62_11
; %bb.30:                               ;   in Loop: Header=BB62_12 Depth=1
	;;#ASMSTART
	s_nop 0
	v_add_f32 v58, v58, v58 row_shr:8 bound_ctrl:0 
	;;#ASMEND
	;;#ASMSTART
	s_nop 0
	v_add_f32 v59, v59, v59 row_shr:8 bound_ctrl:0 
	;;#ASMEND
	;;#ASMSTART
	s_nop 0
	v_add_f32 v56, v56, v56 row_shr:8 bound_ctrl:0 
	;;#ASMEND
	;;#ASMSTART
	s_nop 0
	v_add_f32 v57, v57, v57 row_shr:8 bound_ctrl:0 
	;;#ASMEND
	;;#ASMSTART
	s_nop 0
	v_add_f32 v54, v54, v54 row_shr:8 bound_ctrl:0 
	;;#ASMEND
	;;#ASMSTART
	s_nop 0
	v_add_f32 v55, v55, v55 row_shr:8 bound_ctrl:0 
	;;#ASMEND
	;;#ASMSTART
	s_nop 0
	v_add_f32 v52, v52, v52 row_shr:8 bound_ctrl:0 
	;;#ASMEND
	;;#ASMSTART
	s_nop 0
	v_add_f32 v53, v53, v53 row_shr:8 bound_ctrl:0 
	;;#ASMEND
	;;#ASMSTART
	s_nop 0
	v_add_f32 v114, v114, v114 row_shr:8 bound_ctrl:0 
	;;#ASMEND
	;;#ASMSTART
	s_nop 0
	v_add_f32 v113, v113, v113 row_shr:8 bound_ctrl:0 
	;;#ASMEND
	;;#ASMSTART
	s_nop 0
	v_add_f32 v112, v112, v112 row_shr:8 bound_ctrl:0 
	;;#ASMEND
	;;#ASMSTART
	s_nop 0
	v_add_f32 v111, v111, v111 row_shr:8 bound_ctrl:0 
	;;#ASMEND
	;;#ASMSTART
	s_nop 0
	v_add_f32 v110, v110, v110 row_shr:8 bound_ctrl:0 
	;;#ASMEND
	;;#ASMSTART
	s_nop 0
	v_add_f32 v50, v50, v50 row_shr:8 bound_ctrl:0 
	;;#ASMEND
	;;#ASMSTART
	s_nop 0
	v_add_f32 v51, v51, v51 row_shr:8 bound_ctrl:0 
	;;#ASMEND
	;;#ASMSTART
	s_nop 0
	v_add_f32 v109, v109, v109 row_shr:8 bound_ctrl:0 
	;;#ASMEND
	;;#ASMSTART
	s_nop 0
	v_add_f32 v108, v108, v108 row_shr:8 bound_ctrl:0 
	;;#ASMEND
	;;#ASMSTART
	s_nop 0
	v_add_f32 v107, v107, v107 row_shr:8 bound_ctrl:0 
	;;#ASMEND
	;;#ASMSTART
	s_nop 0
	v_add_f32 v106, v106, v106 row_shr:8 bound_ctrl:0 
	;;#ASMEND
	;;#ASMSTART
	s_nop 0
	v_add_f32 v105, v105, v105 row_shr:8 bound_ctrl:0 
	;;#ASMEND
	;;#ASMSTART
	s_nop 0
	v_add_f32 v104, v104, v104 row_shr:8 bound_ctrl:0 
	;;#ASMEND
	s_nop 0
	;;#ASMSTART
	s_nop 0
	v_add_f32 v58, v58, v58 row_shr:4 bound_ctrl:0 
	;;#ASMEND
	;;#ASMSTART
	s_nop 0
	v_add_f32 v59, v59, v59 row_shr:4 bound_ctrl:0 
	;;#ASMEND
	;; [unrolled: 4-line block ×21, first 2 shown]
	s_nop 0
	;;#ASMSTART
	s_nop 0
	v_add_f32 v58, v58, v58 row_shr:2 bound_ctrl:0 
	;;#ASMEND
	;;#ASMSTART
	s_nop 0
	v_add_f32 v59, v59, v59 row_shr:2 bound_ctrl:0 
	;;#ASMEND
	;; [unrolled: 4-line block ×21, first 2 shown]
	s_nop 0
	;;#ASMSTART
	s_nop 0
	v_add_f32 v58, v58, v58 wave_shr:1 bound_ctrl:0
	;;#ASMEND
	;;#ASMSTART
	s_nop 0
	v_add_f32 v59, v59, v59 wave_shr:1 bound_ctrl:0
	;;#ASMEND
	;; [unrolled: 4-line block ×21, first 2 shown]
	s_nop 0
	;;#ASMSTART
	s_nop 0
	v_add_f32 v58, v58, v58 row_bcast:15 bound_ctrl:0
	;;#ASMEND
	;;#ASMSTART
	s_nop 0
	v_add_f32 v59, v59, v59 row_bcast:15 bound_ctrl:0
	;;#ASMEND
	;; [unrolled: 4-line block ×21, first 2 shown]
	s_nop 0
	;;#ASMSTART
	s_nop 0
	v_add_f32 v58, v58, v58 row_bcast:31 bound_ctrl:0
	;;#ASMEND
	;;#ASMSTART
	s_nop 0
	v_add_f32 v59, v59, v59 row_bcast:31 bound_ctrl:0
	;;#ASMEND
	;; [unrolled: 4-line block ×21, first 2 shown]
	s_and_saveexec_b64 s[40:41], s[0:1]
	s_cbranch_execz .LBB62_157
; %bb.31:                               ;   in Loop: Header=BB62_12 Depth=1
	v_cmp_ne_u32_e32 vcc, 0, v2
	s_and_saveexec_b64 s[8:9], vcc
	s_cbranch_execnz .LBB62_52
; %bb.32:                               ;   in Loop: Header=BB62_12 Depth=1
	s_or_b64 exec, exec, s[8:9]
	v_cmp_ne_u32_e64 s[6:7], 0, v3
	s_and_saveexec_b64 s[10:11], s[6:7]
	s_cbranch_execnz .LBB62_57
.LBB62_33:                              ;   in Loop: Header=BB62_12 Depth=1
	s_or_b64 exec, exec, s[10:11]
	v_cmp_ne_u32_e64 s[8:9], 0, v4
	s_and_saveexec_b64 s[12:13], s[8:9]
	s_cbranch_execnz .LBB62_62
.LBB62_34:                              ;   in Loop: Header=BB62_12 Depth=1
	s_or_b64 exec, exec, s[12:13]
	v_cmp_ne_u32_e64 s[10:11], 0, v5
	s_and_saveexec_b64 s[14:15], s[10:11]
	s_cbranch_execnz .LBB62_67
.LBB62_35:                              ;   in Loop: Header=BB62_12 Depth=1
	s_or_b64 exec, exec, s[14:15]
	v_cmp_ne_u32_e64 s[12:13], 0, v6
	s_and_saveexec_b64 s[16:17], s[12:13]
	s_cbranch_execnz .LBB62_72
.LBB62_36:                              ;   in Loop: Header=BB62_12 Depth=1
	s_or_b64 exec, exec, s[16:17]
	v_cmp_ne_u32_e64 s[14:15], 0, v7
	s_and_saveexec_b64 s[18:19], s[14:15]
	s_cbranch_execnz .LBB62_77
.LBB62_37:                              ;   in Loop: Header=BB62_12 Depth=1
	s_or_b64 exec, exec, s[18:19]
	v_cmp_ne_u32_e64 s[16:17], 0, v8
	s_and_saveexec_b64 s[42:43], s[16:17]
	s_cbranch_execnz .LBB62_82
.LBB62_38:                              ;   in Loop: Header=BB62_12 Depth=1
	s_or_b64 exec, exec, s[42:43]
	v_add_u32_e32 v0, s25, v48
	s_and_saveexec_b64 s[42:43], vcc
	s_cbranch_execnz .LBB62_87
.LBB62_39:                              ;   in Loop: Header=BB62_12 Depth=1
	s_or_b64 exec, exec, s[42:43]
	s_and_saveexec_b64 s[42:43], s[6:7]
	s_cbranch_execnz .LBB62_92
.LBB62_40:                              ;   in Loop: Header=BB62_12 Depth=1
	s_or_b64 exec, exec, s[42:43]
	s_and_saveexec_b64 s[42:43], s[8:9]
	s_cbranch_execnz .LBB62_97
.LBB62_41:                              ;   in Loop: Header=BB62_12 Depth=1
	s_or_b64 exec, exec, s[42:43]
	s_and_saveexec_b64 s[42:43], s[10:11]
	s_cbranch_execnz .LBB62_102
.LBB62_42:                              ;   in Loop: Header=BB62_12 Depth=1
	s_or_b64 exec, exec, s[42:43]
	s_and_saveexec_b64 s[42:43], s[12:13]
	s_cbranch_execnz .LBB62_107
.LBB62_43:                              ;   in Loop: Header=BB62_12 Depth=1
	s_or_b64 exec, exec, s[42:43]
	s_and_saveexec_b64 s[42:43], s[14:15]
	s_cbranch_execnz .LBB62_112
.LBB62_44:                              ;   in Loop: Header=BB62_12 Depth=1
	s_or_b64 exec, exec, s[42:43]
	s_and_saveexec_b64 s[42:43], s[16:17]
	s_cbranch_execnz .LBB62_117
.LBB62_45:                              ;   in Loop: Header=BB62_12 Depth=1
	s_or_b64 exec, exec, s[42:43]
	v_add_u32_e32 v0, s25, v0
	s_and_saveexec_b64 s[18:19], vcc
	s_cbranch_execnz .LBB62_122
.LBB62_46:                              ;   in Loop: Header=BB62_12 Depth=1
	s_or_b64 exec, exec, s[18:19]
	s_and_saveexec_b64 s[18:19], s[6:7]
	s_cbranch_execnz .LBB62_127
.LBB62_47:                              ;   in Loop: Header=BB62_12 Depth=1
	s_or_b64 exec, exec, s[18:19]
	s_and_saveexec_b64 s[6:7], s[8:9]
	s_cbranch_execnz .LBB62_132
.LBB62_48:                              ;   in Loop: Header=BB62_12 Depth=1
	s_or_b64 exec, exec, s[6:7]
	s_and_saveexec_b64 s[6:7], s[10:11]
	s_cbranch_execnz .LBB62_137
.LBB62_49:                              ;   in Loop: Header=BB62_12 Depth=1
	s_or_b64 exec, exec, s[6:7]
	s_and_saveexec_b64 s[6:7], s[12:13]
	s_cbranch_execnz .LBB62_142
.LBB62_50:                              ;   in Loop: Header=BB62_12 Depth=1
	s_or_b64 exec, exec, s[6:7]
	s_and_saveexec_b64 s[6:7], s[14:15]
	s_cbranch_execnz .LBB62_147
.LBB62_51:                              ;   in Loop: Header=BB62_12 Depth=1
	s_or_b64 exec, exec, s[6:7]
	s_and_b64 exec, exec, s[16:17]
	s_cbranch_execnz .LBB62_152
	s_branch .LBB62_157
.LBB62_52:                              ;   in Loop: Header=BB62_12 Depth=1
	v_and_b32_e32 v0, 0x7f800000, v58
	v_cmp_ne_u32_e64 s[6:7], s52, v0
                                        ; implicit-def: $vgpr0
	s_and_saveexec_b64 s[10:11], s[6:7]
	s_xor_b64 s[6:7], exec, s[10:11]
; %bb.53:                               ;   in Loop: Header=BB62_12 Depth=1
	v_bfe_u32 v0, v58, 16, 1
	v_add3_u32 v0, v58, v0, s53
; %bb.54:                               ;   in Loop: Header=BB62_12 Depth=1
	s_andn2_saveexec_b64 s[10:11], s[6:7]
; %bb.55:                               ;   in Loop: Header=BB62_12 Depth=1
	v_or_b32_e32 v0, 0x10000, v58
	v_cmp_eq_u32_sdwa s[6:7], v58, v1 src0_sel:WORD_0 src1_sel:DWORD
	s_nop 1
	v_cndmask_b32_e64 v0, v0, v58, s[6:7]
; %bb.56:                               ;   in Loop: Header=BB62_12 Depth=1
	s_or_b64 exec, exec, s[10:11]
	v_mov_b32_e32 v49, v1
	v_lshl_add_u64 v[10:11], v[48:49], 1, s[26:27]
	global_store_short_d16_hi v[10:11], v0, off
	s_or_b64 exec, exec, s[8:9]
	v_cmp_ne_u32_e64 s[6:7], 0, v3
	s_and_saveexec_b64 s[10:11], s[6:7]
	s_cbranch_execz .LBB62_33
.LBB62_57:                              ;   in Loop: Header=BB62_12 Depth=1
	v_and_b32_e32 v0, 0x7f800000, v59
	v_cmp_ne_u32_e64 s[8:9], s52, v0
                                        ; implicit-def: $vgpr0
	s_and_saveexec_b64 s[12:13], s[8:9]
	s_xor_b64 s[8:9], exec, s[12:13]
; %bb.58:                               ;   in Loop: Header=BB62_12 Depth=1
	v_bfe_u32 v0, v59, 16, 1
	v_add3_u32 v0, v59, v0, s53
                                        ; implicit-def: $vgpr59
; %bb.59:                               ;   in Loop: Header=BB62_12 Depth=1
	s_andn2_saveexec_b64 s[12:13], s[8:9]
; %bb.60:                               ;   in Loop: Header=BB62_12 Depth=1
	v_or_b32_e32 v0, 0x10000, v59
	v_cmp_eq_u32_sdwa s[8:9], v59, v1 src0_sel:WORD_0 src1_sel:DWORD
	s_nop 1
	v_cndmask_b32_e64 v0, v0, v59, s[8:9]
; %bb.61:                               ;   in Loop: Header=BB62_12 Depth=1
	s_or_b64 exec, exec, s[12:13]
	v_mov_b32_e32 v49, v1
	v_lshl_add_u64 v[10:11], v[48:49], 1, s[34:35]
	global_store_short_d16_hi v[10:11], v0, off
	s_or_b64 exec, exec, s[10:11]
	v_cmp_ne_u32_e64 s[8:9], 0, v4
	s_and_saveexec_b64 s[12:13], s[8:9]
	s_cbranch_execz .LBB62_34
.LBB62_62:                              ;   in Loop: Header=BB62_12 Depth=1
	v_and_b32_e32 v0, 0x7f800000, v56
	v_cmp_ne_u32_e64 s[10:11], s52, v0
                                        ; implicit-def: $vgpr10
	s_and_saveexec_b64 s[14:15], s[10:11]
	s_xor_b64 s[10:11], exec, s[14:15]
; %bb.63:                               ;   in Loop: Header=BB62_12 Depth=1
	v_bfe_u32 v0, v56, 16, 1
	v_add3_u32 v10, v56, v0, s53
; %bb.64:                               ;   in Loop: Header=BB62_12 Depth=1
	s_andn2_saveexec_b64 s[14:15], s[10:11]
; %bb.65:                               ;   in Loop: Header=BB62_12 Depth=1
	v_or_b32_e32 v0, 0x10000, v56
	v_cmp_eq_u32_sdwa s[10:11], v56, v1 src0_sel:WORD_0 src1_sel:DWORD
	s_nop 1
	v_cndmask_b32_e64 v10, v0, v56, s[10:11]
; %bb.66:                               ;   in Loop: Header=BB62_12 Depth=1
	s_or_b64 exec, exec, s[14:15]
	v_add_u32_e32 v0, 2, v48
	v_lshl_add_u64 v[12:13], v[0:1], 1, s[26:27]
	global_store_short_d16_hi v[12:13], v10, off
	s_or_b64 exec, exec, s[12:13]
	v_cmp_ne_u32_e64 s[10:11], 0, v5
	s_and_saveexec_b64 s[14:15], s[10:11]
	s_cbranch_execz .LBB62_35
.LBB62_67:                              ;   in Loop: Header=BB62_12 Depth=1
	v_and_b32_e32 v0, 0x7f800000, v57
	v_cmp_ne_u32_e64 s[12:13], s52, v0
                                        ; implicit-def: $vgpr10
	s_and_saveexec_b64 s[16:17], s[12:13]
	s_xor_b64 s[12:13], exec, s[16:17]
; %bb.68:                               ;   in Loop: Header=BB62_12 Depth=1
	v_bfe_u32 v0, v57, 16, 1
	v_add3_u32 v10, v57, v0, s53
                                        ; implicit-def: $vgpr57
; %bb.69:                               ;   in Loop: Header=BB62_12 Depth=1
	s_andn2_saveexec_b64 s[16:17], s[12:13]
; %bb.70:                               ;   in Loop: Header=BB62_12 Depth=1
	v_or_b32_e32 v0, 0x10000, v57
	v_cmp_eq_u32_sdwa s[12:13], v57, v1 src0_sel:WORD_0 src1_sel:DWORD
	s_nop 1
	v_cndmask_b32_e64 v10, v0, v57, s[12:13]
; %bb.71:                               ;   in Loop: Header=BB62_12 Depth=1
	s_or_b64 exec, exec, s[16:17]
	v_add_u32_e32 v0, 3, v48
	v_lshl_add_u64 v[12:13], v[0:1], 1, s[26:27]
	global_store_short_d16_hi v[12:13], v10, off
	s_or_b64 exec, exec, s[14:15]
	v_cmp_ne_u32_e64 s[12:13], 0, v6
	s_and_saveexec_b64 s[16:17], s[12:13]
	s_cbranch_execz .LBB62_36
.LBB62_72:                              ;   in Loop: Header=BB62_12 Depth=1
	v_and_b32_e32 v0, 0x7f800000, v54
	v_cmp_ne_u32_e64 s[14:15], s52, v0
                                        ; implicit-def: $vgpr10
	s_and_saveexec_b64 s[18:19], s[14:15]
	s_xor_b64 s[14:15], exec, s[18:19]
; %bb.73:                               ;   in Loop: Header=BB62_12 Depth=1
	v_bfe_u32 v0, v54, 16, 1
	v_add3_u32 v10, v54, v0, s53
; %bb.74:                               ;   in Loop: Header=BB62_12 Depth=1
	s_andn2_saveexec_b64 s[18:19], s[14:15]
; %bb.75:                               ;   in Loop: Header=BB62_12 Depth=1
	v_or_b32_e32 v0, 0x10000, v54
	v_cmp_eq_u32_sdwa s[14:15], v54, v1 src0_sel:WORD_0 src1_sel:DWORD
	s_nop 1
	v_cndmask_b32_e64 v10, v0, v54, s[14:15]
; %bb.76:                               ;   in Loop: Header=BB62_12 Depth=1
	s_or_b64 exec, exec, s[18:19]
	v_add_u32_e32 v0, 4, v48
	v_lshl_add_u64 v[12:13], v[0:1], 1, s[26:27]
	global_store_short_d16_hi v[12:13], v10, off
	s_or_b64 exec, exec, s[16:17]
	v_cmp_ne_u32_e64 s[14:15], 0, v7
	s_and_saveexec_b64 s[18:19], s[14:15]
	s_cbranch_execz .LBB62_37
.LBB62_77:                              ;   in Loop: Header=BB62_12 Depth=1
	v_and_b32_e32 v0, 0x7f800000, v55
	v_cmp_ne_u32_e64 s[16:17], s52, v0
                                        ; implicit-def: $vgpr10
	s_and_saveexec_b64 s[42:43], s[16:17]
	s_xor_b64 s[16:17], exec, s[42:43]
; %bb.78:                               ;   in Loop: Header=BB62_12 Depth=1
	v_bfe_u32 v0, v55, 16, 1
	v_add3_u32 v10, v55, v0, s53
                                        ; implicit-def: $vgpr55
; %bb.79:                               ;   in Loop: Header=BB62_12 Depth=1
	s_andn2_saveexec_b64 s[42:43], s[16:17]
; %bb.80:                               ;   in Loop: Header=BB62_12 Depth=1
	v_or_b32_e32 v0, 0x10000, v55
	v_cmp_eq_u32_sdwa s[16:17], v55, v1 src0_sel:WORD_0 src1_sel:DWORD
	s_nop 1
	v_cndmask_b32_e64 v10, v0, v55, s[16:17]
; %bb.81:                               ;   in Loop: Header=BB62_12 Depth=1
	s_or_b64 exec, exec, s[42:43]
	v_add_u32_e32 v0, 5, v48
	v_lshl_add_u64 v[12:13], v[0:1], 1, s[26:27]
	global_store_short_d16_hi v[12:13], v10, off
	s_or_b64 exec, exec, s[18:19]
	v_cmp_ne_u32_e64 s[16:17], 0, v8
	s_and_saveexec_b64 s[42:43], s[16:17]
	s_cbranch_execz .LBB62_38
.LBB62_82:                              ;   in Loop: Header=BB62_12 Depth=1
	v_and_b32_e32 v0, 0x7f800000, v52
	v_cmp_ne_u32_e64 s[18:19], s52, v0
                                        ; implicit-def: $vgpr10
	s_and_saveexec_b64 s[44:45], s[18:19]
	s_xor_b64 s[18:19], exec, s[44:45]
; %bb.83:                               ;   in Loop: Header=BB62_12 Depth=1
	v_bfe_u32 v0, v52, 16, 1
	v_add3_u32 v10, v52, v0, s53
; %bb.84:                               ;   in Loop: Header=BB62_12 Depth=1
	s_andn2_saveexec_b64 s[44:45], s[18:19]
; %bb.85:                               ;   in Loop: Header=BB62_12 Depth=1
	v_or_b32_e32 v0, 0x10000, v52
	v_cmp_eq_u32_sdwa s[18:19], v52, v1 src0_sel:WORD_0 src1_sel:DWORD
	s_nop 1
	v_cndmask_b32_e64 v10, v0, v52, s[18:19]
; %bb.86:                               ;   in Loop: Header=BB62_12 Depth=1
	s_or_b64 exec, exec, s[44:45]
	v_add_u32_e32 v0, 6, v48
	v_lshl_add_u64 v[12:13], v[0:1], 1, s[26:27]
	global_store_short_d16_hi v[12:13], v10, off
	s_or_b64 exec, exec, s[42:43]
	v_add_u32_e32 v0, s25, v48
	s_and_saveexec_b64 s[42:43], vcc
	s_cbranch_execz .LBB62_39
.LBB62_87:                              ;   in Loop: Header=BB62_12 Depth=1
	v_and_b32_e32 v10, 0x7f800000, v53
	v_cmp_ne_u32_e64 s[18:19], s52, v10
                                        ; implicit-def: $vgpr10
	s_and_saveexec_b64 s[44:45], s[18:19]
	s_xor_b64 s[18:19], exec, s[44:45]
; %bb.88:                               ;   in Loop: Header=BB62_12 Depth=1
	v_bfe_u32 v10, v53, 16, 1
	v_add3_u32 v10, v53, v10, s53
                                        ; implicit-def: $vgpr53
; %bb.89:                               ;   in Loop: Header=BB62_12 Depth=1
	s_andn2_saveexec_b64 s[44:45], s[18:19]
; %bb.90:                               ;   in Loop: Header=BB62_12 Depth=1
	v_or_b32_e32 v10, 0x10000, v53
	v_cmp_eq_u32_sdwa s[18:19], v53, v1 src0_sel:WORD_0 src1_sel:DWORD
	s_nop 1
	v_cndmask_b32_e64 v10, v10, v53, s[18:19]
; %bb.91:                               ;   in Loop: Header=BB62_12 Depth=1
	s_or_b64 exec, exec, s[44:45]
	v_lshl_add_u64 v[12:13], v[0:1], 1, s[26:27]
	global_store_short_d16_hi v[12:13], v10, off
	s_or_b64 exec, exec, s[42:43]
	s_and_saveexec_b64 s[42:43], s[6:7]
	s_cbranch_execz .LBB62_40
.LBB62_92:                              ;   in Loop: Header=BB62_12 Depth=1
	v_and_b32_e32 v10, 0x7f800000, v114
	v_cmp_ne_u32_e64 s[18:19], s52, v10
                                        ; implicit-def: $vgpr10
	s_and_saveexec_b64 s[44:45], s[18:19]
	s_xor_b64 s[18:19], exec, s[44:45]
; %bb.93:                               ;   in Loop: Header=BB62_12 Depth=1
	v_bfe_u32 v10, v114, 16, 1
	v_add3_u32 v10, v114, v10, s53
                                        ; implicit-def: $vgpr114
; %bb.94:                               ;   in Loop: Header=BB62_12 Depth=1
	s_andn2_saveexec_b64 s[44:45], s[18:19]
; %bb.95:                               ;   in Loop: Header=BB62_12 Depth=1
	v_or_b32_e32 v10, 0x10000, v114
	v_cmp_eq_u32_sdwa s[18:19], v114, v1 src0_sel:WORD_0 src1_sel:DWORD
	s_nop 1
	v_cndmask_b32_e64 v10, v10, v114, s[18:19]
; %bb.96:                               ;   in Loop: Header=BB62_12 Depth=1
	s_or_b64 exec, exec, s[44:45]
	v_add_u32_e32 v12, 1, v0
	v_mov_b32_e32 v13, v1
	v_lshl_add_u64 v[12:13], v[12:13], 1, s[26:27]
	global_store_short_d16_hi v[12:13], v10, off
	s_or_b64 exec, exec, s[42:43]
	s_and_saveexec_b64 s[42:43], s[8:9]
	s_cbranch_execz .LBB62_41
.LBB62_97:                              ;   in Loop: Header=BB62_12 Depth=1
	v_and_b32_e32 v10, 0x7f800000, v113
	v_cmp_ne_u32_e64 s[18:19], s52, v10
                                        ; implicit-def: $vgpr10
	s_and_saveexec_b64 s[44:45], s[18:19]
	s_xor_b64 s[18:19], exec, s[44:45]
; %bb.98:                               ;   in Loop: Header=BB62_12 Depth=1
	v_bfe_u32 v10, v113, 16, 1
	v_add3_u32 v10, v113, v10, s53
                                        ; implicit-def: $vgpr113
; %bb.99:                               ;   in Loop: Header=BB62_12 Depth=1
	s_andn2_saveexec_b64 s[44:45], s[18:19]
; %bb.100:                              ;   in Loop: Header=BB62_12 Depth=1
	v_or_b32_e32 v10, 0x10000, v113
	v_cmp_eq_u32_sdwa s[18:19], v113, v1 src0_sel:WORD_0 src1_sel:DWORD
	s_nop 1
	v_cndmask_b32_e64 v10, v10, v113, s[18:19]
; %bb.101:                              ;   in Loop: Header=BB62_12 Depth=1
	s_or_b64 exec, exec, s[44:45]
	v_add_u32_e32 v12, 2, v0
	v_mov_b32_e32 v13, v1
	v_lshl_add_u64 v[12:13], v[12:13], 1, s[26:27]
	global_store_short_d16_hi v[12:13], v10, off
	s_or_b64 exec, exec, s[42:43]
	s_and_saveexec_b64 s[42:43], s[10:11]
	s_cbranch_execz .LBB62_42
.LBB62_102:                             ;   in Loop: Header=BB62_12 Depth=1
	v_and_b32_e32 v10, 0x7f800000, v112
	v_cmp_ne_u32_e64 s[18:19], s52, v10
                                        ; implicit-def: $vgpr10
	s_and_saveexec_b64 s[44:45], s[18:19]
	s_xor_b64 s[18:19], exec, s[44:45]
; %bb.103:                              ;   in Loop: Header=BB62_12 Depth=1
	v_bfe_u32 v10, v112, 16, 1
	v_add3_u32 v10, v112, v10, s53
                                        ; implicit-def: $vgpr112
; %bb.104:                              ;   in Loop: Header=BB62_12 Depth=1
	s_andn2_saveexec_b64 s[44:45], s[18:19]
; %bb.105:                              ;   in Loop: Header=BB62_12 Depth=1
	v_or_b32_e32 v10, 0x10000, v112
	v_cmp_eq_u32_sdwa s[18:19], v112, v1 src0_sel:WORD_0 src1_sel:DWORD
	s_nop 1
	v_cndmask_b32_e64 v10, v10, v112, s[18:19]
; %bb.106:                              ;   in Loop: Header=BB62_12 Depth=1
	s_or_b64 exec, exec, s[44:45]
	v_add_u32_e32 v12, 3, v0
	v_mov_b32_e32 v13, v1
	v_lshl_add_u64 v[12:13], v[12:13], 1, s[26:27]
	global_store_short_d16_hi v[12:13], v10, off
	s_or_b64 exec, exec, s[42:43]
	s_and_saveexec_b64 s[42:43], s[12:13]
	s_cbranch_execz .LBB62_43
.LBB62_107:                             ;   in Loop: Header=BB62_12 Depth=1
	v_and_b32_e32 v10, 0x7f800000, v111
	v_cmp_ne_u32_e64 s[18:19], s52, v10
                                        ; implicit-def: $vgpr10
	s_and_saveexec_b64 s[44:45], s[18:19]
	s_xor_b64 s[18:19], exec, s[44:45]
; %bb.108:                              ;   in Loop: Header=BB62_12 Depth=1
	v_bfe_u32 v10, v111, 16, 1
	v_add3_u32 v10, v111, v10, s53
                                        ; implicit-def: $vgpr111
; %bb.109:                              ;   in Loop: Header=BB62_12 Depth=1
	s_andn2_saveexec_b64 s[44:45], s[18:19]
; %bb.110:                              ;   in Loop: Header=BB62_12 Depth=1
	v_or_b32_e32 v10, 0x10000, v111
	v_cmp_eq_u32_sdwa s[18:19], v111, v1 src0_sel:WORD_0 src1_sel:DWORD
	s_nop 1
	v_cndmask_b32_e64 v10, v10, v111, s[18:19]
; %bb.111:                              ;   in Loop: Header=BB62_12 Depth=1
	s_or_b64 exec, exec, s[44:45]
	v_add_u32_e32 v12, 4, v0
	v_mov_b32_e32 v13, v1
	v_lshl_add_u64 v[12:13], v[12:13], 1, s[26:27]
	global_store_short_d16_hi v[12:13], v10, off
	s_or_b64 exec, exec, s[42:43]
	s_and_saveexec_b64 s[42:43], s[14:15]
	s_cbranch_execz .LBB62_44
.LBB62_112:                             ;   in Loop: Header=BB62_12 Depth=1
	v_and_b32_e32 v10, 0x7f800000, v110
	v_cmp_ne_u32_e64 s[18:19], s52, v10
                                        ; implicit-def: $vgpr10
	s_and_saveexec_b64 s[44:45], s[18:19]
	s_xor_b64 s[18:19], exec, s[44:45]
; %bb.113:                              ;   in Loop: Header=BB62_12 Depth=1
	v_bfe_u32 v10, v110, 16, 1
	v_add3_u32 v10, v110, v10, s53
                                        ; implicit-def: $vgpr110
; %bb.114:                              ;   in Loop: Header=BB62_12 Depth=1
	s_andn2_saveexec_b64 s[44:45], s[18:19]
; %bb.115:                              ;   in Loop: Header=BB62_12 Depth=1
	v_or_b32_e32 v10, 0x10000, v110
	v_cmp_eq_u32_sdwa s[18:19], v110, v1 src0_sel:WORD_0 src1_sel:DWORD
	s_nop 1
	v_cndmask_b32_e64 v10, v10, v110, s[18:19]
; %bb.116:                              ;   in Loop: Header=BB62_12 Depth=1
	s_or_b64 exec, exec, s[44:45]
	v_add_u32_e32 v12, 5, v0
	v_mov_b32_e32 v13, v1
	v_lshl_add_u64 v[12:13], v[12:13], 1, s[26:27]
	global_store_short_d16_hi v[12:13], v10, off
	s_or_b64 exec, exec, s[42:43]
	s_and_saveexec_b64 s[42:43], s[16:17]
	s_cbranch_execz .LBB62_45
.LBB62_117:                             ;   in Loop: Header=BB62_12 Depth=1
	v_and_b32_e32 v10, 0x7f800000, v50
	v_cmp_ne_u32_e64 s[18:19], s52, v10
                                        ; implicit-def: $vgpr10
	s_and_saveexec_b64 s[44:45], s[18:19]
	s_xor_b64 s[18:19], exec, s[44:45]
; %bb.118:                              ;   in Loop: Header=BB62_12 Depth=1
	v_bfe_u32 v10, v50, 16, 1
	v_add3_u32 v10, v50, v10, s53
; %bb.119:                              ;   in Loop: Header=BB62_12 Depth=1
	s_andn2_saveexec_b64 s[44:45], s[18:19]
; %bb.120:                              ;   in Loop: Header=BB62_12 Depth=1
	v_or_b32_e32 v10, 0x10000, v50
	v_cmp_eq_u32_sdwa s[18:19], v50, v1 src0_sel:WORD_0 src1_sel:DWORD
	s_nop 1
	v_cndmask_b32_e64 v10, v10, v50, s[18:19]
; %bb.121:                              ;   in Loop: Header=BB62_12 Depth=1
	s_or_b64 exec, exec, s[44:45]
	v_add_u32_e32 v12, 6, v0
	v_mov_b32_e32 v13, v1
	v_lshl_add_u64 v[12:13], v[12:13], 1, s[26:27]
	global_store_short_d16_hi v[12:13], v10, off
	s_or_b64 exec, exec, s[42:43]
	v_add_u32_e32 v0, s25, v0
	s_and_saveexec_b64 s[18:19], vcc
	s_cbranch_execz .LBB62_46
.LBB62_122:                             ;   in Loop: Header=BB62_12 Depth=1
	v_and_b32_e32 v10, 0x7f800000, v51
	v_cmp_ne_u32_e32 vcc, s52, v10
                                        ; implicit-def: $vgpr10
	s_and_saveexec_b64 s[42:43], vcc
	s_xor_b64 s[42:43], exec, s[42:43]
; %bb.123:                              ;   in Loop: Header=BB62_12 Depth=1
	v_bfe_u32 v10, v51, 16, 1
	v_add3_u32 v10, v51, v10, s53
                                        ; implicit-def: $vgpr51
; %bb.124:                              ;   in Loop: Header=BB62_12 Depth=1
	s_andn2_saveexec_b64 s[42:43], s[42:43]
; %bb.125:                              ;   in Loop: Header=BB62_12 Depth=1
	v_or_b32_e32 v10, 0x10000, v51
	v_cmp_eq_u32_sdwa vcc, v51, v1 src0_sel:WORD_0 src1_sel:DWORD
	s_nop 1
	v_cndmask_b32_e32 v10, v10, v51, vcc
; %bb.126:                              ;   in Loop: Header=BB62_12 Depth=1
	s_or_b64 exec, exec, s[42:43]
	v_lshl_add_u64 v[12:13], v[0:1], 1, s[26:27]
	global_store_short_d16_hi v[12:13], v10, off
	s_or_b64 exec, exec, s[18:19]
	s_and_saveexec_b64 s[18:19], s[6:7]
	s_cbranch_execz .LBB62_47
.LBB62_127:                             ;   in Loop: Header=BB62_12 Depth=1
	v_and_b32_e32 v10, 0x7f800000, v109
	v_cmp_ne_u32_e32 vcc, s52, v10
                                        ; implicit-def: $vgpr10
	s_and_saveexec_b64 s[6:7], vcc
	s_xor_b64 s[6:7], exec, s[6:7]
; %bb.128:                              ;   in Loop: Header=BB62_12 Depth=1
	v_bfe_u32 v10, v109, 16, 1
	v_add3_u32 v10, v109, v10, s53
                                        ; implicit-def: $vgpr109
; %bb.129:                              ;   in Loop: Header=BB62_12 Depth=1
	s_andn2_saveexec_b64 s[6:7], s[6:7]
; %bb.130:                              ;   in Loop: Header=BB62_12 Depth=1
	v_or_b32_e32 v10, 0x10000, v109
	v_cmp_eq_u32_sdwa vcc, v109, v1 src0_sel:WORD_0 src1_sel:DWORD
	s_nop 1
	v_cndmask_b32_e32 v10, v10, v109, vcc
; %bb.131:                              ;   in Loop: Header=BB62_12 Depth=1
	s_or_b64 exec, exec, s[6:7]
	v_add_u32_e32 v12, 1, v0
	v_mov_b32_e32 v13, v1
	v_lshl_add_u64 v[12:13], v[12:13], 1, s[26:27]
	global_store_short_d16_hi v[12:13], v10, off
	s_or_b64 exec, exec, s[18:19]
	s_and_saveexec_b64 s[6:7], s[8:9]
	s_cbranch_execz .LBB62_48
.LBB62_132:                             ;   in Loop: Header=BB62_12 Depth=1
	v_and_b32_e32 v10, 0x7f800000, v108
	v_cmp_ne_u32_e32 vcc, s52, v10
                                        ; implicit-def: $vgpr10
	s_and_saveexec_b64 s[8:9], vcc
	s_xor_b64 s[8:9], exec, s[8:9]
; %bb.133:                              ;   in Loop: Header=BB62_12 Depth=1
	v_bfe_u32 v10, v108, 16, 1
	v_add3_u32 v10, v108, v10, s53
                                        ; implicit-def: $vgpr108
; %bb.134:                              ;   in Loop: Header=BB62_12 Depth=1
	s_andn2_saveexec_b64 s[8:9], s[8:9]
; %bb.135:                              ;   in Loop: Header=BB62_12 Depth=1
	v_or_b32_e32 v10, 0x10000, v108
	v_cmp_eq_u32_sdwa vcc, v108, v1 src0_sel:WORD_0 src1_sel:DWORD
	s_nop 1
	v_cndmask_b32_e32 v10, v10, v108, vcc
; %bb.136:                              ;   in Loop: Header=BB62_12 Depth=1
	s_or_b64 exec, exec, s[8:9]
	v_add_u32_e32 v12, 2, v0
	v_mov_b32_e32 v13, v1
	v_lshl_add_u64 v[12:13], v[12:13], 1, s[26:27]
	global_store_short_d16_hi v[12:13], v10, off
	s_or_b64 exec, exec, s[6:7]
	s_and_saveexec_b64 s[6:7], s[10:11]
	s_cbranch_execz .LBB62_49
.LBB62_137:                             ;   in Loop: Header=BB62_12 Depth=1
	v_and_b32_e32 v10, 0x7f800000, v107
	v_cmp_ne_u32_e32 vcc, s52, v10
                                        ; implicit-def: $vgpr10
	s_and_saveexec_b64 s[8:9], vcc
	s_xor_b64 s[8:9], exec, s[8:9]
; %bb.138:                              ;   in Loop: Header=BB62_12 Depth=1
	v_bfe_u32 v10, v107, 16, 1
	v_add3_u32 v10, v107, v10, s53
                                        ; implicit-def: $vgpr107
; %bb.139:                              ;   in Loop: Header=BB62_12 Depth=1
	s_andn2_saveexec_b64 s[8:9], s[8:9]
; %bb.140:                              ;   in Loop: Header=BB62_12 Depth=1
	v_or_b32_e32 v10, 0x10000, v107
	v_cmp_eq_u32_sdwa vcc, v107, v1 src0_sel:WORD_0 src1_sel:DWORD
	s_nop 1
	v_cndmask_b32_e32 v10, v10, v107, vcc
; %bb.141:                              ;   in Loop: Header=BB62_12 Depth=1
	s_or_b64 exec, exec, s[8:9]
	v_add_u32_e32 v12, 3, v0
	v_mov_b32_e32 v13, v1
	v_lshl_add_u64 v[12:13], v[12:13], 1, s[26:27]
	global_store_short_d16_hi v[12:13], v10, off
	s_or_b64 exec, exec, s[6:7]
	s_and_saveexec_b64 s[6:7], s[12:13]
	s_cbranch_execz .LBB62_50
.LBB62_142:                             ;   in Loop: Header=BB62_12 Depth=1
	v_and_b32_e32 v10, 0x7f800000, v106
	v_cmp_ne_u32_e32 vcc, s52, v10
                                        ; implicit-def: $vgpr10
	s_and_saveexec_b64 s[8:9], vcc
	s_xor_b64 s[8:9], exec, s[8:9]
; %bb.143:                              ;   in Loop: Header=BB62_12 Depth=1
	v_bfe_u32 v10, v106, 16, 1
	v_add3_u32 v10, v106, v10, s53
                                        ; implicit-def: $vgpr106
; %bb.144:                              ;   in Loop: Header=BB62_12 Depth=1
	s_andn2_saveexec_b64 s[8:9], s[8:9]
; %bb.145:                              ;   in Loop: Header=BB62_12 Depth=1
	v_or_b32_e32 v10, 0x10000, v106
	v_cmp_eq_u32_sdwa vcc, v106, v1 src0_sel:WORD_0 src1_sel:DWORD
	s_nop 1
	v_cndmask_b32_e32 v10, v10, v106, vcc
; %bb.146:                              ;   in Loop: Header=BB62_12 Depth=1
	s_or_b64 exec, exec, s[8:9]
	v_add_u32_e32 v12, 4, v0
	v_mov_b32_e32 v13, v1
	v_lshl_add_u64 v[12:13], v[12:13], 1, s[26:27]
	global_store_short_d16_hi v[12:13], v10, off
	s_or_b64 exec, exec, s[6:7]
	s_and_saveexec_b64 s[6:7], s[14:15]
	s_cbranch_execz .LBB62_51
.LBB62_147:                             ;   in Loop: Header=BB62_12 Depth=1
	v_and_b32_e32 v10, 0x7f800000, v105
	v_cmp_ne_u32_e32 vcc, s52, v10
                                        ; implicit-def: $vgpr10
	s_and_saveexec_b64 s[8:9], vcc
	s_xor_b64 s[8:9], exec, s[8:9]
; %bb.148:                              ;   in Loop: Header=BB62_12 Depth=1
	v_bfe_u32 v10, v105, 16, 1
	v_add3_u32 v10, v105, v10, s53
                                        ; implicit-def: $vgpr105
; %bb.149:                              ;   in Loop: Header=BB62_12 Depth=1
	s_andn2_saveexec_b64 s[8:9], s[8:9]
; %bb.150:                              ;   in Loop: Header=BB62_12 Depth=1
	v_or_b32_e32 v10, 0x10000, v105
	v_cmp_eq_u32_sdwa vcc, v105, v1 src0_sel:WORD_0 src1_sel:DWORD
	s_nop 1
	v_cndmask_b32_e32 v10, v10, v105, vcc
; %bb.151:                              ;   in Loop: Header=BB62_12 Depth=1
	s_or_b64 exec, exec, s[8:9]
	v_add_u32_e32 v12, 5, v0
	v_mov_b32_e32 v13, v1
	v_lshl_add_u64 v[12:13], v[12:13], 1, s[26:27]
	global_store_short_d16_hi v[12:13], v10, off
	s_or_b64 exec, exec, s[6:7]
	s_and_b64 exec, exec, s[16:17]
	s_cbranch_execz .LBB62_157
.LBB62_152:                             ;   in Loop: Header=BB62_12 Depth=1
	v_and_b32_e32 v10, 0x7f800000, v104
	v_cmp_ne_u32_e32 vcc, s52, v10
                                        ; implicit-def: $vgpr10
	s_and_saveexec_b64 s[6:7], vcc
	s_xor_b64 s[6:7], exec, s[6:7]
; %bb.153:                              ;   in Loop: Header=BB62_12 Depth=1
	v_bfe_u32 v10, v104, 16, 1
	v_add3_u32 v10, v104, v10, s53
                                        ; implicit-def: $vgpr104
; %bb.154:                              ;   in Loop: Header=BB62_12 Depth=1
	s_andn2_saveexec_b64 s[6:7], s[6:7]
; %bb.155:                              ;   in Loop: Header=BB62_12 Depth=1
	v_or_b32_e32 v10, 0x10000, v104
	v_cmp_eq_u32_sdwa vcc, v104, v1 src0_sel:WORD_0 src1_sel:DWORD
	s_nop 1
	v_cndmask_b32_e32 v10, v10, v104, vcc
; %bb.156:                              ;   in Loop: Header=BB62_12 Depth=1
	s_or_b64 exec, exec, s[6:7]
	v_add_u32_e32 v0, 6, v0
	v_lshl_add_u64 v[12:13], v[0:1], 1, s[26:27]
	global_store_short_d16_hi v[12:13], v10, off
.LBB62_157:                             ;   in Loop: Header=BB62_12 Depth=1
	s_or_b64 exec, exec, s[40:41]
	v_add_u32_e32 v48, s48, v48
	v_add_u32_e32 v0, 7, v48
	v_cmp_gt_u32_e32 vcc, s25, v48
	v_cmp_le_u32_e64 s[6:7], s25, v0
	s_and_b64 s[6:7], vcc, s[6:7]
	s_and_saveexec_b64 s[8:9], s[6:7]
	s_cbranch_execz .LBB62_10
; %bb.158:                              ;   in Loop: Header=BB62_12 Depth=1
	v_cmp_ne_u32_e32 vcc, s49, v48
	s_and_saveexec_b64 s[10:11], vcc
	s_cbranch_execz .LBB62_9
; %bb.159:                              ;   in Loop: Header=BB62_12 Depth=1
	v_subrev_u32_e32 v0, s49, v48
	v_cmp_lt_u32_e32 vcc, 1, v0
	s_mov_b64 s[12:13], 0
	s_mov_b64 s[14:15], 0
	v_cndmask_b32_e32 v0, 1, v0, vcc
.LBB62_160:                             ;   Parent Loop BB62_12 Depth=1
                                        ; =>  This Inner Loop Header: Depth=2
	s_cmp_lg_u32 s14, 6
	s_cselect_b64 vcc, -1, 0
	s_cmp_lg_u32 s14, 5
	v_cndmask_b32_e32 v8, 0, v8, vcc
	s_cselect_b64 vcc, -1, 0
	s_cmp_lg_u32 s14, 4
	v_cndmask_b32_e32 v7, 0, v7, vcc
	;; [unrolled: 3-line block ×6, first 2 shown]
	s_cselect_b64 vcc, -1, 0
	s_add_u32 s14, s14, 1
	s_addc_u32 s15, s15, 0
	v_cmp_eq_u32_e64 s[6:7], s14, v0
	s_or_b64 s[12:13], s[6:7], s[12:13]
	v_cndmask_b32_e32 v2, 0, v2, vcc
	s_andn2_b64 exec, exec, s[12:13]
	s_cbranch_execnz .LBB62_160
; %bb.161:                              ;   in Loop: Header=BB62_12 Depth=1
	s_or_b64 exec, exec, s[12:13]
	s_branch .LBB62_9
.LBB62_162:
	s_endpgm
	.section	.rodata,"a",@progbits
	.p2align	6, 0x0
	.amdhsa_kernel _ZN5aiter16wvSplitK_hf_big_I14__hip_bfloat16Li64ELi7ELi16ELi8ELi1ELi3EEEviiPKT_S4_PS2_ii
		.amdhsa_group_segment_fixed_size 65536
		.amdhsa_private_segment_fixed_size 0
		.amdhsa_kernarg_size 40
		.amdhsa_user_sgpr_count 2
		.amdhsa_user_sgpr_dispatch_ptr 0
		.amdhsa_user_sgpr_queue_ptr 0
		.amdhsa_user_sgpr_kernarg_segment_ptr 1
		.amdhsa_user_sgpr_dispatch_id 0
		.amdhsa_user_sgpr_kernarg_preload_length 0
		.amdhsa_user_sgpr_kernarg_preload_offset 0
		.amdhsa_user_sgpr_private_segment_size 0
		.amdhsa_uses_dynamic_stack 0
		.amdhsa_enable_private_segment 0
		.amdhsa_system_sgpr_workgroup_id_x 1
		.amdhsa_system_sgpr_workgroup_id_y 0
		.amdhsa_system_sgpr_workgroup_id_z 0
		.amdhsa_system_sgpr_workgroup_info 0
		.amdhsa_system_vgpr_workitem_id 1
		.amdhsa_next_free_vgpr 124
		.amdhsa_next_free_sgpr 54
		.amdhsa_accum_offset 124
		.amdhsa_reserve_vcc 1
		.amdhsa_float_round_mode_32 0
		.amdhsa_float_round_mode_16_64 0
		.amdhsa_float_denorm_mode_32 3
		.amdhsa_float_denorm_mode_16_64 3
		.amdhsa_dx10_clamp 1
		.amdhsa_ieee_mode 1
		.amdhsa_fp16_overflow 0
		.amdhsa_tg_split 0
		.amdhsa_exception_fp_ieee_invalid_op 0
		.amdhsa_exception_fp_denorm_src 0
		.amdhsa_exception_fp_ieee_div_zero 0
		.amdhsa_exception_fp_ieee_overflow 0
		.amdhsa_exception_fp_ieee_underflow 0
		.amdhsa_exception_fp_ieee_inexact 0
		.amdhsa_exception_int_div_zero 0
	.end_amdhsa_kernel
	.section	.text._ZN5aiter16wvSplitK_hf_big_I14__hip_bfloat16Li64ELi7ELi16ELi8ELi1ELi3EEEviiPKT_S4_PS2_ii,"axG",@progbits,_ZN5aiter16wvSplitK_hf_big_I14__hip_bfloat16Li64ELi7ELi16ELi8ELi1ELi3EEEviiPKT_S4_PS2_ii,comdat
.Lfunc_end62:
	.size	_ZN5aiter16wvSplitK_hf_big_I14__hip_bfloat16Li64ELi7ELi16ELi8ELi1ELi3EEEviiPKT_S4_PS2_ii, .Lfunc_end62-_ZN5aiter16wvSplitK_hf_big_I14__hip_bfloat16Li64ELi7ELi16ELi8ELi1ELi3EEEviiPKT_S4_PS2_ii
                                        ; -- End function
	.section	.AMDGPU.csdata,"",@progbits
; Kernel info:
; codeLenInByte = 7972
; NumSgprs: 60
; NumVgprs: 124
; NumAgprs: 0
; TotalNumVgprs: 124
; ScratchSize: 0
; MemoryBound: 0
; FloatMode: 240
; IeeeMode: 1
; LDSByteSize: 65536 bytes/workgroup (compile time only)
; SGPRBlocks: 7
; VGPRBlocks: 15
; NumSGPRsForWavesPerEU: 60
; NumVGPRsForWavesPerEU: 124
; AccumOffset: 124
; Occupancy: 4
; WaveLimiterHint : 0
; COMPUTE_PGM_RSRC2:SCRATCH_EN: 0
; COMPUTE_PGM_RSRC2:USER_SGPR: 2
; COMPUTE_PGM_RSRC2:TRAP_HANDLER: 0
; COMPUTE_PGM_RSRC2:TGID_X_EN: 1
; COMPUTE_PGM_RSRC2:TGID_Y_EN: 0
; COMPUTE_PGM_RSRC2:TGID_Z_EN: 0
; COMPUTE_PGM_RSRC2:TIDIG_COMP_CNT: 1
; COMPUTE_PGM_RSRC3_GFX90A:ACCUM_OFFSET: 30
; COMPUTE_PGM_RSRC3_GFX90A:TG_SPLIT: 0
	.section	.text._ZN5aiter16wvSplitK_hf_sml_I14__hip_bfloat16Li64ELi4ELi16ELi8ELi1ELi4EEEviiPKT_S4_PS2_ii,"axG",@progbits,_ZN5aiter16wvSplitK_hf_sml_I14__hip_bfloat16Li64ELi4ELi16ELi8ELi1ELi4EEEviiPKT_S4_PS2_ii,comdat
	.protected	_ZN5aiter16wvSplitK_hf_sml_I14__hip_bfloat16Li64ELi4ELi16ELi8ELi1ELi4EEEviiPKT_S4_PS2_ii ; -- Begin function _ZN5aiter16wvSplitK_hf_sml_I14__hip_bfloat16Li64ELi4ELi16ELi8ELi1ELi4EEEviiPKT_S4_PS2_ii
	.globl	_ZN5aiter16wvSplitK_hf_sml_I14__hip_bfloat16Li64ELi4ELi16ELi8ELi1ELi4EEEviiPKT_S4_PS2_ii
	.p2align	8
	.type	_ZN5aiter16wvSplitK_hf_sml_I14__hip_bfloat16Li64ELi4ELi16ELi8ELi1ELi4EEEviiPKT_S4_PS2_ii,@function
_ZN5aiter16wvSplitK_hf_sml_I14__hip_bfloat16Li64ELi4ELi16ELi8ELi1ELi4EEEviiPKT_S4_PS2_ii: ; @_ZN5aiter16wvSplitK_hf_sml_I14__hip_bfloat16Li64ELi4ELi16ELi8ELi1ELi4EEEviiPKT_S4_PS2_ii
; %bb.0:
	s_load_dwordx2 s[4:5], s[0:1], 0x0
	v_and_b32_e32 v2, 0x3ff, v0
	v_bfe_u32 v3, v0, 10, 10
	v_lshlrev_b32_e32 v64, 3, v2
	s_mov_b32 s3, 0
	s_waitcnt lgkmcnt(0)
	s_lshl_b32 s20, s4, 2
	s_cmp_lg_u32 s4, 0
	s_cselect_b64 s[16:17], -1, 0
	s_cmp_eq_u32 s4, 0
	s_cbranch_scc1 .LBB63_6
; %bb.1:
	s_load_dwordx2 s[6:7], s[0:1], 0x10
	v_lshlrev_b32_e32 v0, 4, v2
	s_min_i32 s14, s20, 0x8000
	v_lshl_add_u32 v4, v3, 10, v0
	v_lshl_add_u32 v5, v3, 9, v64
	s_mov_b64 s[8:9], 0
	v_mov_b32_e32 v1, 0
                                        ; implicit-def: $sgpr10_sgpr11
	s_branch .LBB63_3
.LBB63_2:                               ;   in Loop: Header=BB63_3 Depth=1
	s_or_b64 exec, exec, s[12:13]
	s_and_b64 s[12:13], exec, s[10:11]
	s_or_b64 s[8:9], s[12:13], s[8:9]
	s_andn2_b64 exec, exec, s[8:9]
	s_cbranch_execz .LBB63_5
.LBB63_3:                               ; =>This Inner Loop Header: Depth=1
	v_add_u32_e32 v0, s3, v5
	v_cmp_gt_u32_e32 vcc, s14, v0
	s_or_b64 s[10:11], s[10:11], exec
	s_and_saveexec_b64 s[12:13], vcc
	s_cbranch_execz .LBB63_2
; %bb.4:                                ;   in Loop: Header=BB63_3 Depth=1
	s_waitcnt lgkmcnt(0)
	v_lshl_add_u64 v[6:7], v[0:1], 1, s[6:7]
	global_load_dwordx4 v[6:9], v[6:7], off
	s_addk_i32 s3, 0x2000
	s_cmp_ge_u32 s3, s14
	s_cselect_b64 s[18:19], -1, 0
	s_andn2_b64 s[10:11], s[10:11], exec
	s_and_b64 s[18:19], s[18:19], exec
	s_or_b64 s[10:11], s[10:11], s[18:19]
	s_waitcnt vmcnt(0)
	ds_write_b128 v4, v[6:9]
	v_add_u32_e32 v4, 0x4000, v4
	s_branch .LBB63_2
.LBB63_5:
	s_or_b64 exec, exec, s[8:9]
.LBB63_6:
	s_load_dwordx2 s[10:11], s[0:1], 0x20
	s_waitcnt lgkmcnt(0)
	s_barrier
	v_cmp_gt_u32_e32 vcc, s10, v3
	s_and_saveexec_b64 s[6:7], vcc
	s_cbranch_execz .LBB63_81
; %bb.7:
	s_mul_i32 s2, s2, s10
	v_add_u32_e32 v0, s2, v3
	v_lshlrev_b32_e32 v24, 2, v0
	v_cmp_gt_u32_e32 vcc, s5, v24
	s_and_b64 exec, exec, vcc
	s_cbranch_execz .LBB63_81
; %bb.8:
	s_load_dwordx2 s[6:7], s[0:1], 0x8
	s_load_dwordx2 s[8:9], s[0:1], 0x18
	s_mul_i32 s2, s10, s11
	v_mul_lo_u32 v0, s4, v0
	s_ashr_i32 s11, s4, 31
	s_mov_b32 s10, s4
	s_lshl_b32 s21, s2, 2
	v_lshl_add_u32 v66, v0, 2, v64
	s_mul_i32 s2, s2, s4
	v_cndmask_b32_e64 v0, 0, 1, s[16:17]
	v_cmp_eq_u32_e64 s[0:1], 63, v2
	s_lshl_b64 s[12:13], s[10:11], 1
	s_mul_i32 s22, s4, 6
	v_lshlrev_b32_e32 v65, 4, v2
	s_lshl_b32 s23, s4, 1
	s_lshl_b32 s24, s2, 2
	s_mov_b64 s[14:15], 0
	v_cmp_ne_u32_e64 s[2:3], 1, v0
	v_mov_b32_e32 v27, 0
	s_mov_b32 s25, 0x7f800000
	s_movk_i32 s26, 0x7fff
	s_branch .LBB63_11
.LBB63_9:                               ;   in Loop: Header=BB63_11 Depth=1
	s_or_b64 exec, exec, s[18:19]
	v_add_u32_e32 v26, 3, v26
	v_lshl_add_u64 v[2:3], v[26:27], 1, s[8:9]
	global_store_short_d16_hi v[2:3], v0, off
.LBB63_10:                              ;   in Loop: Header=BB63_11 Depth=1
	s_or_b64 exec, exec, s[16:17]
	v_add_u32_e32 v24, s21, v24
	v_cmp_le_u32_e32 vcc, s5, v24
	s_or_b64 s[14:15], vcc, s[14:15]
	v_add_u32_e32 v66, s24, v66
	s_andn2_b64 exec, exec, s[14:15]
	s_cbranch_execz .LBB63_81
.LBB63_11:                              ; =>This Loop Header: Depth=1
                                        ;     Child Loop BB63_14 Depth 2
	s_mov_b32 s18, 0
	s_and_b64 vcc, exec, s[2:3]
	v_mov_b32_e32 v29, v27
	v_mov_b32_e32 v28, v27
	;; [unrolled: 1-line block ×16, first 2 shown]
	s_cbranch_vccnz .LBB63_16
; %bb.12:                               ;   in Loop: Header=BB63_11 Depth=1
	v_mov_b32_e32 v72, 0
	v_mov_b32_e32 v25, v65
	v_mov_b32_e32 v71, 0
	v_mov_b32_e32 v70, 0
	v_mov_b32_e32 v69, 0
	v_mov_b32_e32 v68, 0
	v_mov_b32_e32 v67, 0
	v_mov_b32_e32 v36, 0
	v_mov_b32_e32 v37, v72
	v_mov_b32_e32 v34, 0
	v_mov_b32_e32 v35, v72
	v_mov_b32_e32 v32, 0
	v_mov_b32_e32 v33, v72
	v_mov_b32_e32 v30, 0
	v_mov_b32_e32 v31, v72
	v_mov_b32_e32 v28, 0
	v_mov_b32_e32 v29, v72
	s_branch .LBB63_14
.LBB63_13:                              ;   in Loop: Header=BB63_14 Depth=2
	s_or_b64 exec, exec, s[16:17]
	s_addk_i32 s18, 0x200
	s_cmp_ge_u32 s18, s4
	v_add_u32_e32 v25, 0x400, v25
	s_cbranch_scc1 .LBB63_16
.LBB63_14:                              ;   Parent Loop BB63_11 Depth=1
                                        ; =>  This Inner Loop Header: Depth=2
	v_add_u32_e32 v0, s18, v64
	v_cmp_gt_u32_e32 vcc, s4, v0
	s_and_saveexec_b64 s[16:17], vcc
	s_cbranch_execz .LBB63_13
; %bb.15:                               ;   in Loop: Header=BB63_14 Depth=2
	v_add_u32_e32 v26, s18, v66
	s_waitcnt lgkmcnt(0)
	v_lshl_add_u64 v[0:1], v[26:27], 1, s[6:7]
	global_load_dwordx4 v[12:15], v[0:1], off nt
	v_lshl_add_u64 v[0:1], s[10:11], 1, v[0:1]
	global_load_dwordx4 v[8:11], v[0:1], off nt
	;; [unrolled: 2-line block ×4, first 2 shown]
	ds_read_b128 v[16:19], v25
	v_add_u32_e32 v20, s23, v25
	v_add_u32_e32 v73, s20, v25
	ds_read_b128 v[20:23], v20
	ds_read2_b32 v[62:63], v73 offset1:1
	v_add_u32_e32 v26, s22, v25
	s_waitcnt lgkmcnt(2)
	v_and_b32_e32 v60, 0xffff0000, v16
	v_lshlrev_b32_e32 v58, 16, v16
	v_and_b32_e32 v76, 0xffff0000, v17
	v_lshlrev_b32_e32 v74, 16, v17
	;; [unrolled: 2-line block ×3, first 2 shown]
	v_lshlrev_b32_e32 v82, 16, v19
	v_and_b32_e32 v84, 0xffff0000, v19
	s_waitcnt lgkmcnt(1)
	v_and_b32_e32 v87, 0xffff0000, v20
	v_lshlrev_b32_e32 v86, 16, v20
	s_waitcnt vmcnt(3)
	v_and_b32_e32 v42, 0xffff0000, v12
	v_lshlrev_b32_e32 v46, 16, v12
	s_waitcnt vmcnt(2)
	v_and_b32_e32 v43, 0xffff0000, v8
	v_and_b32_e32 v38, 0xffff0000, v13
	v_lshlrev_b32_e32 v47, 16, v8
	v_and_b32_e32 v39, 0xffff0000, v9
	v_pk_mul_f32 v[88:89], v[60:61], v[42:43] op_sel_hi:[0,1]
	v_lshlrev_b32_e32 v40, 16, v13
	v_and_b32_e32 v16, 0xffff0000, v14
	v_lshlrev_b32_e32 v41, 16, v9
	v_and_b32_e32 v17, 0xffff0000, v10
	v_pk_mul_f32 v[90:91], v[76:77], v[38:39] op_sel_hi:[0,1]
	s_waitcnt vmcnt(1)
	v_and_b32_e32 v50, 0xffff0000, v4
	v_pk_fma_f32 v[88:89], v[58:59], v[46:47], v[88:89] op_sel_hi:[0,1,1]
	s_waitcnt vmcnt(0)
	v_and_b32_e32 v51, 0xffff0000, v0
	v_lshlrev_b32_e32 v18, 16, v14
	v_lshlrev_b32_e32 v14, 16, v15
	v_and_b32_e32 v12, 0xffff0000, v15
	v_lshlrev_b32_e32 v19, 16, v10
	v_lshlrev_b32_e32 v15, 16, v11
	v_and_b32_e32 v13, 0xffff0000, v11
	v_pk_mul_f32 v[92:93], v[80:81], v[16:17] op_sel_hi:[0,1]
	v_lshlrev_b32_e32 v52, 16, v4
	v_lshlrev_b32_e32 v48, 16, v5
	v_and_b32_e32 v44, 0xffff0000, v5
	v_lshlrev_b32_e32 v10, 16, v6
	v_and_b32_e32 v8, 0xffff0000, v6
	;; [unrolled: 2-line block ×3, first 2 shown]
	v_mov_b32_e32 v56, v47
	v_pk_fma_f32 v[90:91], v[74:75], v[40:41], v[90:91] op_sel_hi:[0,1,1]
	v_lshlrev_b32_e32 v53, 16, v0
	v_lshlrev_b32_e32 v49, 16, v1
	v_and_b32_e32 v45, 0xffff0000, v1
	v_lshlrev_b32_e32 v11, 16, v2
	v_and_b32_e32 v9, 0xffff0000, v2
	;; [unrolled: 2-line block ×3, first 2 shown]
	v_mov_b32_e32 v57, v50
	v_pk_add_f32 v[0:1], v[36:37], v[88:89]
	v_pk_mul_f32 v[2:3], v[60:61], v[50:51] op_sel_hi:[0,1]
	v_pk_mul_f32 v[94:95], v[84:85], v[12:13] op_sel_hi:[0,1]
	v_mov_b32_e32 v55, v43
	v_pk_fma_f32 v[92:93], v[78:79], v[18:19], v[92:93] op_sel_hi:[0,1,1]
	v_mov_b32_e32 v54, v52
	v_pk_mul_f32 v[36:37], v[76:77], v[44:45] op_sel_hi:[0,1]
	v_pk_mul_f32 v[60:61], v[80:81], v[8:9] op_sel_hi:[0,1]
	v_pk_mul_f32 v[80:81], v[86:87], v[56:57]
	v_pk_add_f32 v[0:1], v[0:1], v[90:91]
	v_pk_fma_f32 v[2:3], v[58:59], v[52:53], v[2:3] op_sel_hi:[0,1,1]
	v_pk_fma_f32 v[94:95], v[82:83], v[14:15], v[94:95] op_sel_hi:[0,1,1]
	;; [unrolled: 1-line block ×3, first 2 shown]
	v_pk_fma_f32 v[36:37], v[86:87], v[54:55], v[80:81] op_sel:[0,0,1] op_sel_hi:[1,1,0]
	v_pk_add_f32 v[0:1], v[0:1], v[92:93]
	v_pk_add_f32 v[2:3], v[34:35], v[2:3]
	v_pk_mul_f32 v[76:77], v[84:85], v[4:5] op_sel_hi:[0,1]
	v_pk_fma_f32 v[60:61], v[78:79], v[10:11], v[60:61] op_sel_hi:[0,1,1]
	v_pk_add_f32 v[32:33], v[32:33], v[36:37]
	v_pk_add_f32 v[36:37], v[0:1], v[94:95]
	v_pk_add_f32 v[0:1], v[2:3], v[58:59]
	v_pk_fma_f32 v[74:75], v[82:83], v[6:7], v[76:77] op_sel_hi:[0,1,1]
	v_pk_add_f32 v[0:1], v[0:1], v[60:61]
	v_mul_f32_e32 v20, v86, v46
	v_pk_add_f32 v[34:35], v[0:1], v[74:75]
	v_lshlrev_b32_e32 v0, 16, v21
	v_fmac_f32_e32 v20, v87, v42
	v_and_b32_e32 v1, 0xffff0000, v21
	v_mul_f32_e32 v2, v0, v40
	v_add_f32_e32 v20, v72, v20
	v_fmac_f32_e32 v2, v1, v38
	v_mov_b32_e32 v60, v41
	v_mov_b32_e32 v61, v44
	v_mul_f32_e32 v43, v53, v86
	v_add_f32_e32 v47, v20, v2
	v_mov_b32_e32 v20, v48
	v_mov_b32_e32 v21, v39
	v_pk_mul_f32 v[2:3], v[0:1], v[60:61]
	v_fmac_f32_e32 v43, v87, v51
	v_pk_fma_f32 v[2:3], v[0:1], v[20:21], v[2:3] op_sel:[0,0,1] op_sel_hi:[1,1,0]
	v_mul_f32_e32 v0, v49, v0
	v_add_f32_e32 v43, v71, v43
	v_fmac_f32_e32 v0, v1, v45
	v_add_f32_e32 v39, v43, v0
	v_lshlrev_b32_e32 v0, 16, v22
	v_pk_add_f32 v[32:33], v[32:33], v[2:3]
	v_and_b32_e32 v1, 0xffff0000, v22
	v_mul_f32_e32 v2, v0, v18
	v_fmac_f32_e32 v2, v1, v16
	v_mov_b32_e32 v58, v19
	v_mov_b32_e32 v59, v8
	v_add_f32_e32 v22, v47, v2
	v_mov_b32_e32 v2, v10
	v_mov_b32_e32 v3, v17
	v_pk_mul_f32 v[74:75], v[0:1], v[58:59]
	s_nop 0
	v_pk_fma_f32 v[74:75], v[0:1], v[2:3], v[74:75] op_sel:[0,0,1] op_sel_hi:[1,1,0]
	v_mul_f32_e32 v0, v11, v0
	v_pk_add_f32 v[32:33], v[32:33], v[74:75]
	v_fmac_f32_e32 v0, v1, v9
	v_lshlrev_b32_e32 v74, 16, v23
	v_add_f32_e32 v8, v39, v0
	v_and_b32_e32 v75, 0xffff0000, v23
	v_mul_f32_e32 v0, v74, v14
	v_fmac_f32_e32 v0, v75, v12
	v_add_f32_e32 v72, v22, v0
	v_mov_b32_e32 v22, v15
	v_mov_b32_e32 v23, v4
	;; [unrolled: 1-line block ×4, first 2 shown]
	v_pk_mul_f32 v[76:77], v[74:75], v[22:23]
	v_mul_f32_e32 v4, v7, v74
	v_pk_fma_f32 v[76:77], v[74:75], v[0:1], v[76:77] op_sel:[0,0,1] op_sel_hi:[1,1,0]
	v_fmac_f32_e32 v4, v75, v5
	s_waitcnt lgkmcnt(0)
	v_and_b32_e32 v75, 0xffff0000, v62
	v_lshlrev_b32_e32 v74, 16, v62
	v_pk_add_f32 v[32:33], v[32:33], v[76:77]
	v_add_f32_e32 v71, v8, v4
	v_mul_f32_e32 v4, v74, v46
	v_pk_mul_f32 v[76:77], v[74:75], v[56:57]
	v_mul_f32_e32 v6, v53, v74
	v_fmac_f32_e32 v4, v75, v42
	v_pk_fma_f32 v[76:77], v[74:75], v[54:55], v[76:77] op_sel:[0,0,1] op_sel_hi:[1,1,0]
	v_fmac_f32_e32 v6, v75, v51
	v_and_b32_e32 v75, 0xffff0000, v63
	v_lshlrev_b32_e32 v74, 16, v63
	v_pk_mul_f32 v[62:63], v[74:75], v[60:61]
	v_pk_add_f32 v[30:31], v[30:31], v[76:77]
	v_pk_fma_f32 v[62:63], v[74:75], v[20:21], v[62:63] op_sel:[0,0,1] op_sel_hi:[1,1,0]
	v_mul_f32_e32 v8, v74, v40
	v_pk_add_f32 v[30:31], v[30:31], v[62:63]
	ds_read2_b32 v[62:63], v73 offset0:2 offset1:3
	v_add_f32_e32 v4, v70, v4
	v_fmac_f32_e32 v8, v75, v38
	v_add_f32_e32 v4, v4, v8
	v_mul_f32_e32 v8, v49, v74
	v_add_f32_e32 v6, v69, v6
	v_fmac_f32_e32 v8, v75, v45
	ds_read_b128 v[74:77], v26
	s_waitcnt lgkmcnt(1)
	v_lshlrev_b32_e32 v78, 16, v62
	v_add_f32_e32 v6, v6, v8
	v_and_b32_e32 v79, 0xffff0000, v62
	v_mul_f32_e32 v8, v78, v18
	v_fmac_f32_e32 v8, v79, v16
	v_add_f32_e32 v4, v4, v8
	v_pk_mul_f32 v[80:81], v[78:79], v[58:59]
	v_mul_f32_e32 v8, v11, v78
	v_pk_fma_f32 v[80:81], v[78:79], v[2:3], v[80:81] op_sel:[0,0,1] op_sel_hi:[1,1,0]
	v_fmac_f32_e32 v8, v79, v9
	v_lshlrev_b32_e32 v78, 16, v63
	v_add_f32_e32 v6, v6, v8
	v_and_b32_e32 v79, 0xffff0000, v63
	v_mul_f32_e32 v8, v78, v14
	v_fmac_f32_e32 v8, v79, v12
	v_pk_mul_f32 v[62:63], v[78:79], v[22:23]
	v_pk_add_f32 v[30:31], v[30:31], v[80:81]
	v_add_f32_e32 v70, v4, v8
	v_pk_fma_f32 v[62:63], v[78:79], v[0:1], v[62:63] op_sel:[0,0,1] op_sel_hi:[1,1,0]
	v_mul_f32_e32 v4, v7, v78
	v_pk_add_f32 v[30:31], v[30:31], v[62:63]
	v_fmac_f32_e32 v4, v79, v5
	s_waitcnt lgkmcnt(0)
	v_lshlrev_b32_e32 v62, 16, v74
	v_add_f32_e32 v69, v6, v4
	v_and_b32_e32 v63, 0xffff0000, v74
	v_mul_f32_e32 v4, v62, v46
	v_fmac_f32_e32 v4, v63, v42
	v_pk_mul_f32 v[42:43], v[62:63], v[56:57]
	v_add_f32_e32 v4, v68, v4
	v_pk_fma_f32 v[42:43], v[62:63], v[54:55], v[42:43] op_sel:[0,0,1] op_sel_hi:[1,1,0]
	v_mul_f32_e32 v6, v53, v62
	v_pk_add_f32 v[28:29], v[28:29], v[42:43]
	v_lshlrev_b32_e32 v42, 16, v75
	v_and_b32_e32 v43, 0xffff0000, v75
	v_mul_f32_e32 v8, v42, v40
	v_fmac_f32_e32 v8, v43, v38
	v_pk_mul_f32 v[38:39], v[42:43], v[60:61]
	v_fmac_f32_e32 v6, v63, v51
	v_add_f32_e32 v4, v4, v8
	v_pk_fma_f32 v[20:21], v[42:43], v[20:21], v[38:39] op_sel:[0,0,1] op_sel_hi:[1,1,0]
	v_mul_f32_e32 v8, v49, v42
	v_add_f32_e32 v6, v67, v6
	v_pk_add_f32 v[20:21], v[28:29], v[20:21]
	v_fmac_f32_e32 v8, v43, v45
	v_lshlrev_b32_e32 v28, 16, v76
	v_add_f32_e32 v6, v6, v8
	v_and_b32_e32 v29, 0xffff0000, v76
	v_mul_f32_e32 v8, v28, v18
	v_fmac_f32_e32 v8, v29, v16
	v_add_f32_e32 v4, v4, v8
	v_mul_f32_e32 v8, v11, v28
	v_fmac_f32_e32 v8, v29, v9
	v_add_f32_e32 v6, v6, v8
	v_lshlrev_b32_e32 v8, 16, v77
	v_and_b32_e32 v9, 0xffff0000, v77
	v_mul_f32_e32 v10, v8, v14
	v_pk_mul_f32 v[16:17], v[28:29], v[58:59]
	v_fmac_f32_e32 v10, v9, v12
	v_pk_fma_f32 v[2:3], v[28:29], v[2:3], v[16:17] op_sel:[0,0,1] op_sel_hi:[1,1,0]
	v_add_f32_e32 v68, v4, v10
	v_pk_mul_f32 v[10:11], v[8:9], v[22:23]
	v_pk_add_f32 v[2:3], v[20:21], v[2:3]
	v_pk_fma_f32 v[0:1], v[8:9], v[0:1], v[10:11] op_sel:[0,0,1] op_sel_hi:[1,1,0]
	s_nop 0
	v_pk_add_f32 v[28:29], v[2:3], v[0:1]
	v_mul_f32_e32 v0, v7, v8
	v_fmac_f32_e32 v0, v9, v5
	v_add_f32_e32 v67, v6, v0
	s_branch .LBB63_13
.LBB63_16:                              ;   in Loop: Header=BB63_11 Depth=1
	;;#ASMSTART
	s_nop 0
	v_add_f32 v36, v36, v36 row_shr:8 bound_ctrl:0 
	;;#ASMEND
	;;#ASMSTART
	s_nop 0
	v_add_f32 v37, v37, v37 row_shr:8 bound_ctrl:0 
	;;#ASMEND
	;; [unrolled: 4-line block ×16, first 2 shown]
	s_nop 0
	;;#ASMSTART
	s_nop 0
	v_add_f32 v36, v36, v36 row_shr:4 bound_ctrl:0 
	;;#ASMEND
	;;#ASMSTART
	s_nop 0
	v_add_f32 v37, v37, v37 row_shr:4 bound_ctrl:0 
	;;#ASMEND
	;; [unrolled: 4-line block ×16, first 2 shown]
	s_nop 0
	;;#ASMSTART
	s_nop 0
	v_add_f32 v36, v36, v36 row_shr:2 bound_ctrl:0 
	;;#ASMEND
	;;#ASMSTART
	s_nop 0
	v_add_f32 v37, v37, v37 row_shr:2 bound_ctrl:0 
	;;#ASMEND
	;; [unrolled: 4-line block ×16, first 2 shown]
	s_nop 0
	;;#ASMSTART
	s_nop 0
	v_add_f32 v36, v36, v36 wave_shr:1 bound_ctrl:0
	;;#ASMEND
	;;#ASMSTART
	s_nop 0
	v_add_f32 v37, v37, v37 wave_shr:1 bound_ctrl:0
	;;#ASMEND
	;; [unrolled: 4-line block ×16, first 2 shown]
	s_nop 0
	;;#ASMSTART
	s_nop 0
	v_add_f32 v36, v36, v36 row_bcast:15 bound_ctrl:0
	;;#ASMEND
	;;#ASMSTART
	s_nop 0
	v_add_f32 v37, v37, v37 row_bcast:15 bound_ctrl:0
	;;#ASMEND
	;; [unrolled: 4-line block ×16, first 2 shown]
	s_nop 0
	;;#ASMSTART
	s_nop 0
	v_add_f32 v36, v36, v36 row_bcast:31 bound_ctrl:0
	;;#ASMEND
	;;#ASMSTART
	s_nop 0
	v_add_f32 v37, v37, v37 row_bcast:31 bound_ctrl:0
	;;#ASMEND
	;; [unrolled: 4-line block ×16, first 2 shown]
	s_and_saveexec_b64 s[16:17], s[0:1]
	s_cbranch_execz .LBB63_10
; %bb.17:                               ;   in Loop: Header=BB63_11 Depth=1
	v_and_b32_e32 v0, 0x7f800000, v36
	v_cmp_ne_u32_e32 vcc, s25, v0
                                        ; implicit-def: $vgpr2
	s_and_saveexec_b64 s[18:19], vcc
	s_xor_b64 s[18:19], exec, s[18:19]
; %bb.18:                               ;   in Loop: Header=BB63_11 Depth=1
	v_bfe_u32 v0, v36, 16, 1
	v_add3_u32 v2, v36, v0, s26
; %bb.19:                               ;   in Loop: Header=BB63_11 Depth=1
	s_andn2_saveexec_b64 s[18:19], s[18:19]
; %bb.20:                               ;   in Loop: Header=BB63_11 Depth=1
	v_or_b32_e32 v0, 0x10000, v36
	v_cmp_eq_u32_sdwa vcc, v36, v27 src0_sel:WORD_0 src1_sel:DWORD
	s_nop 1
	v_cndmask_b32_e32 v2, v0, v36, vcc
; %bb.21:                               ;   in Loop: Header=BB63_11 Depth=1
	s_or_b64 exec, exec, s[18:19]
	v_mov_b32_e32 v25, v27
	s_waitcnt lgkmcnt(0)
	v_lshl_add_u64 v[0:1], v[24:25], 1, s[8:9]
	global_store_short_d16_hi v[0:1], v2, off
	v_and_b32_e32 v2, 0x7f800000, v37
	v_cmp_ne_u32_e32 vcc, s25, v2
                                        ; implicit-def: $vgpr2
	s_and_saveexec_b64 s[18:19], vcc
	s_xor_b64 s[18:19], exec, s[18:19]
; %bb.22:                               ;   in Loop: Header=BB63_11 Depth=1
	v_bfe_u32 v2, v37, 16, 1
	v_add3_u32 v2, v37, v2, s26
                                        ; implicit-def: $vgpr37
; %bb.23:                               ;   in Loop: Header=BB63_11 Depth=1
	s_andn2_saveexec_b64 s[18:19], s[18:19]
; %bb.24:                               ;   in Loop: Header=BB63_11 Depth=1
	v_or_b32_e32 v2, 0x10000, v37
	v_cmp_eq_u32_sdwa vcc, v37, v27 src0_sel:WORD_0 src1_sel:DWORD
	s_nop 1
	v_cndmask_b32_e32 v2, v2, v37, vcc
; %bb.25:                               ;   in Loop: Header=BB63_11 Depth=1
	s_or_b64 exec, exec, s[18:19]
	global_store_short_d16_hi v[0:1], v2, off offset:2
	v_and_b32_e32 v2, 0x7f800000, v34
	v_cmp_ne_u32_e32 vcc, s25, v2
                                        ; implicit-def: $vgpr2
	s_and_saveexec_b64 s[18:19], vcc
	s_xor_b64 s[18:19], exec, s[18:19]
; %bb.26:                               ;   in Loop: Header=BB63_11 Depth=1
	v_bfe_u32 v2, v34, 16, 1
	v_add3_u32 v2, v34, v2, s26
; %bb.27:                               ;   in Loop: Header=BB63_11 Depth=1
	s_andn2_saveexec_b64 s[18:19], s[18:19]
; %bb.28:                               ;   in Loop: Header=BB63_11 Depth=1
	v_or_b32_e32 v2, 0x10000, v34
	v_cmp_eq_u32_sdwa vcc, v34, v27 src0_sel:WORD_0 src1_sel:DWORD
	s_nop 1
	v_cndmask_b32_e32 v2, v2, v34, vcc
; %bb.29:                               ;   in Loop: Header=BB63_11 Depth=1
	s_or_b64 exec, exec, s[18:19]
	global_store_short_d16_hi v[0:1], v2, off offset:4
	v_and_b32_e32 v2, 0x7f800000, v35
	v_cmp_ne_u32_e32 vcc, s25, v2
                                        ; implicit-def: $vgpr2
	s_and_saveexec_b64 s[18:19], vcc
	s_xor_b64 s[18:19], exec, s[18:19]
; %bb.30:                               ;   in Loop: Header=BB63_11 Depth=1
	v_bfe_u32 v2, v35, 16, 1
	v_add3_u32 v2, v35, v2, s26
                                        ; implicit-def: $vgpr35
; %bb.31:                               ;   in Loop: Header=BB63_11 Depth=1
	s_andn2_saveexec_b64 s[18:19], s[18:19]
; %bb.32:                               ;   in Loop: Header=BB63_11 Depth=1
	v_or_b32_e32 v2, 0x10000, v35
	v_cmp_eq_u32_sdwa vcc, v35, v27 src0_sel:WORD_0 src1_sel:DWORD
	s_nop 1
	v_cndmask_b32_e32 v2, v2, v35, vcc
; %bb.33:                               ;   in Loop: Header=BB63_11 Depth=1
	s_or_b64 exec, exec, s[18:19]
	global_store_short_d16_hi v[0:1], v2, off offset:6
	v_and_b32_e32 v0, 0x7f800000, v72
	v_cmp_ne_u32_e32 vcc, s25, v0
                                        ; implicit-def: $vgpr0
	s_and_saveexec_b64 s[18:19], vcc
	s_xor_b64 s[18:19], exec, s[18:19]
; %bb.34:                               ;   in Loop: Header=BB63_11 Depth=1
	v_bfe_u32 v0, v72, 16, 1
	v_add3_u32 v0, v72, v0, s26
                                        ; implicit-def: $vgpr72
; %bb.35:                               ;   in Loop: Header=BB63_11 Depth=1
	s_andn2_saveexec_b64 s[18:19], s[18:19]
; %bb.36:                               ;   in Loop: Header=BB63_11 Depth=1
	v_or_b32_e32 v0, 0x10000, v72
	v_cmp_eq_u32_sdwa vcc, v72, v27 src0_sel:WORD_0 src1_sel:DWORD
	s_nop 1
	v_cndmask_b32_e32 v0, v0, v72, vcc
; %bb.37:                               ;   in Loop: Header=BB63_11 Depth=1
	s_or_b64 exec, exec, s[18:19]
	v_add_u32_e32 v26, s5, v24
	v_lshl_add_u64 v[2:3], v[26:27], 1, s[8:9]
	global_store_short_d16_hi v[2:3], v0, off
	v_and_b32_e32 v0, 0x7f800000, v33
	v_cmp_ne_u32_e32 vcc, s25, v0
                                        ; implicit-def: $vgpr0
	s_and_saveexec_b64 s[18:19], vcc
	s_xor_b64 s[18:19], exec, s[18:19]
; %bb.38:                               ;   in Loop: Header=BB63_11 Depth=1
	v_bfe_u32 v0, v33, 16, 1
	v_add3_u32 v0, v33, v0, s26
; %bb.39:                               ;   in Loop: Header=BB63_11 Depth=1
	s_andn2_saveexec_b64 s[18:19], s[18:19]
; %bb.40:                               ;   in Loop: Header=BB63_11 Depth=1
	v_or_b32_e32 v0, 0x10000, v33
	v_cmp_eq_u32_sdwa vcc, v33, v27 src0_sel:WORD_0 src1_sel:DWORD
	s_nop 1
	v_cndmask_b32_e32 v0, v0, v33, vcc
; %bb.41:                               ;   in Loop: Header=BB63_11 Depth=1
	s_or_b64 exec, exec, s[18:19]
	v_add_u32_e32 v2, 1, v26
	v_mov_b32_e32 v3, v27
	v_lshl_add_u64 v[2:3], v[2:3], 1, s[8:9]
	global_store_short_d16_hi v[2:3], v0, off
	v_and_b32_e32 v0, 0x7f800000, v32
	v_cmp_ne_u32_e32 vcc, s25, v0
                                        ; implicit-def: $vgpr0
	s_and_saveexec_b64 s[18:19], vcc
	s_xor_b64 s[18:19], exec, s[18:19]
; %bb.42:                               ;   in Loop: Header=BB63_11 Depth=1
	v_bfe_u32 v0, v32, 16, 1
	v_add3_u32 v0, v32, v0, s26
                                        ; implicit-def: $vgpr32
; %bb.43:                               ;   in Loop: Header=BB63_11 Depth=1
	s_andn2_saveexec_b64 s[18:19], s[18:19]
; %bb.44:                               ;   in Loop: Header=BB63_11 Depth=1
	v_or_b32_e32 v0, 0x10000, v32
	v_cmp_eq_u32_sdwa vcc, v32, v27 src0_sel:WORD_0 src1_sel:DWORD
	s_nop 1
	v_cndmask_b32_e32 v0, v0, v32, vcc
; %bb.45:                               ;   in Loop: Header=BB63_11 Depth=1
	s_or_b64 exec, exec, s[18:19]
	v_add_u32_e32 v2, 2, v26
	v_mov_b32_e32 v3, v27
	v_lshl_add_u64 v[2:3], v[2:3], 1, s[8:9]
	global_store_short_d16_hi v[2:3], v0, off
	v_and_b32_e32 v0, 0x7f800000, v71
	v_cmp_ne_u32_e32 vcc, s25, v0
                                        ; implicit-def: $vgpr0
	s_and_saveexec_b64 s[18:19], vcc
	s_xor_b64 s[18:19], exec, s[18:19]
; %bb.46:                               ;   in Loop: Header=BB63_11 Depth=1
	v_bfe_u32 v0, v71, 16, 1
	v_add3_u32 v0, v71, v0, s26
                                        ; implicit-def: $vgpr71
; %bb.47:                               ;   in Loop: Header=BB63_11 Depth=1
	s_andn2_saveexec_b64 s[18:19], s[18:19]
; %bb.48:                               ;   in Loop: Header=BB63_11 Depth=1
	v_or_b32_e32 v0, 0x10000, v71
	v_cmp_eq_u32_sdwa vcc, v71, v27 src0_sel:WORD_0 src1_sel:DWORD
	s_nop 1
	v_cndmask_b32_e32 v0, v0, v71, vcc
; %bb.49:                               ;   in Loop: Header=BB63_11 Depth=1
	s_or_b64 exec, exec, s[18:19]
	v_add_u32_e32 v2, 3, v26
	v_mov_b32_e32 v3, v27
	v_lshl_add_u64 v[2:3], v[2:3], 1, s[8:9]
	global_store_short_d16_hi v[2:3], v0, off
	v_and_b32_e32 v0, 0x7f800000, v70
	v_cmp_ne_u32_e32 vcc, s25, v0
                                        ; implicit-def: $vgpr2
	s_and_saveexec_b64 s[18:19], vcc
	s_xor_b64 s[18:19], exec, s[18:19]
; %bb.50:                               ;   in Loop: Header=BB63_11 Depth=1
	v_bfe_u32 v0, v70, 16, 1
	v_add3_u32 v2, v70, v0, s26
                                        ; implicit-def: $vgpr70
; %bb.51:                               ;   in Loop: Header=BB63_11 Depth=1
	s_andn2_saveexec_b64 s[18:19], s[18:19]
; %bb.52:                               ;   in Loop: Header=BB63_11 Depth=1
	v_or_b32_e32 v0, 0x10000, v70
	v_cmp_eq_u32_sdwa vcc, v70, v27 src0_sel:WORD_0 src1_sel:DWORD
	s_nop 1
	v_cndmask_b32_e32 v2, v0, v70, vcc
; %bb.53:                               ;   in Loop: Header=BB63_11 Depth=1
	s_or_b64 exec, exec, s[18:19]
	v_add_u32_e32 v26, s5, v26
	v_lshl_add_u64 v[0:1], v[26:27], 1, s[8:9]
	global_store_short_d16_hi v[0:1], v2, off
	v_and_b32_e32 v2, 0x7f800000, v31
	v_cmp_ne_u32_e32 vcc, s25, v2
                                        ; implicit-def: $vgpr2
	s_and_saveexec_b64 s[18:19], vcc
	s_xor_b64 s[18:19], exec, s[18:19]
; %bb.54:                               ;   in Loop: Header=BB63_11 Depth=1
	v_bfe_u32 v2, v31, 16, 1
	v_add3_u32 v2, v31, v2, s26
; %bb.55:                               ;   in Loop: Header=BB63_11 Depth=1
	s_andn2_saveexec_b64 s[18:19], s[18:19]
; %bb.56:                               ;   in Loop: Header=BB63_11 Depth=1
	v_or_b32_e32 v2, 0x10000, v31
	v_cmp_eq_u32_sdwa vcc, v31, v27 src0_sel:WORD_0 src1_sel:DWORD
	s_nop 1
	v_cndmask_b32_e32 v2, v2, v31, vcc
; %bb.57:                               ;   in Loop: Header=BB63_11 Depth=1
	s_or_b64 exec, exec, s[18:19]
	global_store_short_d16_hi v[0:1], v2, off offset:2
	v_and_b32_e32 v0, 0x7f800000, v30
	v_cmp_ne_u32_e32 vcc, s25, v0
                                        ; implicit-def: $vgpr0
	s_and_saveexec_b64 s[18:19], vcc
	s_xor_b64 s[18:19], exec, s[18:19]
; %bb.58:                               ;   in Loop: Header=BB63_11 Depth=1
	v_bfe_u32 v0, v30, 16, 1
	v_add3_u32 v0, v30, v0, s26
                                        ; implicit-def: $vgpr30
; %bb.59:                               ;   in Loop: Header=BB63_11 Depth=1
	s_andn2_saveexec_b64 s[18:19], s[18:19]
; %bb.60:                               ;   in Loop: Header=BB63_11 Depth=1
	v_or_b32_e32 v0, 0x10000, v30
	v_cmp_eq_u32_sdwa vcc, v30, v27 src0_sel:WORD_0 src1_sel:DWORD
	s_nop 1
	v_cndmask_b32_e32 v0, v0, v30, vcc
; %bb.61:                               ;   in Loop: Header=BB63_11 Depth=1
	s_or_b64 exec, exec, s[18:19]
	v_add_u32_e32 v2, 2, v26
	v_mov_b32_e32 v3, v27
	v_lshl_add_u64 v[2:3], v[2:3], 1, s[8:9]
	global_store_short_d16_hi v[2:3], v0, off
	v_and_b32_e32 v0, 0x7f800000, v69
	v_cmp_ne_u32_e32 vcc, s25, v0
                                        ; implicit-def: $vgpr0
	s_and_saveexec_b64 s[18:19], vcc
	s_xor_b64 s[18:19], exec, s[18:19]
; %bb.62:                               ;   in Loop: Header=BB63_11 Depth=1
	v_bfe_u32 v0, v69, 16, 1
	v_add3_u32 v0, v69, v0, s26
                                        ; implicit-def: $vgpr69
; %bb.63:                               ;   in Loop: Header=BB63_11 Depth=1
	s_andn2_saveexec_b64 s[18:19], s[18:19]
; %bb.64:                               ;   in Loop: Header=BB63_11 Depth=1
	v_or_b32_e32 v0, 0x10000, v69
	v_cmp_eq_u32_sdwa vcc, v69, v27 src0_sel:WORD_0 src1_sel:DWORD
	s_nop 1
	v_cndmask_b32_e32 v0, v0, v69, vcc
; %bb.65:                               ;   in Loop: Header=BB63_11 Depth=1
	s_or_b64 exec, exec, s[18:19]
	v_add_u32_e32 v2, 3, v26
	v_mov_b32_e32 v3, v27
	v_lshl_add_u64 v[2:3], v[2:3], 1, s[8:9]
	global_store_short_d16_hi v[2:3], v0, off
	v_and_b32_e32 v0, 0x7f800000, v68
	v_cmp_ne_u32_e32 vcc, s25, v0
                                        ; implicit-def: $vgpr0
	s_and_saveexec_b64 s[18:19], vcc
	s_xor_b64 s[18:19], exec, s[18:19]
; %bb.66:                               ;   in Loop: Header=BB63_11 Depth=1
	v_bfe_u32 v0, v68, 16, 1
	v_add3_u32 v0, v68, v0, s26
                                        ; implicit-def: $vgpr68
; %bb.67:                               ;   in Loop: Header=BB63_11 Depth=1
	s_andn2_saveexec_b64 s[18:19], s[18:19]
; %bb.68:                               ;   in Loop: Header=BB63_11 Depth=1
	v_or_b32_e32 v0, 0x10000, v68
	v_cmp_eq_u32_sdwa vcc, v68, v27 src0_sel:WORD_0 src1_sel:DWORD
	s_nop 1
	v_cndmask_b32_e32 v0, v0, v68, vcc
; %bb.69:                               ;   in Loop: Header=BB63_11 Depth=1
	s_or_b64 exec, exec, s[18:19]
	v_add_u32_e32 v26, s5, v26
	v_lshl_add_u64 v[2:3], v[26:27], 1, s[8:9]
	global_store_short_d16_hi v[2:3], v0, off
	v_and_b32_e32 v0, 0x7f800000, v29
	v_cmp_ne_u32_e32 vcc, s25, v0
                                        ; implicit-def: $vgpr0
	s_and_saveexec_b64 s[18:19], vcc
	s_xor_b64 s[18:19], exec, s[18:19]
; %bb.70:                               ;   in Loop: Header=BB63_11 Depth=1
	v_bfe_u32 v0, v29, 16, 1
	v_add3_u32 v0, v29, v0, s26
; %bb.71:                               ;   in Loop: Header=BB63_11 Depth=1
	s_andn2_saveexec_b64 s[18:19], s[18:19]
; %bb.72:                               ;   in Loop: Header=BB63_11 Depth=1
	v_or_b32_e32 v0, 0x10000, v29
	v_cmp_eq_u32_sdwa vcc, v29, v27 src0_sel:WORD_0 src1_sel:DWORD
	s_nop 1
	v_cndmask_b32_e32 v0, v0, v29, vcc
; %bb.73:                               ;   in Loop: Header=BB63_11 Depth=1
	s_or_b64 exec, exec, s[18:19]
	v_add_u32_e32 v2, 1, v26
	v_mov_b32_e32 v3, v27
	v_lshl_add_u64 v[2:3], v[2:3], 1, s[8:9]
	global_store_short_d16_hi v[2:3], v0, off
	v_and_b32_e32 v0, 0x7f800000, v28
	v_cmp_ne_u32_e32 vcc, s25, v0
                                        ; implicit-def: $vgpr0
	s_and_saveexec_b64 s[18:19], vcc
	s_xor_b64 s[18:19], exec, s[18:19]
; %bb.74:                               ;   in Loop: Header=BB63_11 Depth=1
	v_bfe_u32 v0, v28, 16, 1
	v_add3_u32 v0, v28, v0, s26
                                        ; implicit-def: $vgpr28
; %bb.75:                               ;   in Loop: Header=BB63_11 Depth=1
	s_andn2_saveexec_b64 s[18:19], s[18:19]
; %bb.76:                               ;   in Loop: Header=BB63_11 Depth=1
	v_or_b32_e32 v0, 0x10000, v28
	v_cmp_eq_u32_sdwa vcc, v28, v27 src0_sel:WORD_0 src1_sel:DWORD
	s_nop 1
	v_cndmask_b32_e32 v0, v0, v28, vcc
; %bb.77:                               ;   in Loop: Header=BB63_11 Depth=1
	s_or_b64 exec, exec, s[18:19]
	v_add_u32_e32 v2, 2, v26
	v_mov_b32_e32 v3, v27
	v_lshl_add_u64 v[2:3], v[2:3], 1, s[8:9]
	global_store_short_d16_hi v[2:3], v0, off
	v_and_b32_e32 v0, 0x7f800000, v67
	v_cmp_ne_u32_e32 vcc, s25, v0
                                        ; implicit-def: $vgpr0
	s_and_saveexec_b64 s[18:19], vcc
	s_xor_b64 s[18:19], exec, s[18:19]
; %bb.78:                               ;   in Loop: Header=BB63_11 Depth=1
	v_bfe_u32 v0, v67, 16, 1
	v_add3_u32 v0, v67, v0, s26
                                        ; implicit-def: $vgpr67
; %bb.79:                               ;   in Loop: Header=BB63_11 Depth=1
	s_andn2_saveexec_b64 s[18:19], s[18:19]
	s_cbranch_execz .LBB63_9
; %bb.80:                               ;   in Loop: Header=BB63_11 Depth=1
	v_or_b32_e32 v0, 0x10000, v67
	v_cmp_eq_u32_sdwa vcc, v67, v27 src0_sel:WORD_0 src1_sel:DWORD
	s_nop 1
	v_cndmask_b32_e32 v0, v0, v67, vcc
	s_branch .LBB63_9
.LBB63_81:
	s_endpgm
	.section	.rodata,"a",@progbits
	.p2align	6, 0x0
	.amdhsa_kernel _ZN5aiter16wvSplitK_hf_sml_I14__hip_bfloat16Li64ELi4ELi16ELi8ELi1ELi4EEEviiPKT_S4_PS2_ii
		.amdhsa_group_segment_fixed_size 65536
		.amdhsa_private_segment_fixed_size 0
		.amdhsa_kernarg_size 40
		.amdhsa_user_sgpr_count 2
		.amdhsa_user_sgpr_dispatch_ptr 0
		.amdhsa_user_sgpr_queue_ptr 0
		.amdhsa_user_sgpr_kernarg_segment_ptr 1
		.amdhsa_user_sgpr_dispatch_id 0
		.amdhsa_user_sgpr_kernarg_preload_length 0
		.amdhsa_user_sgpr_kernarg_preload_offset 0
		.amdhsa_user_sgpr_private_segment_size 0
		.amdhsa_uses_dynamic_stack 0
		.amdhsa_enable_private_segment 0
		.amdhsa_system_sgpr_workgroup_id_x 1
		.amdhsa_system_sgpr_workgroup_id_y 0
		.amdhsa_system_sgpr_workgroup_id_z 0
		.amdhsa_system_sgpr_workgroup_info 0
		.amdhsa_system_vgpr_workitem_id 1
		.amdhsa_next_free_vgpr 96
		.amdhsa_next_free_sgpr 27
		.amdhsa_accum_offset 96
		.amdhsa_reserve_vcc 1
		.amdhsa_float_round_mode_32 0
		.amdhsa_float_round_mode_16_64 0
		.amdhsa_float_denorm_mode_32 3
		.amdhsa_float_denorm_mode_16_64 3
		.amdhsa_dx10_clamp 1
		.amdhsa_ieee_mode 1
		.amdhsa_fp16_overflow 0
		.amdhsa_tg_split 0
		.amdhsa_exception_fp_ieee_invalid_op 0
		.amdhsa_exception_fp_denorm_src 0
		.amdhsa_exception_fp_ieee_div_zero 0
		.amdhsa_exception_fp_ieee_overflow 0
		.amdhsa_exception_fp_ieee_underflow 0
		.amdhsa_exception_fp_ieee_inexact 0
		.amdhsa_exception_int_div_zero 0
	.end_amdhsa_kernel
	.section	.text._ZN5aiter16wvSplitK_hf_sml_I14__hip_bfloat16Li64ELi4ELi16ELi8ELi1ELi4EEEviiPKT_S4_PS2_ii,"axG",@progbits,_ZN5aiter16wvSplitK_hf_sml_I14__hip_bfloat16Li64ELi4ELi16ELi8ELi1ELi4EEEviiPKT_S4_PS2_ii,comdat
.Lfunc_end63:
	.size	_ZN5aiter16wvSplitK_hf_sml_I14__hip_bfloat16Li64ELi4ELi16ELi8ELi1ELi4EEEviiPKT_S4_PS2_ii, .Lfunc_end63-_ZN5aiter16wvSplitK_hf_sml_I14__hip_bfloat16Li64ELi4ELi16ELi8ELi1ELi4EEEviiPKT_S4_PS2_ii
                                        ; -- End function
	.section	.AMDGPU.csdata,"",@progbits
; Kernel info:
; codeLenInByte = 4960
; NumSgprs: 33
; NumVgprs: 96
; NumAgprs: 0
; TotalNumVgprs: 96
; ScratchSize: 0
; MemoryBound: 0
; FloatMode: 240
; IeeeMode: 1
; LDSByteSize: 65536 bytes/workgroup (compile time only)
; SGPRBlocks: 4
; VGPRBlocks: 11
; NumSGPRsForWavesPerEU: 33
; NumVGPRsForWavesPerEU: 96
; AccumOffset: 96
; Occupancy: 4
; WaveLimiterHint : 0
; COMPUTE_PGM_RSRC2:SCRATCH_EN: 0
; COMPUTE_PGM_RSRC2:USER_SGPR: 2
; COMPUTE_PGM_RSRC2:TRAP_HANDLER: 0
; COMPUTE_PGM_RSRC2:TGID_X_EN: 1
; COMPUTE_PGM_RSRC2:TGID_Y_EN: 0
; COMPUTE_PGM_RSRC2:TGID_Z_EN: 0
; COMPUTE_PGM_RSRC2:TIDIG_COMP_CNT: 1
; COMPUTE_PGM_RSRC3_GFX90A:ACCUM_OFFSET: 23
; COMPUTE_PGM_RSRC3_GFX90A:TG_SPLIT: 0
	.section	.text._ZN5aiter12wvSplitK_hf_I14__hip_bfloat16Li64ELi7ELi16ELi8ELi1ELi4EEEviiPKT_S4_PS2_ii,"axG",@progbits,_ZN5aiter12wvSplitK_hf_I14__hip_bfloat16Li64ELi7ELi16ELi8ELi1ELi4EEEviiPKT_S4_PS2_ii,comdat
	.protected	_ZN5aiter12wvSplitK_hf_I14__hip_bfloat16Li64ELi7ELi16ELi8ELi1ELi4EEEviiPKT_S4_PS2_ii ; -- Begin function _ZN5aiter12wvSplitK_hf_I14__hip_bfloat16Li64ELi7ELi16ELi8ELi1ELi4EEEviiPKT_S4_PS2_ii
	.globl	_ZN5aiter12wvSplitK_hf_I14__hip_bfloat16Li64ELi7ELi16ELi8ELi1ELi4EEEviiPKT_S4_PS2_ii
	.p2align	8
	.type	_ZN5aiter12wvSplitK_hf_I14__hip_bfloat16Li64ELi7ELi16ELi8ELi1ELi4EEEviiPKT_S4_PS2_ii,@function
_ZN5aiter12wvSplitK_hf_I14__hip_bfloat16Li64ELi7ELi16ELi8ELi1ELi4EEEviiPKT_S4_PS2_ii: ; @_ZN5aiter12wvSplitK_hf_I14__hip_bfloat16Li64ELi7ELi16ELi8ELi1ELi4EEEviiPKT_S4_PS2_ii
; %bb.0:
	s_load_dwordx2 s[12:13], s[0:1], 0x20
	s_load_dwordx2 s[18:19], s[0:1], 0x0
	;; [unrolled: 1-line block ×3, first 2 shown]
	v_bfe_u32 v9, v0, 10, 10
	s_mov_b32 s4, 1
	s_waitcnt lgkmcnt(0)
	s_mul_i32 s2, s2, s12
	v_add_u32_e32 v1, s2, v9
	v_mul_lo_u32 v18, v1, 7
	v_add_u32_e32 v1, 7, v18
	v_cmp_gt_u32_e32 vcc, s19, v18
	v_cmp_le_u32_e64 s[2:3], s19, v1
	s_mov_b32 s5, s4
	s_mov_b32 s6, s4
	;; [unrolled: 1-line block ×6, first 2 shown]
	v_mov_b32_e32 v2, s4
	s_and_b64 s[14:15], vcc, s[2:3]
	v_mov_b32_e32 v3, s5
	v_mov_b32_e32 v4, s6
	;; [unrolled: 1-line block ×6, first 2 shown]
	s_and_saveexec_b64 s[2:3], s[14:15]
	s_cbranch_execz .LBB64_6
; %bb.1:
	s_add_i32 s11, s19, -7
	v_mov_b32_e32 v2, s4
	v_cmp_ne_u32_e32 vcc, s11, v18
	v_mov_b32_e32 v3, s5
	v_mov_b32_e32 v4, s6
	;; [unrolled: 1-line block ×6, first 2 shown]
	s_and_saveexec_b64 s[14:15], vcc
	s_cbranch_execz .LBB64_5
; %bb.2:
	v_subrev_u32_e32 v1, s11, v18
	v_cmp_lt_u32_e32 vcc, 1, v1
	s_mov_b64 s[16:17], 0
	s_mov_b64 s[22:23], 0
	v_cndmask_b32_e32 v10, 1, v1, vcc
	s_mov_b32 s5, s4
	s_mov_b32 s6, s4
	s_mov_b32 s7, s4
	s_mov_b32 s8, s4
	s_mov_b32 s9, s4
	s_mov_b32 s10, s4
.LBB64_3:                               ; =>This Inner Loop Header: Depth=1
	s_cmp_lg_u32 s22, 6
	s_cselect_b32 s10, s10, 0
	s_cmp_lg_u32 s22, 5
	s_cselect_b32 s9, s9, 0
	;; [unrolled: 2-line block ×7, first 2 shown]
	s_add_u32 s22, s22, 1
	s_addc_u32 s23, s23, 0
	v_cmp_eq_u32_e32 vcc, s22, v10
	v_mov_b32_e32 v2, s4
	s_or_b64 s[16:17], vcc, s[16:17]
	v_mov_b32_e32 v3, s5
	v_mov_b32_e32 v4, s6
	;; [unrolled: 1-line block ×6, first 2 shown]
	s_andn2_b64 exec, exec, s[16:17]
	s_cbranch_execnz .LBB64_3
; %bb.4:
	s_or_b64 exec, exec, s[16:17]
	v_mov_b32_e32 v18, s11
.LBB64_5:
	s_or_b64 exec, exec, s[14:15]
.LBB64_6:
	s_or_b64 exec, exec, s[2:3]
	v_and_b32_e32 v10, 0x3ff, v0
	s_lshl_b32 s33, s18, 2
	v_lshlrev_b32_e32 v0, 3, v10
	s_cmp_lg_u32 s18, 0
	scratch_store_dwordx2 off, v[0:1], off offset:108 ; 8-byte Folded Spill
	s_mov_b32 s10, 0
	s_cselect_b64 s[4:5], -1, 0
	s_cmp_eq_u32 s18, 0
	v_lshlrev_b32_e32 v0, 4, v10
	scratch_store_dword off, v0, off offset:148 ; 4-byte Folded Spill
	s_cbranch_scc1 .LBB64_12
; %bb.7:
	v_lshlrev_b32_e32 v0, 4, v10
	v_lshl_add_u32 v11, v9, 10, v0
	v_lshlrev_b32_e32 v0, 3, v10
	s_min_i32 s11, s33, 0x8000
	v_lshl_add_u32 v12, v9, 9, v0
	s_mov_b64 s[2:3], 0
	v_mov_b32_e32 v1, 0
                                        ; implicit-def: $sgpr6_sgpr7
	s_branch .LBB64_9
.LBB64_8:                               ;   in Loop: Header=BB64_9 Depth=1
	s_or_b64 exec, exec, s[8:9]
	s_and_b64 s[8:9], exec, s[6:7]
	s_or_b64 s[2:3], s[8:9], s[2:3]
	s_andn2_b64 exec, exec, s[2:3]
	s_cbranch_execz .LBB64_11
.LBB64_9:                               ; =>This Inner Loop Header: Depth=1
	v_add_u32_e32 v0, s10, v12
	v_cmp_gt_u32_e32 vcc, s11, v0
	s_or_b64 s[6:7], s[6:7], exec
	s_and_saveexec_b64 s[8:9], vcc
	s_cbranch_execz .LBB64_8
; %bb.10:                               ;   in Loop: Header=BB64_9 Depth=1
	v_lshl_add_u64 v[14:15], v[0:1], 1, s[20:21]
	global_load_dwordx4 v[14:17], v[14:15], off
	s_addk_i32 s10, 0x2000
	s_cmp_ge_u32 s10, s11
	s_cselect_b64 s[14:15], -1, 0
	s_andn2_b64 s[6:7], s[6:7], exec
	s_and_b64 s[14:15], s[14:15], exec
	s_or_b64 s[6:7], s[6:7], s[14:15]
	s_waitcnt vmcnt(0)
	ds_write_b128 v11, v[14:17]
	v_add_u32_e32 v11, 0x4000, v11
	s_branch .LBB64_8
.LBB64_11:
	s_or_b64 exec, exec, s[2:3]
.LBB64_12:
	v_cmp_gt_u32_e32 vcc, s12, v9
	v_cmp_gt_u32_e64 s[2:3], s19, v18
	v_mov_b32_e32 v0, v18
	s_and_b64 s[2:3], vcc, s[2:3]
	s_waitcnt lgkmcnt(0)
	s_barrier
	scratch_store_dwordx2 off, v[0:1], off offset:140 ; 8-byte Folded Spill
	s_and_saveexec_b64 s[6:7], s[2:3]
	s_cbranch_execz .LBB64_221
; %bb.13:
	s_load_dwordx2 s[22:23], s[0:1], 0x8
	s_load_dwordx2 s[24:25], s[0:1], 0x18
	scratch_load_dwordx2 v[0:1], off, off offset:108 ; 8-byte Folded Reload
	s_lshl_b32 s42, s18, 1
	v_cmp_eq_u32_e64 s[0:1], 63, v10
	s_mul_i32 s40, s12, s13
	s_ashr_i32 s27, s18, 31
	s_mov_b32 s26, s18
	s_mul_i32 s40, s40, 7
	s_add_i32 s41, s19, -7
	s_lshl_b64 s[28:29], s[26:27], 1
	s_mul_i32 s43, s18, 6
	s_mov_b64 s[30:31], 0
	v_mov_b32_e32 v59, 0
	s_movk_i32 s44, 0x7fff
	s_mov_b32 s45, 0x7f800000
                                        ; implicit-def: $vgpr34_vgpr35_vgpr36_vgpr37
                                        ; implicit-def: $vgpr30_vgpr31_vgpr32_vgpr33
                                        ; implicit-def: $vgpr26_vgpr27_vgpr28_vgpr29
                                        ; implicit-def: $vgpr22_vgpr23_vgpr24_vgpr25
                                        ; implicit-def: $vgpr18_vgpr19_vgpr20_vgpr21
                                        ; implicit-def: $vgpr14_vgpr15_vgpr16_vgpr17
                                        ; implicit-def: $vgpr41
                                        ; implicit-def: $vgpr45
                                        ; implicit-def: $vgpr49
                                        ; implicit-def: $vgpr53
	s_waitcnt vmcnt(0)
	v_add_u32_e32 v1, s42, v0
	v_mad_u64_u32 v[10:11], s[2:3], s18, 3, v[0:1]
	v_add_u32_e32 v0, s18, v0
	scratch_store_dword off, v0, off offset:136 ; 4-byte Folded Spill
	v_cndmask_b32_e64 v0, 0, 1, s[4:5]
	v_cmp_ne_u32_e64 s[2:3], 1, v0
	scratch_store_dword off, v1, off offset:132 ; 4-byte Folded Spill
	scratch_store_dwordx2 off, v[10:11], off offset:124 ; 8-byte Folded Spill
                                        ; implicit-def: $vgpr10_vgpr11_vgpr12_vgpr13
	s_branch .LBB64_16
.LBB64_14:                              ;   in Loop: Header=BB64_16 Depth=1
	s_or_b64 exec, exec, s[8:9]
	v_mov_b32_e32 v54, s41
.LBB64_15:                              ;   in Loop: Header=BB64_16 Depth=1
	s_or_b64 exec, exec, s[6:7]
	v_cmp_le_u32_e32 vcc, s19, v54
	v_mov_b32_e32 v0, v54
	s_or_b64 s[30:31], vcc, s[30:31]
	scratch_store_dwordx2 off, v[0:1], off offset:140 ; 8-byte Folded Spill
	s_andn2_b64 exec, exec, s[30:31]
	s_cbranch_execz .LBB64_221
.LBB64_16:                              ; =>This Loop Header: Depth=1
                                        ;     Child Loop BB64_19 Depth 2
                                        ;     Child Loop BB64_219 Depth 2
	s_and_b64 vcc, exec, s[2:3]
	s_mov_b32 s8, 0
	s_cbranch_vccnz .LBB64_46
; %bb.17:                               ;   in Loop: Header=BB64_16 Depth=1
	scratch_load_dwordx2 v[0:1], off, off offset:108 ; 8-byte Folded Reload
	scratch_load_dwordx2 v[54:55], off, off offset:140 ; 8-byte Folded Reload
	scratch_load_dword v9, off, off offset:148 ; 4-byte Folded Reload
	v_mov_b32_e32 v81, 0
	s_waitcnt vmcnt(1)
	v_mad_u64_u32 v[0:1], s[4:5], v54, s18, v[0:1]
	scratch_store_dwordx2 off, v[0:1], off offset:116 ; 8-byte Folded Spill
	v_mov_b32_e32 v0, 0
	scratch_store_dword off, v0, off offset:104 ; 4-byte Folded Spill
	v_mov_b32_e32 v0, 0
	v_mov_b32_e32 v54, 0
	scratch_store_dword off, v0, off offset:72 ; 4-byte Folded Spill
	v_mov_b32_e32 v0, 0
	scratch_store_dword off, v0, off offset:100 ; 4-byte Folded Spill
	v_mov_b32_e32 v0, 0
	v_mov_b32_e32 v1, v54
	scratch_store_dwordx2 off, v[0:1], off offset:76 ; 8-byte Folded Spill
	v_mov_b32_e32 v0, 0
	scratch_store_dwordx2 off, v[0:1], off offset:84 ; 8-byte Folded Spill
	;; [unrolled: 2-line block ×9, first 2 shown]
	v_mov_b32_e32 v0, 0
	scratch_store_dwordx2 off, v[0:1], off  ; 8-byte Folded Spill
	v_mov_b32_e32 v0, 0
	scratch_store_dwordx2 off, v[0:1], off offset:8 ; 8-byte Folded Spill
	v_mov_b32_e32 v0, 0
	scratch_store_dwordx2 off, v[0:1], off offset:16 ; 8-byte Folded Spill
	s_branch .LBB64_19
.LBB64_18:                              ;   in Loop: Header=BB64_19 Depth=2
	s_or_b64 exec, exec, s[4:5]
	s_addk_i32 s8, 0x200
	s_cmp_ge_u32 s8, s18
	v_add_u32_e32 v9, 0x400, v9
	s_cbranch_scc1 .LBB64_45
.LBB64_19:                              ;   Parent Loop BB64_16 Depth=1
                                        ; =>  This Inner Loop Header: Depth=2
	scratch_load_dwordx2 v[0:1], off, off offset:108 ; 8-byte Folded Reload
	s_waitcnt vmcnt(0)
	v_add_u32_e32 v0, s8, v0
	v_cmp_gt_u32_e32 vcc, s18, v0
	s_and_saveexec_b64 s[6:7], vcc
	s_cbranch_execz .LBB64_37
; %bb.20:                               ;   in Loop: Header=BB64_19 Depth=2
	scratch_load_dwordx2 v[10:11], off, off offset:116 ; 8-byte Folded Reload
	v_cmp_lt_u32_e64 s[4:5], s44, v0
                                        ; implicit-def: $vgpr38
	s_waitcnt vmcnt(0)
	v_add_u32_e32 v58, s8, v10
	s_waitcnt lgkmcnt(0)
	v_lshl_add_u64 v[18:19], v[58:59], 1, s[22:23]
	v_lshl_add_u64 v[20:21], s[26:27], 1, v[18:19]
	global_load_dwordx4 v[10:13], v[18:19], off nt
	global_load_dwordx4 v[14:17], v[20:21], off nt
	v_lshl_add_u64 v[18:19], v[20:21], 0, s[28:29]
	v_lshl_add_u64 v[26:27], v[18:19], 0, s[28:29]
	global_load_dwordx4 v[18:21], v[18:19], off nt
	s_nop 0
	global_load_dwordx4 v[22:25], v[26:27], off nt
	v_lshl_add_u64 v[26:27], v[26:27], 0, s[28:29]
	v_lshl_add_u64 v[34:35], v[26:27], 0, s[28:29]
	global_load_dwordx4 v[26:29], v[26:27], off nt
	s_nop 0
	global_load_dwordx4 v[30:33], v[34:35], off nt
	v_lshl_add_u64 v[34:35], v[34:35], 0, s[28:29]
	global_load_dwordx4 v[34:37], v[34:35], off nt
	s_and_saveexec_b64 s[10:11], s[4:5]
	s_xor_b64 s[4:5], exec, s[10:11]
	s_cbranch_execz .LBB64_22
; %bb.21:                               ;   in Loop: Header=BB64_19 Depth=2
	v_mov_b32_e32 v1, v59
	v_lshl_add_u64 v[0:1], v[0:1], 1, s[20:21]
	global_load_dwordx4 v[38:41], v[0:1], off
.LBB64_22:                              ;   in Loop: Header=BB64_19 Depth=2
	s_andn2_saveexec_b64 s[4:5], s[4:5]
	s_cbranch_execz .LBB64_24
; %bb.23:                               ;   in Loop: Header=BB64_19 Depth=2
	s_waitcnt vmcnt(0)
	ds_read_b128 v[38:41], v9
.LBB64_24:                              ;   in Loop: Header=BB64_19 Depth=2
	s_or_b64 exec, exec, s[4:5]
	scratch_load_dword v0, off, off offset:136 ; 4-byte Folded Reload
                                        ; implicit-def: $vgpr42
	s_waitcnt vmcnt(0)
	v_add_u32_e32 v58, s8, v0
	v_cmp_lt_u32_e64 s[4:5], s44, v58
	s_and_saveexec_b64 s[10:11], s[4:5]
	s_xor_b64 s[4:5], exec, s[10:11]
	s_cbranch_execz .LBB64_26
; %bb.25:                               ;   in Loop: Header=BB64_19 Depth=2
	v_lshl_add_u64 v[0:1], v[58:59], 1, s[20:21]
	global_load_dwordx4 v[42:45], v[0:1], off
.LBB64_26:                              ;   in Loop: Header=BB64_19 Depth=2
	s_andn2_saveexec_b64 s[4:5], s[4:5]
	s_cbranch_execz .LBB64_28
; %bb.27:                               ;   in Loop: Header=BB64_19 Depth=2
	v_add_u32_e32 v0, s42, v9
	s_waitcnt vmcnt(0)
	ds_read_b128 v[42:45], v0
.LBB64_28:                              ;   in Loop: Header=BB64_19 Depth=2
	s_or_b64 exec, exec, s[4:5]
	scratch_load_dword v0, off, off offset:132 ; 4-byte Folded Reload
                                        ; implicit-def: $vgpr46
	s_waitcnt vmcnt(0)
	v_add_u32_e32 v58, s8, v0
	v_cmp_lt_u32_e64 s[4:5], s44, v58
	s_and_saveexec_b64 s[10:11], s[4:5]
	s_xor_b64 s[4:5], exec, s[10:11]
	s_cbranch_execz .LBB64_30
; %bb.29:                               ;   in Loop: Header=BB64_19 Depth=2
	v_lshl_add_u64 v[0:1], v[58:59], 1, s[20:21]
	global_load_dwordx4 v[46:49], v[0:1], off
.LBB64_30:                              ;   in Loop: Header=BB64_19 Depth=2
	s_andn2_saveexec_b64 s[4:5], s[4:5]
	s_cbranch_execz .LBB64_32
; %bb.31:                               ;   in Loop: Header=BB64_19 Depth=2
	v_add_u32_e32 v0, s33, v9
	s_waitcnt vmcnt(0)
	ds_read2_b32 v[46:47], v0 offset1:1
	ds_read2_b32 v[48:49], v0 offset0:2 offset1:3
.LBB64_32:                              ;   in Loop: Header=BB64_19 Depth=2
	s_or_b64 exec, exec, s[4:5]
	scratch_load_dwordx2 v[0:1], off, off offset:124 ; 8-byte Folded Reload
                                        ; implicit-def: $vgpr50
	s_waitcnt vmcnt(0)
	v_add_u32_e32 v58, s8, v0
	v_cmp_lt_u32_e64 s[4:5], s44, v58
	s_and_saveexec_b64 s[10:11], s[4:5]
	s_xor_b64 s[4:5], exec, s[10:11]
	s_cbranch_execz .LBB64_34
; %bb.33:                               ;   in Loop: Header=BB64_19 Depth=2
	v_lshl_add_u64 v[0:1], v[58:59], 1, s[20:21]
	global_load_dwordx4 v[50:53], v[0:1], off
.LBB64_34:                              ;   in Loop: Header=BB64_19 Depth=2
	s_andn2_saveexec_b64 s[4:5], s[4:5]
	s_cbranch_execz .LBB64_36
; %bb.35:                               ;   in Loop: Header=BB64_19 Depth=2
	v_add_u32_e32 v0, s43, v9
	s_waitcnt vmcnt(0)
	ds_read_b128 v[50:53], v0
.LBB64_36:                              ;   in Loop: Header=BB64_19 Depth=2
	s_or_b64 exec, exec, s[4:5]
.LBB64_37:                              ;   in Loop: Header=BB64_19 Depth=2
	s_or_b64 exec, exec, s[6:7]
	v_lshlrev_b32_e32 v60, 16, v10
	v_lshlrev_b32_e32 v91, 16, v11
	v_and_b32_e32 v0, 0xffff0000, v10
	v_and_b32_e32 v93, 0xffff0000, v11
	v_lshlrev_b32_e32 v114, 16, v12
	v_lshlrev_b32_e32 v87, 16, v13
	v_and_b32_e32 v112, 0xffff0000, v12
	v_and_b32_e32 v89, 0xffff0000, v13
	;; [unrolled: 4-line block ×14, first 2 shown]
	s_and_saveexec_b64 s[4:5], vcc
	s_cbranch_execnz .LBB64_41
; %bb.38:                               ;   in Loop: Header=BB64_19 Depth=2
	s_or_b64 exec, exec, s[4:5]
	s_and_saveexec_b64 s[4:5], vcc
	s_cbranch_execnz .LBB64_42
.LBB64_39:                              ;   in Loop: Header=BB64_19 Depth=2
	s_or_b64 exec, exec, s[4:5]
	s_and_saveexec_b64 s[4:5], vcc
	s_cbranch_execnz .LBB64_43
.LBB64_40:                              ;   in Loop: Header=BB64_19 Depth=2
	s_or_b64 exec, exec, s[4:5]
	s_and_saveexec_b64 s[4:5], vcc
	s_cbranch_execz .LBB64_18
	s_branch .LBB64_44
.LBB64_41:                              ;   in Loop: Header=BB64_19 Depth=2
	scratch_load_dword v58, off, off offset:100 ; 4-byte Folded Reload
	scratch_load_dwordx2 v[76:77], off, off offset:92 ; 8-byte Folded Reload
	s_waitcnt lgkmcnt(0)
	v_and_b32_e32 v1, 0xffff0000, v39
	v_and_b32_e32 v92, 0xffff0000, v38
	v_lshlrev_b32_e32 v61, 16, v39
	v_lshlrev_b32_e32 v90, 16, v38
	v_pk_mul_f32 v[74:75], v[0:1], v[92:93]
	v_and_b32_e32 v113, 0xffff0000, v41
	v_pk_fma_f32 v[74:75], v[60:61], v[90:91], v[74:75]
	v_and_b32_e32 v88, 0xffff0000, v40
	v_lshlrev_b32_e32 v115, 16, v41
	v_lshlrev_b32_e32 v86, 16, v40
	v_mov_b32_e32 v80, v113
	v_mov_b32_e32 v78, v115
	s_waitcnt vmcnt(1)
	v_add_f32_e32 v58, v58, v74
	v_add_f32_e32 v58, v58, v75
	v_pk_mul_f32 v[74:75], v[112:113], v[88:89]
	s_nop 0
	v_pk_fma_f32 v[74:75], v[114:115], v[86:87], v[74:75]
	s_nop 0
	v_add_f32_e32 v58, v58, v74
	v_add_f32_e32 v58, v58, v75
	v_pk_mul_f32 v[74:75], v[92:93], v[72:73] op_sel_hi:[0,1]
	v_pk_fma_f32 v[74:75], v[90:91], v[70:71], v[74:75] op_sel_hi:[0,1,1]
	s_waitcnt vmcnt(0)
	v_pk_add_f32 v[74:75], v[76:77], v[74:75]
	v_mov_b32_e32 v76, v1
	scratch_store_dword off, v58, off offset:100 ; 4-byte Folded Spill
	v_mov_b32_e32 v58, v61
	v_pk_mul_f32 v[82:83], v[76:77], v[68:69] op_sel_hi:[0,1]
	v_pk_fma_f32 v[82:83], v[58:59], v[66:67], v[82:83] op_sel_hi:[0,1,1]
	v_pk_add_f32 v[74:75], v[74:75], v[82:83]
	v_pk_mul_f32 v[82:83], v[88:89], v[64:65] op_sel_hi:[0,1]
	v_pk_fma_f32 v[82:83], v[86:87], v[62:63], v[82:83] op_sel_hi:[0,1,1]
	v_pk_add_f32 v[74:75], v[74:75], v[82:83]
	;; [unrolled: 3-line block ×3, first 2 shown]
	scratch_load_dwordx2 v[82:83], off, off offset:84 ; 8-byte Folded Reload
	s_nop 0
	scratch_store_dwordx2 off, v[74:75], off offset:92 ; 8-byte Folded Spill
	v_pk_mul_f32 v[74:75], v[92:93], v[54:55] op_sel_hi:[0,1]
	v_pk_fma_f32 v[74:75], v[90:91], v[126:127], v[74:75] op_sel_hi:[0,1,1]
	s_waitcnt vmcnt(1)
	v_pk_add_f32 v[74:75], v[82:83], v[74:75]
	v_pk_mul_f32 v[82:83], v[76:77], v[124:125] op_sel_hi:[0,1]
	v_pk_fma_f32 v[82:83], v[58:59], v[122:123], v[82:83] op_sel_hi:[0,1,1]
	v_pk_add_f32 v[74:75], v[74:75], v[82:83]
	v_pk_mul_f32 v[82:83], v[88:89], v[120:121] op_sel_hi:[0,1]
	v_pk_fma_f32 v[82:83], v[86:87], v[118:119], v[82:83] op_sel_hi:[0,1,1]
	;; [unrolled: 3-line block ×3, first 2 shown]
	v_pk_add_f32 v[74:75], v[74:75], v[82:83]
	scratch_load_dwordx2 v[82:83], off, off offset:76 ; 8-byte Folded Reload
	v_pk_mul_f32 v[76:77], v[76:77], v[104:105] op_sel_hi:[0,1]
	scratch_store_dwordx2 off, v[74:75], off offset:84 ; 8-byte Folded Spill
	v_pk_mul_f32 v[74:75], v[92:93], v[108:109] op_sel_hi:[0,1]
	v_pk_fma_f32 v[74:75], v[90:91], v[106:107], v[74:75] op_sel_hi:[0,1,1]
	v_pk_fma_f32 v[76:77], v[58:59], v[102:103], v[76:77] op_sel_hi:[0,1,1]
	s_waitcnt vmcnt(1)
	v_pk_add_f32 v[74:75], v[82:83], v[74:75]
	s_nop 0
	v_pk_add_f32 v[74:75], v[74:75], v[76:77]
	v_pk_mul_f32 v[76:77], v[88:89], v[100:101] op_sel_hi:[0,1]
	v_pk_fma_f32 v[76:77], v[86:87], v[98:99], v[76:77] op_sel_hi:[0,1,1]
	v_pk_add_f32 v[74:75], v[74:75], v[76:77]
	v_pk_mul_f32 v[76:77], v[80:81], v[96:97] op_sel_hi:[0,1]
	v_pk_fma_f32 v[76:77], v[78:79], v[94:95], v[76:77] op_sel_hi:[0,1,1]
	v_pk_add_f32 v[74:75], v[74:75], v[76:77]
	scratch_store_dwordx2 off, v[74:75], off offset:76 ; 8-byte Folded Spill
	s_or_b64 exec, exec, s[4:5]
	s_and_saveexec_b64 s[4:5], vcc
	s_cbranch_execz .LBB64_39
.LBB64_42:                              ;   in Loop: Header=BB64_19 Depth=2
	scratch_load_dword v58, off, off offset:72 ; 4-byte Folded Reload
	scratch_load_dwordx2 v[76:77], off, off offset:64 ; 8-byte Folded Reload
	s_waitcnt lgkmcnt(0)
	v_and_b32_e32 v1, 0xffff0000, v43
	v_and_b32_e32 v92, 0xffff0000, v42
	v_lshlrev_b32_e32 v61, 16, v43
	v_lshlrev_b32_e32 v90, 16, v42
	v_pk_mul_f32 v[74:75], v[0:1], v[92:93]
	v_and_b32_e32 v113, 0xffff0000, v45
	v_pk_fma_f32 v[74:75], v[60:61], v[90:91], v[74:75]
	v_and_b32_e32 v88, 0xffff0000, v44
	v_lshlrev_b32_e32 v115, 16, v45
	v_lshlrev_b32_e32 v86, 16, v44
	v_mov_b32_e32 v80, v113
	v_pk_mul_f32 v[82:83], v[80:81], v[84:85] op_sel_hi:[0,1]
	s_waitcnt vmcnt(1)
	v_add_f32_e32 v58, v58, v74
	v_add_f32_e32 v58, v58, v75
	v_pk_mul_f32 v[74:75], v[112:113], v[88:89]
	s_nop 0
	v_pk_fma_f32 v[74:75], v[114:115], v[86:87], v[74:75]
	s_nop 0
	v_add_f32_e32 v58, v58, v74
	v_add_f32_e32 v58, v58, v75
	v_pk_mul_f32 v[74:75], v[92:93], v[72:73] op_sel_hi:[0,1]
	v_pk_fma_f32 v[74:75], v[90:91], v[70:71], v[74:75] op_sel_hi:[0,1,1]
	s_waitcnt vmcnt(0)
	v_pk_add_f32 v[74:75], v[76:77], v[74:75]
	v_mov_b32_e32 v76, v1
	scratch_store_dword off, v58, off offset:72 ; 4-byte Folded Spill
	v_mov_b32_e32 v58, v61
	v_pk_mul_f32 v[78:79], v[76:77], v[68:69] op_sel_hi:[0,1]
	v_pk_fma_f32 v[78:79], v[58:59], v[66:67], v[78:79] op_sel_hi:[0,1,1]
	v_pk_add_f32 v[74:75], v[74:75], v[78:79]
	v_pk_mul_f32 v[78:79], v[88:89], v[64:65] op_sel_hi:[0,1]
	v_pk_fma_f32 v[78:79], v[86:87], v[62:63], v[78:79] op_sel_hi:[0,1,1]
	v_pk_add_f32 v[74:75], v[74:75], v[78:79]
	v_mov_b32_e32 v78, v115
	v_pk_fma_f32 v[82:83], v[78:79], v[56:57], v[82:83] op_sel_hi:[0,1,1]
	v_pk_add_f32 v[74:75], v[74:75], v[82:83]
	scratch_load_dwordx2 v[82:83], off, off offset:56 ; 8-byte Folded Reload
	s_nop 0
	scratch_store_dwordx2 off, v[74:75], off offset:64 ; 8-byte Folded Spill
	v_pk_mul_f32 v[74:75], v[92:93], v[54:55] op_sel_hi:[0,1]
	v_pk_fma_f32 v[74:75], v[90:91], v[126:127], v[74:75] op_sel_hi:[0,1,1]
	s_waitcnt vmcnt(1)
	v_pk_add_f32 v[74:75], v[82:83], v[74:75]
	v_pk_mul_f32 v[82:83], v[76:77], v[124:125] op_sel_hi:[0,1]
	v_pk_fma_f32 v[82:83], v[58:59], v[122:123], v[82:83] op_sel_hi:[0,1,1]
	v_pk_add_f32 v[74:75], v[74:75], v[82:83]
	v_pk_mul_f32 v[82:83], v[88:89], v[120:121] op_sel_hi:[0,1]
	v_pk_fma_f32 v[82:83], v[86:87], v[118:119], v[82:83] op_sel_hi:[0,1,1]
	;; [unrolled: 3-line block ×3, first 2 shown]
	v_pk_add_f32 v[74:75], v[74:75], v[82:83]
	scratch_load_dwordx2 v[82:83], off, off offset:48 ; 8-byte Folded Reload
	v_pk_mul_f32 v[76:77], v[76:77], v[104:105] op_sel_hi:[0,1]
	scratch_store_dwordx2 off, v[74:75], off offset:56 ; 8-byte Folded Spill
	v_pk_mul_f32 v[74:75], v[92:93], v[108:109] op_sel_hi:[0,1]
	v_pk_fma_f32 v[74:75], v[90:91], v[106:107], v[74:75] op_sel_hi:[0,1,1]
	v_pk_fma_f32 v[76:77], v[58:59], v[102:103], v[76:77] op_sel_hi:[0,1,1]
	s_waitcnt vmcnt(1)
	v_pk_add_f32 v[74:75], v[82:83], v[74:75]
	s_nop 0
	v_pk_add_f32 v[74:75], v[74:75], v[76:77]
	v_pk_mul_f32 v[76:77], v[88:89], v[100:101] op_sel_hi:[0,1]
	v_pk_fma_f32 v[76:77], v[86:87], v[98:99], v[76:77] op_sel_hi:[0,1,1]
	v_pk_add_f32 v[74:75], v[74:75], v[76:77]
	v_pk_mul_f32 v[76:77], v[80:81], v[96:97] op_sel_hi:[0,1]
	v_pk_fma_f32 v[76:77], v[78:79], v[94:95], v[76:77] op_sel_hi:[0,1,1]
	v_pk_add_f32 v[74:75], v[74:75], v[76:77]
	scratch_store_dwordx2 off, v[74:75], off offset:48 ; 8-byte Folded Spill
	s_or_b64 exec, exec, s[4:5]
	s_and_saveexec_b64 s[4:5], vcc
	s_cbranch_execz .LBB64_40
.LBB64_43:                              ;   in Loop: Header=BB64_19 Depth=2
	scratch_load_dword v58, off, off offset:104 ; 4-byte Folded Reload
	scratch_load_dwordx2 v[76:77], off, off offset:40 ; 8-byte Folded Reload
	s_waitcnt lgkmcnt(0)
	v_and_b32_e32 v1, 0xffff0000, v47
	v_and_b32_e32 v92, 0xffff0000, v46
	v_lshlrev_b32_e32 v61, 16, v47
	v_lshlrev_b32_e32 v90, 16, v46
	v_pk_mul_f32 v[74:75], v[0:1], v[92:93]
	v_and_b32_e32 v113, 0xffff0000, v49
	v_pk_fma_f32 v[74:75], v[60:61], v[90:91], v[74:75]
	v_and_b32_e32 v88, 0xffff0000, v48
	v_lshlrev_b32_e32 v115, 16, v49
	v_lshlrev_b32_e32 v86, 16, v48
	v_mov_b32_e32 v80, v113
	v_pk_mul_f32 v[82:83], v[80:81], v[84:85] op_sel_hi:[0,1]
	s_waitcnt vmcnt(1)
	v_add_f32_e32 v58, v58, v74
	v_add_f32_e32 v58, v58, v75
	v_pk_mul_f32 v[74:75], v[112:113], v[88:89]
	s_nop 0
	v_pk_fma_f32 v[74:75], v[114:115], v[86:87], v[74:75]
	s_nop 0
	v_add_f32_e32 v58, v58, v74
	v_add_f32_e32 v58, v58, v75
	v_pk_mul_f32 v[74:75], v[92:93], v[72:73] op_sel_hi:[0,1]
	v_pk_fma_f32 v[74:75], v[90:91], v[70:71], v[74:75] op_sel_hi:[0,1,1]
	s_waitcnt vmcnt(0)
	v_pk_add_f32 v[74:75], v[76:77], v[74:75]
	v_mov_b32_e32 v76, v1
	scratch_store_dword off, v58, off offset:104 ; 4-byte Folded Spill
	v_mov_b32_e32 v58, v61
	v_pk_mul_f32 v[78:79], v[76:77], v[68:69] op_sel_hi:[0,1]
	v_pk_fma_f32 v[78:79], v[58:59], v[66:67], v[78:79] op_sel_hi:[0,1,1]
	v_pk_add_f32 v[74:75], v[74:75], v[78:79]
	v_pk_mul_f32 v[78:79], v[88:89], v[64:65] op_sel_hi:[0,1]
	v_pk_fma_f32 v[78:79], v[86:87], v[62:63], v[78:79] op_sel_hi:[0,1,1]
	v_pk_add_f32 v[74:75], v[74:75], v[78:79]
	v_mov_b32_e32 v78, v115
	v_pk_fma_f32 v[82:83], v[78:79], v[56:57], v[82:83] op_sel_hi:[0,1,1]
	v_pk_add_f32 v[74:75], v[74:75], v[82:83]
	scratch_load_dwordx2 v[82:83], off, off offset:32 ; 8-byte Folded Reload
	s_nop 0
	scratch_store_dwordx2 off, v[74:75], off offset:40 ; 8-byte Folded Spill
	v_pk_mul_f32 v[74:75], v[92:93], v[54:55] op_sel_hi:[0,1]
	v_pk_fma_f32 v[74:75], v[90:91], v[126:127], v[74:75] op_sel_hi:[0,1,1]
	s_waitcnt vmcnt(1)
	v_pk_add_f32 v[74:75], v[82:83], v[74:75]
	v_pk_mul_f32 v[82:83], v[76:77], v[124:125] op_sel_hi:[0,1]
	v_pk_fma_f32 v[82:83], v[58:59], v[122:123], v[82:83] op_sel_hi:[0,1,1]
	v_pk_add_f32 v[74:75], v[74:75], v[82:83]
	v_pk_mul_f32 v[82:83], v[88:89], v[120:121] op_sel_hi:[0,1]
	v_pk_fma_f32 v[82:83], v[86:87], v[118:119], v[82:83] op_sel_hi:[0,1,1]
	;; [unrolled: 3-line block ×3, first 2 shown]
	v_pk_add_f32 v[74:75], v[74:75], v[82:83]
	scratch_load_dwordx2 v[82:83], off, off offset:24 ; 8-byte Folded Reload
	v_pk_mul_f32 v[76:77], v[76:77], v[104:105] op_sel_hi:[0,1]
	scratch_store_dwordx2 off, v[74:75], off offset:32 ; 8-byte Folded Spill
	v_pk_mul_f32 v[74:75], v[92:93], v[108:109] op_sel_hi:[0,1]
	v_pk_fma_f32 v[74:75], v[90:91], v[106:107], v[74:75] op_sel_hi:[0,1,1]
	v_pk_fma_f32 v[76:77], v[58:59], v[102:103], v[76:77] op_sel_hi:[0,1,1]
	s_waitcnt vmcnt(1)
	v_pk_add_f32 v[74:75], v[82:83], v[74:75]
	s_nop 0
	v_pk_add_f32 v[74:75], v[74:75], v[76:77]
	v_pk_mul_f32 v[76:77], v[88:89], v[100:101] op_sel_hi:[0,1]
	v_pk_fma_f32 v[76:77], v[86:87], v[98:99], v[76:77] op_sel_hi:[0,1,1]
	v_pk_add_f32 v[74:75], v[74:75], v[76:77]
	v_pk_mul_f32 v[76:77], v[80:81], v[96:97] op_sel_hi:[0,1]
	v_pk_fma_f32 v[76:77], v[78:79], v[94:95], v[76:77] op_sel_hi:[0,1,1]
	v_pk_add_f32 v[74:75], v[74:75], v[76:77]
	scratch_store_dwordx2 off, v[74:75], off offset:24 ; 8-byte Folded Spill
	s_or_b64 exec, exec, s[4:5]
	s_and_saveexec_b64 s[4:5], vcc
	s_cbranch_execz .LBB64_18
.LBB64_44:                              ;   in Loop: Header=BB64_19 Depth=2
	s_waitcnt vmcnt(0) lgkmcnt(0)
	v_and_b32_e32 v92, 0xffff0000, v50
	v_lshlrev_b32_e32 v90, 16, v50
	v_pk_mul_f32 v[72:73], v[92:93], v[72:73] op_sel_hi:[0,1]
	v_pk_fma_f32 v[70:71], v[90:91], v[70:71], v[72:73] op_sel_hi:[0,1,1]
	scratch_load_dwordx2 v[72:73], off, off offset:16 ; 8-byte Folded Reload
	v_and_b32_e32 v1, 0xffff0000, v51
	v_lshlrev_b32_e32 v61, 16, v51
	v_pk_mul_f32 v[74:75], v[0:1], v[92:93]
	v_and_b32_e32 v113, 0xffff0000, v53
	v_pk_fma_f32 v[74:75], v[60:61], v[90:91], v[74:75]
	v_and_b32_e32 v88, 0xffff0000, v52
	v_add_f32_e32 v0, v81, v74
	v_add_f32_e32 v0, v0, v75
	v_lshlrev_b32_e32 v115, 16, v53
	v_lshlrev_b32_e32 v86, 16, v52
	v_pk_mul_f32 v[74:75], v[112:113], v[88:89]
	v_mov_b32_e32 v58, v1
	v_pk_fma_f32 v[74:75], v[114:115], v[86:87], v[74:75]
	v_pk_mul_f32 v[64:65], v[88:89], v[64:65] op_sel_hi:[0,1]
	v_add_f32_e32 v0, v0, v74
	v_add_f32_e32 v81, v0, v75
	v_mov_b32_e32 v0, v61
	v_pk_mul_f32 v[60:61], v[58:59], v[68:69] op_sel_hi:[0,1]
	v_pk_fma_f32 v[60:61], v[0:1], v[66:67], v[60:61] op_sel_hi:[0,1,1]
	v_pk_fma_f32 v[62:63], v[86:87], v[62:63], v[64:65] op_sel_hi:[0,1,1]
	v_mov_b32_e32 v64, v113
	v_pk_mul_f32 v[66:67], v[64:65], v[84:85] op_sel_hi:[0,1]
	v_pk_mul_f32 v[54:55], v[92:93], v[54:55] op_sel_hi:[0,1]
	v_pk_fma_f32 v[54:55], v[90:91], v[126:127], v[54:55] op_sel_hi:[0,1,1]
	s_waitcnt vmcnt(0)
	v_pk_add_f32 v[70:71], v[72:73], v[70:71]
	s_nop 0
	v_pk_add_f32 v[60:61], v[70:71], v[60:61]
	s_nop 0
	v_pk_add_f32 v[60:61], v[60:61], v[62:63]
	v_mov_b32_e32 v62, v115
	v_pk_fma_f32 v[56:57], v[62:63], v[56:57], v[66:67] op_sel_hi:[0,1,1]
	v_pk_add_f32 v[56:57], v[60:61], v[56:57]
	scratch_store_dwordx2 off, v[56:57], off offset:16 ; 8-byte Folded Spill
	scratch_load_dwordx2 v[56:57], off, off offset:8 ; 8-byte Folded Reload
	s_waitcnt vmcnt(0)
	v_pk_add_f32 v[54:55], v[56:57], v[54:55]
	v_pk_mul_f32 v[56:57], v[58:59], v[124:125] op_sel_hi:[0,1]
	v_pk_fma_f32 v[56:57], v[0:1], v[122:123], v[56:57] op_sel_hi:[0,1,1]
	v_pk_add_f32 v[54:55], v[54:55], v[56:57]
	v_pk_mul_f32 v[56:57], v[88:89], v[120:121] op_sel_hi:[0,1]
	v_pk_fma_f32 v[56:57], v[86:87], v[118:119], v[56:57] op_sel_hi:[0,1,1]
	;; [unrolled: 3-line block ×3, first 2 shown]
	v_pk_add_f32 v[54:55], v[54:55], v[56:57]
	scratch_load_dwordx2 v[56:57], off, off ; 8-byte Folded Reload
	s_nop 0
	scratch_store_dwordx2 off, v[54:55], off offset:8 ; 8-byte Folded Spill
	v_pk_mul_f32 v[54:55], v[92:93], v[108:109] op_sel_hi:[0,1]
	v_pk_fma_f32 v[54:55], v[90:91], v[106:107], v[54:55] op_sel_hi:[0,1,1]
	s_waitcnt vmcnt(1)
	v_pk_add_f32 v[54:55], v[56:57], v[54:55]
	v_pk_mul_f32 v[56:57], v[58:59], v[104:105] op_sel_hi:[0,1]
	v_pk_fma_f32 v[0:1], v[0:1], v[102:103], v[56:57] op_sel_hi:[0,1,1]
	v_pk_add_f32 v[0:1], v[54:55], v[0:1]
	v_pk_mul_f32 v[54:55], v[88:89], v[100:101] op_sel_hi:[0,1]
	v_pk_fma_f32 v[54:55], v[86:87], v[98:99], v[54:55] op_sel_hi:[0,1,1]
	;; [unrolled: 3-line block ×3, first 2 shown]
	v_pk_add_f32 v[0:1], v[0:1], v[54:55]
	scratch_store_dwordx2 off, v[0:1], off  ; 8-byte Folded Spill
	s_branch .LBB64_18
.LBB64_45:                              ;   in Loop: Header=BB64_16 Depth=1
	scratch_load_dword v1, off, off offset:104 ; 4-byte Folded Reload
	s_branch .LBB64_47
.LBB64_46:                              ;   in Loop: Header=BB64_16 Depth=1
	v_mov_b32_e32 v1, v59
	v_mov_b32_e32 v0, v59
	scratch_store_dwordx2 off, v[0:1], off offset:16 ; 8-byte Folded Spill
	scratch_store_dwordx2 off, v[0:1], off offset:8 ; 8-byte Folded Spill
	scratch_store_dwordx2 off, v[0:1], off  ; 8-byte Folded Spill
	scratch_store_dwordx2 off, v[0:1], off offset:40 ; 8-byte Folded Spill
	scratch_store_dwordx2 off, v[0:1], off offset:32 ; 8-byte Folded Spill
	;; [unrolled: 1-line block ×9, first 2 shown]
	scratch_store_dword off, v0, off offset:100 ; 4-byte Folded Spill
	scratch_store_dword off, v0, off offset:72 ; 4-byte Folded Spill
	v_mov_b32_e32 v81, v59
.LBB64_47:                              ;   in Loop: Header=BB64_16 Depth=1
	scratch_load_dword v9, off, off offset:100 ; 4-byte Folded Reload
	scratch_load_dwordx2 v[84:85], off, off offset:92 ; 8-byte Folded Reload
	scratch_load_dwordx2 v[82:83], off, off offset:84 ; 8-byte Folded Reload
	;; [unrolled: 1-line block ×3, first 2 shown]
	scratch_load_dword v57, off, off offset:72 ; 4-byte Folded Reload
	scratch_load_dwordx2 v[76:77], off, off offset:64 ; 8-byte Folded Reload
	scratch_load_dwordx2 v[74:75], off, off offset:56 ; 8-byte Folded Reload
	;; [unrolled: 1-line block ×8, first 2 shown]
	scratch_load_dwordx2 v[60:61], off, off ; 8-byte Folded Reload
	s_waitcnt vmcnt(13)
	;;#ASMSTART
	s_nop 0
	v_add_f32 v9, v9, v9 row_shr:8 bound_ctrl:0 
	;;#ASMEND
	s_waitcnt vmcnt(12)
	;;#ASMSTART
	s_nop 0
	v_add_f32 v85, v85, v85 row_shr:8 bound_ctrl:0 
	;;#ASMEND
	;;#ASMSTART
	s_nop 0
	v_add_f32 v84, v84, v84 row_shr:8 bound_ctrl:0 
	;;#ASMEND
	s_waitcnt vmcnt(11)
	;;#ASMSTART
	s_nop 0
	v_add_f32 v83, v83, v83 row_shr:8 bound_ctrl:0 
	;;#ASMEND
	;; [unrolled: 9-line block ×4, first 2 shown]
	s_waitcnt vmcnt(8)
	;;#ASMSTART
	s_nop 0
	v_add_f32 v77, v77, v77 row_shr:8 bound_ctrl:0 
	;;#ASMEND
	;;#ASMSTART
	s_nop 0
	v_add_f32 v76, v76, v76 row_shr:8 bound_ctrl:0 
	;;#ASMEND
	s_waitcnt vmcnt(7)
	;;#ASMSTART
	s_nop 0
	v_add_f32 v75, v75, v75 row_shr:8 bound_ctrl:0 
	;;#ASMEND
	;;#ASMSTART
	s_nop 0
	v_add_f32 v74, v74, v74 row_shr:8 bound_ctrl:0 
	;;#ASMEND
	s_waitcnt vmcnt(6)
	;;#ASMSTART
	s_nop 0
	v_add_f32 v73, v73, v73 row_shr:8 bound_ctrl:0 
	;;#ASMEND
	;;#ASMSTART
	s_nop 0
	v_add_f32 v72, v72, v72 row_shr:8 bound_ctrl:0 
	;;#ASMEND
	;;#ASMSTART
	s_nop 0
	v_add_f32 v1, v1, v1 row_shr:8 bound_ctrl:0 
	;;#ASMEND
	s_waitcnt vmcnt(5)
	;;#ASMSTART
	s_nop 0
	v_add_f32 v71, v71, v71 row_shr:8 bound_ctrl:0 
	;;#ASMEND
	;;#ASMSTART
	s_nop 0
	v_add_f32 v70, v70, v70 row_shr:8 bound_ctrl:0 
	;;#ASMEND
	s_waitcnt vmcnt(4)
	;;#ASMSTART
	s_nop 0
	v_add_f32 v69, v69, v69 row_shr:8 bound_ctrl:0 
	;;#ASMEND
	;;#ASMSTART
	s_nop 0
	v_add_f32 v68, v68, v68 row_shr:8 bound_ctrl:0 
	;;#ASMEND
	s_waitcnt vmcnt(3)
	;;#ASMSTART
	s_nop 0
	v_add_f32 v67, v67, v67 row_shr:8 bound_ctrl:0 
	;;#ASMEND
	;;#ASMSTART
	s_nop 0
	v_add_f32 v66, v66, v66 row_shr:8 bound_ctrl:0 
	;;#ASMEND
	;;#ASMSTART
	s_nop 0
	v_add_f32 v81, v81, v81 row_shr:8 bound_ctrl:0 
	;;#ASMEND
	;; [unrolled: 31-line block ×3, first 2 shown]
	;;#ASMSTART
	s_nop 0
	v_add_f32 v85, v85, v85 row_shr:4 bound_ctrl:0 
	;;#ASMEND
	;;#ASMSTART
	s_nop 0
	v_add_f32 v84, v84, v84 row_shr:4 bound_ctrl:0 
	;;#ASMEND
	;; [unrolled: 4-line block ×25, first 2 shown]
	s_nop 0
	;;#ASMSTART
	s_nop 0
	v_add_f32 v61, v61, v61 row_shr:4 bound_ctrl:0 
	;;#ASMEND
	;;#ASMSTART
	s_nop 0
	v_add_f32 v60, v60, v60 row_shr:4 bound_ctrl:0 
	;;#ASMEND
	;; [unrolled: 4-line block ×28, first 2 shown]
	s_nop 0
	;;#ASMSTART
	s_nop 0
	v_add_f32 v61, v61, v61 row_shr:2 bound_ctrl:0 
	;;#ASMEND
	;;#ASMSTART
	s_nop 0
	v_add_f32 v60, v60, v60 row_shr:2 bound_ctrl:0 
	;;#ASMEND
	;;#ASMSTART
	s_nop 0
	v_add_f32 v9, v9, v9 wave_shr:1 bound_ctrl:0
	;;#ASMEND
	;;#ASMSTART
	s_nop 0
	v_add_f32 v85, v85, v85 wave_shr:1 bound_ctrl:0
	;; [unrolled: 4-line block ×26, first 2 shown]
	;;#ASMEND
	s_nop 0
	;;#ASMSTART
	s_nop 0
	v_add_f32 v61, v61, v61 wave_shr:1 bound_ctrl:0
	;;#ASMEND
	;;#ASMSTART
	s_nop 0
	v_add_f32 v60, v60, v60 wave_shr:1 bound_ctrl:0
	;;#ASMEND
	;;#ASMSTART
	s_nop 0
	v_add_f32 v9, v9, v9 row_bcast:15 bound_ctrl:0
	;;#ASMEND
	;;#ASMSTART
	s_nop 0
	v_add_f32 v85, v85, v85 row_bcast:15 bound_ctrl:0
	;; [unrolled: 4-line block ×26, first 2 shown]
	;;#ASMEND
	s_nop 0
	;;#ASMSTART
	s_nop 0
	v_add_f32 v61, v61, v61 row_bcast:15 bound_ctrl:0
	;;#ASMEND
	;;#ASMSTART
	s_nop 0
	v_add_f32 v60, v60, v60 row_bcast:15 bound_ctrl:0
	;;#ASMEND
	;; [unrolled: 4-line block ×28, first 2 shown]
	s_nop 0
	;;#ASMSTART
	s_nop 0
	v_add_f32 v61, v61, v61 row_bcast:31 bound_ctrl:0
	;;#ASMEND
	;;#ASMSTART
	s_nop 0
	v_add_f32 v60, v60, v60 row_bcast:31 bound_ctrl:0
	;;#ASMEND
	s_and_saveexec_b64 s[34:35], s[0:1]
	s_cbranch_execz .LBB64_216
; %bb.48:                               ;   in Loop: Header=BB64_16 Depth=1
	v_cmp_ne_u32_e32 vcc, 0, v2
	s_and_saveexec_b64 s[6:7], vcc
	s_cbranch_execnz .LBB64_55
; %bb.49:                               ;   in Loop: Header=BB64_16 Depth=1
	s_or_b64 exec, exec, s[6:7]
	v_cmp_ne_u32_e64 s[4:5], 0, v3
	s_and_saveexec_b64 s[8:9], s[4:5]
	s_cbranch_execnz .LBB64_60
.LBB64_50:                              ;   in Loop: Header=BB64_16 Depth=1
	s_or_b64 exec, exec, s[8:9]
	v_cmp_ne_u32_e64 s[6:7], 0, v4
	s_and_saveexec_b64 s[10:11], s[6:7]
	s_cbranch_execnz .LBB64_65
.LBB64_51:                              ;   in Loop: Header=BB64_16 Depth=1
	s_or_b64 exec, exec, s[10:11]
	v_cmp_ne_u32_e64 s[8:9], 0, v5
	s_and_saveexec_b64 s[12:13], s[8:9]
	s_cbranch_execnz .LBB64_70
.LBB64_52:                              ;   in Loop: Header=BB64_16 Depth=1
	s_or_b64 exec, exec, s[12:13]
	v_cmp_ne_u32_e64 s[10:11], 0, v6
	s_and_saveexec_b64 s[14:15], s[10:11]
	s_cbranch_execnz .LBB64_75
.LBB64_53:                              ;   in Loop: Header=BB64_16 Depth=1
	s_or_b64 exec, exec, s[14:15]
	v_cmp_ne_u32_e64 s[12:13], 0, v7
	s_and_saveexec_b64 s[16:17], s[12:13]
	s_cbranch_execnz .LBB64_80
.LBB64_54:                              ;   in Loop: Header=BB64_16 Depth=1
	s_or_b64 exec, exec, s[16:17]
	v_cmp_ne_u32_e64 s[14:15], 0, v8
	s_and_saveexec_b64 s[36:37], s[14:15]
	s_cbranch_execnz .LBB64_85
	s_branch .LBB64_90
.LBB64_55:                              ;   in Loop: Header=BB64_16 Depth=1
	v_mov_b32_e32 v0, v9
	v_and_b32_e32 v0, 0x7f800000, v0
	v_cmp_ne_u32_e64 s[4:5], s45, v0
                                        ; implicit-def: $vgpr0
	s_and_saveexec_b64 s[8:9], s[4:5]
	s_xor_b64 s[4:5], exec, s[8:9]
; %bb.56:                               ;   in Loop: Header=BB64_16 Depth=1
	v_bfe_u32 v0, v9, 16, 1
	v_add3_u32 v0, v9, v0, s44
                                        ; implicit-def: $vgpr9
; %bb.57:                               ;   in Loop: Header=BB64_16 Depth=1
	s_andn2_saveexec_b64 s[8:9], s[4:5]
; %bb.58:                               ;   in Loop: Header=BB64_16 Depth=1
	v_or_b32_e32 v0, 0x10000, v9
	v_cmp_eq_u32_sdwa s[4:5], v9, v59 src0_sel:WORD_0 src1_sel:DWORD
	s_nop 1
	v_cndmask_b32_e64 v0, v0, v9, s[4:5]
; %bb.59:                               ;   in Loop: Header=BB64_16 Depth=1
	s_or_b64 exec, exec, s[8:9]
	scratch_load_dwordx2 v[54:55], off, off offset:140 ; 8-byte Folded Reload
	s_waitcnt vmcnt(0)
	v_mov_b32_e32 v55, v59
	v_mov_b32_e32 v56, v54
	s_waitcnt lgkmcnt(0)
	v_lshl_add_u64 v[54:55], v[54:55], 1, s[24:25]
	scratch_store_dwordx2 off, v[56:57], off offset:140 ; 8-byte Folded Spill
	global_store_short_d16_hi v[54:55], v0, off
	s_or_b64 exec, exec, s[6:7]
	v_cmp_ne_u32_e64 s[4:5], 0, v3
	s_and_saveexec_b64 s[8:9], s[4:5]
	s_cbranch_execz .LBB64_50
.LBB64_60:                              ;   in Loop: Header=BB64_16 Depth=1
	v_mov_b64_e32 v[54:55], v[84:85]
	v_and_b32_e32 v0, 0x7f800000, v55
	v_cmp_ne_u32_e64 s[6:7], s45, v0
                                        ; implicit-def: $vgpr0
	s_and_saveexec_b64 s[10:11], s[6:7]
	s_xor_b64 s[6:7], exec, s[10:11]
; %bb.61:                               ;   in Loop: Header=BB64_16 Depth=1
	v_mov_b64_e32 v[54:55], v[84:85]
	v_bfe_u32 v0, v55, 16, 1
	v_add3_u32 v0, v55, v0, s44
; %bb.62:                               ;   in Loop: Header=BB64_16 Depth=1
	s_andn2_saveexec_b64 s[10:11], s[6:7]
; %bb.63:                               ;   in Loop: Header=BB64_16 Depth=1
	v_mov_b64_e32 v[54:55], v[84:85]
	v_or_b32_e32 v0, 0x10000, v55
	v_cmp_eq_u32_sdwa s[6:7], v55, v59 src0_sel:WORD_0 src1_sel:DWORD
	s_nop 1
	v_cndmask_b32_e64 v0, v0, v55, s[6:7]
; %bb.64:                               ;   in Loop: Header=BB64_16 Depth=1
	s_or_b64 exec, exec, s[10:11]
	scratch_load_dwordx2 v[54:55], off, off offset:140 ; 8-byte Folded Reload
	s_waitcnt vmcnt(0)
	v_add_u32_e32 v58, 1, v54
	s_waitcnt lgkmcnt(0)
	v_lshl_add_u64 v[54:55], v[58:59], 1, s[24:25]
	global_store_short_d16_hi v[54:55], v0, off
	s_or_b64 exec, exec, s[8:9]
	v_cmp_ne_u32_e64 s[6:7], 0, v4
	s_and_saveexec_b64 s[10:11], s[6:7]
	s_cbranch_execz .LBB64_51
.LBB64_65:                              ;   in Loop: Header=BB64_16 Depth=1
	v_mov_b32_e32 v0, v84
	v_and_b32_e32 v0, 0x7f800000, v0
	v_cmp_ne_u32_e64 s[8:9], s45, v0
                                        ; implicit-def: $vgpr0
	s_and_saveexec_b64 s[12:13], s[8:9]
	s_xor_b64 s[8:9], exec, s[12:13]
; %bb.66:                               ;   in Loop: Header=BB64_16 Depth=1
	v_bfe_u32 v0, v84, 16, 1
	v_add3_u32 v0, v84, v0, s44
                                        ; implicit-def: $vgpr84
; %bb.67:                               ;   in Loop: Header=BB64_16 Depth=1
	s_andn2_saveexec_b64 s[12:13], s[8:9]
; %bb.68:                               ;   in Loop: Header=BB64_16 Depth=1
	v_or_b32_e32 v0, 0x10000, v84
	v_cmp_eq_u32_sdwa s[8:9], v84, v59 src0_sel:WORD_0 src1_sel:DWORD
	s_nop 1
	v_cndmask_b32_e64 v0, v0, v84, s[8:9]
; %bb.69:                               ;   in Loop: Header=BB64_16 Depth=1
	s_or_b64 exec, exec, s[12:13]
	scratch_load_dwordx2 v[54:55], off, off offset:140 ; 8-byte Folded Reload
	s_waitcnt vmcnt(0)
	v_add_u32_e32 v58, 2, v54
	s_waitcnt lgkmcnt(0)
	v_lshl_add_u64 v[54:55], v[58:59], 1, s[24:25]
	global_store_short_d16_hi v[54:55], v0, off
	s_or_b64 exec, exec, s[10:11]
	v_cmp_ne_u32_e64 s[8:9], 0, v5
	s_and_saveexec_b64 s[12:13], s[8:9]
	s_cbranch_execz .LBB64_52
.LBB64_70:                              ;   in Loop: Header=BB64_16 Depth=1
	v_mov_b64_e32 v[54:55], v[82:83]
	v_and_b32_e32 v0, 0x7f800000, v55
	v_cmp_ne_u32_e64 s[10:11], s45, v0
                                        ; implicit-def: $vgpr0
	s_and_saveexec_b64 s[14:15], s[10:11]
	s_xor_b64 s[10:11], exec, s[14:15]
; %bb.71:                               ;   in Loop: Header=BB64_16 Depth=1
	v_mov_b64_e32 v[54:55], v[82:83]
	v_bfe_u32 v0, v55, 16, 1
	v_add3_u32 v0, v55, v0, s44
; %bb.72:                               ;   in Loop: Header=BB64_16 Depth=1
	s_andn2_saveexec_b64 s[14:15], s[10:11]
; %bb.73:                               ;   in Loop: Header=BB64_16 Depth=1
	v_mov_b64_e32 v[54:55], v[82:83]
	v_or_b32_e32 v0, 0x10000, v55
	v_cmp_eq_u32_sdwa s[10:11], v55, v59 src0_sel:WORD_0 src1_sel:DWORD
	s_nop 1
	v_cndmask_b32_e64 v0, v0, v55, s[10:11]
; %bb.74:                               ;   in Loop: Header=BB64_16 Depth=1
	s_or_b64 exec, exec, s[14:15]
	scratch_load_dwordx2 v[54:55], off, off offset:140 ; 8-byte Folded Reload
	s_waitcnt vmcnt(0)
	v_add_u32_e32 v58, 3, v54
	s_waitcnt lgkmcnt(0)
	v_lshl_add_u64 v[54:55], v[58:59], 1, s[24:25]
	global_store_short_d16_hi v[54:55], v0, off
	s_or_b64 exec, exec, s[12:13]
	v_cmp_ne_u32_e64 s[10:11], 0, v6
	s_and_saveexec_b64 s[14:15], s[10:11]
	s_cbranch_execz .LBB64_53
.LBB64_75:                              ;   in Loop: Header=BB64_16 Depth=1
	v_mov_b32_e32 v0, v82
	v_and_b32_e32 v0, 0x7f800000, v0
	v_cmp_ne_u32_e64 s[12:13], s45, v0
                                        ; implicit-def: $vgpr0
	s_and_saveexec_b64 s[16:17], s[12:13]
	s_xor_b64 s[12:13], exec, s[16:17]
; %bb.76:                               ;   in Loop: Header=BB64_16 Depth=1
	v_bfe_u32 v0, v82, 16, 1
	v_add3_u32 v0, v82, v0, s44
                                        ; implicit-def: $vgpr82
; %bb.77:                               ;   in Loop: Header=BB64_16 Depth=1
	s_andn2_saveexec_b64 s[16:17], s[12:13]
; %bb.78:                               ;   in Loop: Header=BB64_16 Depth=1
	v_or_b32_e32 v0, 0x10000, v82
	v_cmp_eq_u32_sdwa s[12:13], v82, v59 src0_sel:WORD_0 src1_sel:DWORD
	s_nop 1
	v_cndmask_b32_e64 v0, v0, v82, s[12:13]
; %bb.79:                               ;   in Loop: Header=BB64_16 Depth=1
	s_or_b64 exec, exec, s[16:17]
	scratch_load_dwordx2 v[54:55], off, off offset:140 ; 8-byte Folded Reload
	s_waitcnt vmcnt(0)
	v_add_u32_e32 v58, 4, v54
	s_waitcnt lgkmcnt(0)
	v_lshl_add_u64 v[54:55], v[58:59], 1, s[24:25]
	global_store_short_d16_hi v[54:55], v0, off
	s_or_b64 exec, exec, s[14:15]
	v_cmp_ne_u32_e64 s[12:13], 0, v7
	s_and_saveexec_b64 s[16:17], s[12:13]
	s_cbranch_execz .LBB64_54
.LBB64_80:                              ;   in Loop: Header=BB64_16 Depth=1
	v_mov_b64_e32 v[54:55], v[78:79]
	v_and_b32_e32 v0, 0x7f800000, v55
	v_cmp_ne_u32_e64 s[14:15], s45, v0
                                        ; implicit-def: $vgpr0
	s_and_saveexec_b64 s[36:37], s[14:15]
	s_xor_b64 s[14:15], exec, s[36:37]
; %bb.81:                               ;   in Loop: Header=BB64_16 Depth=1
	v_mov_b64_e32 v[54:55], v[78:79]
	v_bfe_u32 v0, v55, 16, 1
	v_add3_u32 v0, v55, v0, s44
; %bb.82:                               ;   in Loop: Header=BB64_16 Depth=1
	s_andn2_saveexec_b64 s[36:37], s[14:15]
; %bb.83:                               ;   in Loop: Header=BB64_16 Depth=1
	v_mov_b64_e32 v[54:55], v[78:79]
	v_or_b32_e32 v0, 0x10000, v55
	v_cmp_eq_u32_sdwa s[14:15], v55, v59 src0_sel:WORD_0 src1_sel:DWORD
	s_nop 1
	v_cndmask_b32_e64 v0, v0, v55, s[14:15]
; %bb.84:                               ;   in Loop: Header=BB64_16 Depth=1
	s_or_b64 exec, exec, s[36:37]
	scratch_load_dwordx2 v[54:55], off, off offset:140 ; 8-byte Folded Reload
	s_waitcnt vmcnt(0)
	v_add_u32_e32 v58, 5, v54
	s_waitcnt lgkmcnt(0)
	v_lshl_add_u64 v[54:55], v[58:59], 1, s[24:25]
	global_store_short_d16_hi v[54:55], v0, off
	s_or_b64 exec, exec, s[16:17]
	v_cmp_ne_u32_e64 s[14:15], 0, v8
	s_and_saveexec_b64 s[36:37], s[14:15]
	s_cbranch_execz .LBB64_90
.LBB64_85:                              ;   in Loop: Header=BB64_16 Depth=1
	v_mov_b32_e32 v0, v78
	v_and_b32_e32 v0, 0x7f800000, v0
	v_cmp_ne_u32_e64 s[16:17], s45, v0
                                        ; implicit-def: $vgpr0
	s_and_saveexec_b64 s[38:39], s[16:17]
	s_xor_b64 s[16:17], exec, s[38:39]
; %bb.86:                               ;   in Loop: Header=BB64_16 Depth=1
	v_bfe_u32 v0, v78, 16, 1
	v_add3_u32 v0, v78, v0, s44
                                        ; implicit-def: $vgpr78
; %bb.87:                               ;   in Loop: Header=BB64_16 Depth=1
	s_andn2_saveexec_b64 s[38:39], s[16:17]
; %bb.88:                               ;   in Loop: Header=BB64_16 Depth=1
	v_or_b32_e32 v0, 0x10000, v78
	v_cmp_eq_u32_sdwa s[16:17], v78, v59 src0_sel:WORD_0 src1_sel:DWORD
	s_nop 1
	v_cndmask_b32_e64 v0, v0, v78, s[16:17]
; %bb.89:                               ;   in Loop: Header=BB64_16 Depth=1
	s_or_b64 exec, exec, s[38:39]
	scratch_load_dwordx2 v[54:55], off, off offset:140 ; 8-byte Folded Reload
	s_waitcnt vmcnt(0)
	v_add_u32_e32 v58, 6, v54
	s_waitcnt lgkmcnt(0)
	v_lshl_add_u64 v[54:55], v[58:59], 1, s[24:25]
	global_store_short_d16_hi v[54:55], v0, off
.LBB64_90:                              ;   in Loop: Header=BB64_16 Depth=1
	s_or_b64 exec, exec, s[36:37]
	v_mov_b32_e32 v9, v1
	scratch_load_dwordx2 v[0:1], off, off offset:140 ; 8-byte Folded Reload
	s_waitcnt vmcnt(0)
	v_add_u32_e32 v58, s19, v0
	s_and_saveexec_b64 s[36:37], vcc
	s_cbranch_execz .LBB64_96
; %bb.91:                               ;   in Loop: Header=BB64_16 Depth=1
	v_and_b32_e32 v0, 0x7f800000, v57
	v_cmp_ne_u32_e64 s[16:17], s45, v0
                                        ; implicit-def: $vgpr0
	s_and_saveexec_b64 s[38:39], s[16:17]
	s_xor_b64 s[16:17], exec, s[38:39]
; %bb.92:                               ;   in Loop: Header=BB64_16 Depth=1
	v_bfe_u32 v0, v57, 16, 1
	v_add3_u32 v0, v57, v0, s44
                                        ; implicit-def: $vgpr57
; %bb.93:                               ;   in Loop: Header=BB64_16 Depth=1
	s_andn2_saveexec_b64 s[38:39], s[16:17]
; %bb.94:                               ;   in Loop: Header=BB64_16 Depth=1
	v_or_b32_e32 v0, 0x10000, v57
	v_cmp_eq_u32_sdwa s[16:17], v57, v59 src0_sel:WORD_0 src1_sel:DWORD
	s_nop 1
	v_cndmask_b32_e64 v0, v0, v57, s[16:17]
; %bb.95:                               ;   in Loop: Header=BB64_16 Depth=1
	s_or_b64 exec, exec, s[38:39]
	s_waitcnt lgkmcnt(0)
	v_lshl_add_u64 v[54:55], v[58:59], 1, s[24:25]
	global_store_short_d16_hi v[54:55], v0, off
.LBB64_96:                              ;   in Loop: Header=BB64_16 Depth=1
	s_or_b64 exec, exec, s[36:37]
	s_mov_b64 s[36:37], exec
	s_and_b64 s[16:17], s[36:37], s[4:5]
	v_mov_b64_e32 v[56:57], v[66:67]
	s_mov_b64 exec, s[16:17]
	s_cbranch_execnz .LBB64_116
; %bb.97:                               ;   in Loop: Header=BB64_16 Depth=1
	s_or_b64 exec, exec, s[36:37]
	s_and_saveexec_b64 s[36:37], s[6:7]
	s_cbranch_execnz .LBB64_121
.LBB64_98:                              ;   in Loop: Header=BB64_16 Depth=1
	s_or_b64 exec, exec, s[36:37]
	s_and_saveexec_b64 s[36:37], s[8:9]
	s_cbranch_execnz .LBB64_126
.LBB64_99:                              ;   in Loop: Header=BB64_16 Depth=1
	s_or_b64 exec, exec, s[36:37]
	s_and_saveexec_b64 s[36:37], s[10:11]
	s_cbranch_execnz .LBB64_131
.LBB64_100:                             ;   in Loop: Header=BB64_16 Depth=1
	s_or_b64 exec, exec, s[36:37]
	s_and_saveexec_b64 s[36:37], s[12:13]
	s_cbranch_execnz .LBB64_136
.LBB64_101:                             ;   in Loop: Header=BB64_16 Depth=1
	s_or_b64 exec, exec, s[36:37]
	s_and_saveexec_b64 s[36:37], s[14:15]
	s_cbranch_execnz .LBB64_141
.LBB64_102:                             ;   in Loop: Header=BB64_16 Depth=1
	s_or_b64 exec, exec, s[36:37]
	v_add_u32_e32 v58, s19, v58
	s_and_saveexec_b64 s[36:37], vcc
	s_cbranch_execnz .LBB64_146
.LBB64_103:                             ;   in Loop: Header=BB64_16 Depth=1
	s_or_b64 exec, exec, s[36:37]
	s_and_saveexec_b64 s[36:37], s[4:5]
	s_cbranch_execnz .LBB64_151
.LBB64_104:                             ;   in Loop: Header=BB64_16 Depth=1
	s_or_b64 exec, exec, s[36:37]
	s_and_saveexec_b64 s[36:37], s[6:7]
	s_cbranch_execnz .LBB64_156
.LBB64_105:                             ;   in Loop: Header=BB64_16 Depth=1
	s_or_b64 exec, exec, s[36:37]
	s_and_saveexec_b64 s[36:37], s[8:9]
	s_cbranch_execnz .LBB64_161
.LBB64_106:                             ;   in Loop: Header=BB64_16 Depth=1
	s_or_b64 exec, exec, s[36:37]
	s_and_saveexec_b64 s[36:37], s[10:11]
	s_cbranch_execnz .LBB64_166
.LBB64_107:                             ;   in Loop: Header=BB64_16 Depth=1
	s_or_b64 exec, exec, s[36:37]
	s_and_saveexec_b64 s[36:37], s[12:13]
	s_cbranch_execnz .LBB64_171
.LBB64_108:                             ;   in Loop: Header=BB64_16 Depth=1
	s_or_b64 exec, exec, s[36:37]
	s_and_saveexec_b64 s[36:37], s[14:15]
	s_cbranch_execnz .LBB64_176
.LBB64_109:                             ;   in Loop: Header=BB64_16 Depth=1
	s_or_b64 exec, exec, s[36:37]
	v_add_u32_e32 v58, s19, v58
	s_and_saveexec_b64 s[16:17], vcc
	s_cbranch_execnz .LBB64_181
.LBB64_110:                             ;   in Loop: Header=BB64_16 Depth=1
	s_or_b64 exec, exec, s[16:17]
	s_and_saveexec_b64 s[16:17], s[4:5]
	s_cbranch_execnz .LBB64_186
.LBB64_111:                             ;   in Loop: Header=BB64_16 Depth=1
	s_or_b64 exec, exec, s[16:17]
	s_and_saveexec_b64 s[4:5], s[6:7]
	s_cbranch_execnz .LBB64_191
.LBB64_112:                             ;   in Loop: Header=BB64_16 Depth=1
	s_or_b64 exec, exec, s[4:5]
	s_and_saveexec_b64 s[4:5], s[8:9]
	s_cbranch_execnz .LBB64_196
.LBB64_113:                             ;   in Loop: Header=BB64_16 Depth=1
	s_or_b64 exec, exec, s[4:5]
	s_and_saveexec_b64 s[4:5], s[10:11]
	s_cbranch_execnz .LBB64_201
.LBB64_114:                             ;   in Loop: Header=BB64_16 Depth=1
	s_or_b64 exec, exec, s[4:5]
	s_and_saveexec_b64 s[4:5], s[12:13]
	s_cbranch_execnz .LBB64_206
.LBB64_115:                             ;   in Loop: Header=BB64_16 Depth=1
	s_or_b64 exec, exec, s[4:5]
	s_and_b64 exec, exec, s[14:15]
	s_cbranch_execnz .LBB64_211
	s_branch .LBB64_216
.LBB64_116:                             ;   in Loop: Header=BB64_16 Depth=1
	v_and_b32_e32 v0, 0x7f800000, v77
	v_cmp_ne_u32_e64 s[16:17], s45, v0
                                        ; implicit-def: $vgpr0
	s_and_saveexec_b64 s[38:39], s[16:17]
	s_xor_b64 s[16:17], exec, s[38:39]
; %bb.117:                              ;   in Loop: Header=BB64_16 Depth=1
	v_bfe_u32 v0, v77, 16, 1
	v_add3_u32 v0, v77, v0, s44
; %bb.118:                              ;   in Loop: Header=BB64_16 Depth=1
	s_andn2_saveexec_b64 s[38:39], s[16:17]
; %bb.119:                              ;   in Loop: Header=BB64_16 Depth=1
	v_or_b32_e32 v0, 0x10000, v77
	v_cmp_eq_u32_sdwa s[16:17], v77, v59 src0_sel:WORD_0 src1_sel:DWORD
	s_nop 1
	v_cndmask_b32_e64 v0, v0, v77, s[16:17]
; %bb.120:                              ;   in Loop: Header=BB64_16 Depth=1
	s_or_b64 exec, exec, s[38:39]
	v_add_u32_e32 v54, 1, v58
	v_mov_b32_e32 v55, v59
	s_waitcnt lgkmcnt(0)
	v_lshl_add_u64 v[54:55], v[54:55], 1, s[24:25]
	global_store_short_d16_hi v[54:55], v0, off
	s_or_b64 exec, exec, s[36:37]
	s_and_saveexec_b64 s[36:37], s[6:7]
	s_cbranch_execz .LBB64_98
.LBB64_121:                             ;   in Loop: Header=BB64_16 Depth=1
	v_and_b32_e32 v0, 0x7f800000, v76
	v_cmp_ne_u32_e64 s[16:17], s45, v0
                                        ; implicit-def: $vgpr0
	s_and_saveexec_b64 s[38:39], s[16:17]
	s_xor_b64 s[16:17], exec, s[38:39]
; %bb.122:                              ;   in Loop: Header=BB64_16 Depth=1
	v_bfe_u32 v0, v76, 16, 1
	v_add3_u32 v0, v76, v0, s44
                                        ; implicit-def: $vgpr76
; %bb.123:                              ;   in Loop: Header=BB64_16 Depth=1
	s_andn2_saveexec_b64 s[38:39], s[16:17]
; %bb.124:                              ;   in Loop: Header=BB64_16 Depth=1
	v_or_b32_e32 v0, 0x10000, v76
	v_cmp_eq_u32_sdwa s[16:17], v76, v59 src0_sel:WORD_0 src1_sel:DWORD
	s_nop 1
	v_cndmask_b32_e64 v0, v0, v76, s[16:17]
; %bb.125:                              ;   in Loop: Header=BB64_16 Depth=1
	s_or_b64 exec, exec, s[38:39]
	v_add_u32_e32 v54, 2, v58
	v_mov_b32_e32 v55, v59
	s_waitcnt lgkmcnt(0)
	v_lshl_add_u64 v[54:55], v[54:55], 1, s[24:25]
	global_store_short_d16_hi v[54:55], v0, off
	s_or_b64 exec, exec, s[36:37]
	s_and_saveexec_b64 s[36:37], s[8:9]
	s_cbranch_execz .LBB64_99
.LBB64_126:                             ;   in Loop: Header=BB64_16 Depth=1
	v_and_b32_e32 v0, 0x7f800000, v75
	v_cmp_ne_u32_e64 s[16:17], s45, v0
                                        ; implicit-def: $vgpr0
	s_and_saveexec_b64 s[38:39], s[16:17]
	s_xor_b64 s[16:17], exec, s[38:39]
; %bb.127:                              ;   in Loop: Header=BB64_16 Depth=1
	v_bfe_u32 v0, v75, 16, 1
	v_add3_u32 v0, v75, v0, s44
; %bb.128:                              ;   in Loop: Header=BB64_16 Depth=1
	s_andn2_saveexec_b64 s[38:39], s[16:17]
; %bb.129:                              ;   in Loop: Header=BB64_16 Depth=1
	v_or_b32_e32 v0, 0x10000, v75
	v_cmp_eq_u32_sdwa s[16:17], v75, v59 src0_sel:WORD_0 src1_sel:DWORD
	s_nop 1
	v_cndmask_b32_e64 v0, v0, v75, s[16:17]
; %bb.130:                              ;   in Loop: Header=BB64_16 Depth=1
	s_or_b64 exec, exec, s[38:39]
	v_add_u32_e32 v54, 3, v58
	v_mov_b32_e32 v55, v59
	s_waitcnt lgkmcnt(0)
	v_lshl_add_u64 v[54:55], v[54:55], 1, s[24:25]
	global_store_short_d16_hi v[54:55], v0, off
	s_or_b64 exec, exec, s[36:37]
	s_and_saveexec_b64 s[36:37], s[10:11]
	s_cbranch_execz .LBB64_100
.LBB64_131:                             ;   in Loop: Header=BB64_16 Depth=1
	v_and_b32_e32 v0, 0x7f800000, v74
	v_cmp_ne_u32_e64 s[16:17], s45, v0
                                        ; implicit-def: $vgpr0
	s_and_saveexec_b64 s[38:39], s[16:17]
	s_xor_b64 s[16:17], exec, s[38:39]
; %bb.132:                              ;   in Loop: Header=BB64_16 Depth=1
	v_bfe_u32 v0, v74, 16, 1
	v_add3_u32 v0, v74, v0, s44
                                        ; implicit-def: $vgpr74
; %bb.133:                              ;   in Loop: Header=BB64_16 Depth=1
	s_andn2_saveexec_b64 s[38:39], s[16:17]
; %bb.134:                              ;   in Loop: Header=BB64_16 Depth=1
	v_or_b32_e32 v0, 0x10000, v74
	v_cmp_eq_u32_sdwa s[16:17], v74, v59 src0_sel:WORD_0 src1_sel:DWORD
	s_nop 1
	v_cndmask_b32_e64 v0, v0, v74, s[16:17]
; %bb.135:                              ;   in Loop: Header=BB64_16 Depth=1
	s_or_b64 exec, exec, s[38:39]
	v_add_u32_e32 v54, 4, v58
	v_mov_b32_e32 v55, v59
	s_waitcnt lgkmcnt(0)
	v_lshl_add_u64 v[54:55], v[54:55], 1, s[24:25]
	global_store_short_d16_hi v[54:55], v0, off
	s_or_b64 exec, exec, s[36:37]
	s_and_saveexec_b64 s[36:37], s[12:13]
	s_cbranch_execz .LBB64_101
.LBB64_136:                             ;   in Loop: Header=BB64_16 Depth=1
	v_and_b32_e32 v0, 0x7f800000, v73
	v_cmp_ne_u32_e64 s[16:17], s45, v0
                                        ; implicit-def: $vgpr0
	s_and_saveexec_b64 s[38:39], s[16:17]
	s_xor_b64 s[16:17], exec, s[38:39]
; %bb.137:                              ;   in Loop: Header=BB64_16 Depth=1
	v_bfe_u32 v0, v73, 16, 1
	v_add3_u32 v0, v73, v0, s44
; %bb.138:                              ;   in Loop: Header=BB64_16 Depth=1
	s_andn2_saveexec_b64 s[38:39], s[16:17]
; %bb.139:                              ;   in Loop: Header=BB64_16 Depth=1
	v_or_b32_e32 v0, 0x10000, v73
	v_cmp_eq_u32_sdwa s[16:17], v73, v59 src0_sel:WORD_0 src1_sel:DWORD
	s_nop 1
	v_cndmask_b32_e64 v0, v0, v73, s[16:17]
; %bb.140:                              ;   in Loop: Header=BB64_16 Depth=1
	s_or_b64 exec, exec, s[38:39]
	v_add_u32_e32 v54, 5, v58
	v_mov_b32_e32 v55, v59
	s_waitcnt lgkmcnt(0)
	v_lshl_add_u64 v[54:55], v[54:55], 1, s[24:25]
	global_store_short_d16_hi v[54:55], v0, off
	s_or_b64 exec, exec, s[36:37]
	s_and_saveexec_b64 s[36:37], s[14:15]
	s_cbranch_execz .LBB64_102
.LBB64_141:                             ;   in Loop: Header=BB64_16 Depth=1
	v_and_b32_e32 v0, 0x7f800000, v72
	v_cmp_ne_u32_e64 s[16:17], s45, v0
                                        ; implicit-def: $vgpr0
	s_and_saveexec_b64 s[38:39], s[16:17]
	s_xor_b64 s[16:17], exec, s[38:39]
; %bb.142:                              ;   in Loop: Header=BB64_16 Depth=1
	v_bfe_u32 v0, v72, 16, 1
	v_add3_u32 v0, v72, v0, s44
                                        ; implicit-def: $vgpr72
; %bb.143:                              ;   in Loop: Header=BB64_16 Depth=1
	s_andn2_saveexec_b64 s[38:39], s[16:17]
; %bb.144:                              ;   in Loop: Header=BB64_16 Depth=1
	v_or_b32_e32 v0, 0x10000, v72
	v_cmp_eq_u32_sdwa s[16:17], v72, v59 src0_sel:WORD_0 src1_sel:DWORD
	s_nop 1
	v_cndmask_b32_e64 v0, v0, v72, s[16:17]
; %bb.145:                              ;   in Loop: Header=BB64_16 Depth=1
	s_or_b64 exec, exec, s[38:39]
	v_add_u32_e32 v54, 6, v58
	v_mov_b32_e32 v55, v59
	s_waitcnt lgkmcnt(0)
	v_lshl_add_u64 v[54:55], v[54:55], 1, s[24:25]
	global_store_short_d16_hi v[54:55], v0, off
	s_or_b64 exec, exec, s[36:37]
	v_add_u32_e32 v58, s19, v58
	s_and_saveexec_b64 s[36:37], vcc
	s_cbranch_execz .LBB64_103
.LBB64_146:                             ;   in Loop: Header=BB64_16 Depth=1
	v_mov_b32_e32 v0, v9
	v_and_b32_e32 v0, 0x7f800000, v0
	v_cmp_ne_u32_e64 s[16:17], s45, v0
                                        ; implicit-def: $vgpr0
	s_and_saveexec_b64 s[38:39], s[16:17]
	s_xor_b64 s[16:17], exec, s[38:39]
; %bb.147:                              ;   in Loop: Header=BB64_16 Depth=1
	v_bfe_u32 v0, v9, 16, 1
	v_add3_u32 v0, v9, v0, s44
                                        ; implicit-def: $vgpr9
; %bb.148:                              ;   in Loop: Header=BB64_16 Depth=1
	s_andn2_saveexec_b64 s[38:39], s[16:17]
; %bb.149:                              ;   in Loop: Header=BB64_16 Depth=1
	v_or_b32_e32 v0, 0x10000, v9
	v_cmp_eq_u32_sdwa s[16:17], v9, v59 src0_sel:WORD_0 src1_sel:DWORD
	s_nop 1
	v_cndmask_b32_e64 v0, v0, v9, s[16:17]
; %bb.150:                              ;   in Loop: Header=BB64_16 Depth=1
	s_or_b64 exec, exec, s[38:39]
	s_waitcnt lgkmcnt(0)
	v_lshl_add_u64 v[54:55], v[58:59], 1, s[24:25]
	global_store_short_d16_hi v[54:55], v0, off
	s_or_b64 exec, exec, s[36:37]
	s_and_saveexec_b64 s[36:37], s[4:5]
	s_cbranch_execz .LBB64_104
.LBB64_151:                             ;   in Loop: Header=BB64_16 Depth=1
	v_and_b32_e32 v0, 0x7f800000, v71
	v_cmp_ne_u32_e64 s[16:17], s45, v0
                                        ; implicit-def: $vgpr0
	s_and_saveexec_b64 s[38:39], s[16:17]
	s_xor_b64 s[16:17], exec, s[38:39]
; %bb.152:                              ;   in Loop: Header=BB64_16 Depth=1
	v_bfe_u32 v0, v71, 16, 1
	v_add3_u32 v0, v71, v0, s44
; %bb.153:                              ;   in Loop: Header=BB64_16 Depth=1
	s_andn2_saveexec_b64 s[38:39], s[16:17]
; %bb.154:                              ;   in Loop: Header=BB64_16 Depth=1
	v_or_b32_e32 v0, 0x10000, v71
	v_cmp_eq_u32_sdwa s[16:17], v71, v59 src0_sel:WORD_0 src1_sel:DWORD
	s_nop 1
	v_cndmask_b32_e64 v0, v0, v71, s[16:17]
; %bb.155:                              ;   in Loop: Header=BB64_16 Depth=1
	s_or_b64 exec, exec, s[38:39]
	v_add_u32_e32 v54, 1, v58
	v_mov_b32_e32 v55, v59
	s_waitcnt lgkmcnt(0)
	v_lshl_add_u64 v[54:55], v[54:55], 1, s[24:25]
	global_store_short_d16_hi v[54:55], v0, off
	s_or_b64 exec, exec, s[36:37]
	s_and_saveexec_b64 s[36:37], s[6:7]
	s_cbranch_execz .LBB64_105
.LBB64_156:                             ;   in Loop: Header=BB64_16 Depth=1
	v_and_b32_e32 v0, 0x7f800000, v70
	v_cmp_ne_u32_e64 s[16:17], s45, v0
                                        ; implicit-def: $vgpr0
	s_and_saveexec_b64 s[38:39], s[16:17]
	s_xor_b64 s[16:17], exec, s[38:39]
; %bb.157:                              ;   in Loop: Header=BB64_16 Depth=1
	v_bfe_u32 v0, v70, 16, 1
	v_add3_u32 v0, v70, v0, s44
                                        ; implicit-def: $vgpr70
; %bb.158:                              ;   in Loop: Header=BB64_16 Depth=1
	s_andn2_saveexec_b64 s[38:39], s[16:17]
; %bb.159:                              ;   in Loop: Header=BB64_16 Depth=1
	v_or_b32_e32 v0, 0x10000, v70
	v_cmp_eq_u32_sdwa s[16:17], v70, v59 src0_sel:WORD_0 src1_sel:DWORD
	s_nop 1
	v_cndmask_b32_e64 v0, v0, v70, s[16:17]
; %bb.160:                              ;   in Loop: Header=BB64_16 Depth=1
	s_or_b64 exec, exec, s[38:39]
	v_add_u32_e32 v54, 2, v58
	v_mov_b32_e32 v55, v59
	s_waitcnt lgkmcnt(0)
	v_lshl_add_u64 v[54:55], v[54:55], 1, s[24:25]
	global_store_short_d16_hi v[54:55], v0, off
	s_or_b64 exec, exec, s[36:37]
	s_and_saveexec_b64 s[36:37], s[8:9]
	s_cbranch_execz .LBB64_106
.LBB64_161:                             ;   in Loop: Header=BB64_16 Depth=1
	v_and_b32_e32 v0, 0x7f800000, v69
	v_cmp_ne_u32_e64 s[16:17], s45, v0
                                        ; implicit-def: $vgpr0
	s_and_saveexec_b64 s[38:39], s[16:17]
	s_xor_b64 s[16:17], exec, s[38:39]
; %bb.162:                              ;   in Loop: Header=BB64_16 Depth=1
	v_bfe_u32 v0, v69, 16, 1
	v_add3_u32 v0, v69, v0, s44
; %bb.163:                              ;   in Loop: Header=BB64_16 Depth=1
	s_andn2_saveexec_b64 s[38:39], s[16:17]
; %bb.164:                              ;   in Loop: Header=BB64_16 Depth=1
	v_or_b32_e32 v0, 0x10000, v69
	v_cmp_eq_u32_sdwa s[16:17], v69, v59 src0_sel:WORD_0 src1_sel:DWORD
	s_nop 1
	v_cndmask_b32_e64 v0, v0, v69, s[16:17]
; %bb.165:                              ;   in Loop: Header=BB64_16 Depth=1
	s_or_b64 exec, exec, s[38:39]
	v_add_u32_e32 v54, 3, v58
	v_mov_b32_e32 v55, v59
	s_waitcnt lgkmcnt(0)
	v_lshl_add_u64 v[54:55], v[54:55], 1, s[24:25]
	global_store_short_d16_hi v[54:55], v0, off
	s_or_b64 exec, exec, s[36:37]
	s_and_saveexec_b64 s[36:37], s[10:11]
	s_cbranch_execz .LBB64_107
.LBB64_166:                             ;   in Loop: Header=BB64_16 Depth=1
	v_and_b32_e32 v0, 0x7f800000, v68
	v_cmp_ne_u32_e64 s[16:17], s45, v0
                                        ; implicit-def: $vgpr0
	s_and_saveexec_b64 s[38:39], s[16:17]
	s_xor_b64 s[16:17], exec, s[38:39]
; %bb.167:                              ;   in Loop: Header=BB64_16 Depth=1
	v_bfe_u32 v0, v68, 16, 1
	v_add3_u32 v0, v68, v0, s44
                                        ; implicit-def: $vgpr68
; %bb.168:                              ;   in Loop: Header=BB64_16 Depth=1
	s_andn2_saveexec_b64 s[38:39], s[16:17]
; %bb.169:                              ;   in Loop: Header=BB64_16 Depth=1
	v_or_b32_e32 v0, 0x10000, v68
	v_cmp_eq_u32_sdwa s[16:17], v68, v59 src0_sel:WORD_0 src1_sel:DWORD
	s_nop 1
	v_cndmask_b32_e64 v0, v0, v68, s[16:17]
; %bb.170:                              ;   in Loop: Header=BB64_16 Depth=1
	s_or_b64 exec, exec, s[38:39]
	v_add_u32_e32 v54, 4, v58
	v_mov_b32_e32 v55, v59
	s_waitcnt lgkmcnt(0)
	v_lshl_add_u64 v[54:55], v[54:55], 1, s[24:25]
	global_store_short_d16_hi v[54:55], v0, off
	s_or_b64 exec, exec, s[36:37]
	s_and_saveexec_b64 s[36:37], s[12:13]
	s_cbranch_execz .LBB64_108
.LBB64_171:                             ;   in Loop: Header=BB64_16 Depth=1
	v_and_b32_e32 v0, 0x7f800000, v57
	v_cmp_ne_u32_e64 s[16:17], s45, v0
                                        ; implicit-def: $vgpr0
	s_and_saveexec_b64 s[38:39], s[16:17]
	s_xor_b64 s[16:17], exec, s[38:39]
; %bb.172:                              ;   in Loop: Header=BB64_16 Depth=1
	v_bfe_u32 v0, v57, 16, 1
	v_add3_u32 v0, v57, v0, s44
; %bb.173:                              ;   in Loop: Header=BB64_16 Depth=1
	s_andn2_saveexec_b64 s[38:39], s[16:17]
; %bb.174:                              ;   in Loop: Header=BB64_16 Depth=1
	v_or_b32_e32 v0, 0x10000, v57
	v_cmp_eq_u32_sdwa s[16:17], v57, v59 src0_sel:WORD_0 src1_sel:DWORD
	s_nop 1
	v_cndmask_b32_e64 v0, v0, v57, s[16:17]
; %bb.175:                              ;   in Loop: Header=BB64_16 Depth=1
	s_or_b64 exec, exec, s[38:39]
	v_add_u32_e32 v54, 5, v58
	v_mov_b32_e32 v55, v59
	s_waitcnt lgkmcnt(0)
	v_lshl_add_u64 v[54:55], v[54:55], 1, s[24:25]
	global_store_short_d16_hi v[54:55], v0, off
	s_or_b64 exec, exec, s[36:37]
	s_and_saveexec_b64 s[36:37], s[14:15]
	s_cbranch_execz .LBB64_109
.LBB64_176:                             ;   in Loop: Header=BB64_16 Depth=1
	v_and_b32_e32 v0, 0x7f800000, v56
	v_cmp_ne_u32_e64 s[16:17], s45, v0
                                        ; implicit-def: $vgpr0
	s_and_saveexec_b64 s[38:39], s[16:17]
	s_xor_b64 s[16:17], exec, s[38:39]
; %bb.177:                              ;   in Loop: Header=BB64_16 Depth=1
	v_bfe_u32 v0, v56, 16, 1
	v_add3_u32 v0, v56, v0, s44
                                        ; implicit-def: $vgpr56
; %bb.178:                              ;   in Loop: Header=BB64_16 Depth=1
	s_andn2_saveexec_b64 s[38:39], s[16:17]
; %bb.179:                              ;   in Loop: Header=BB64_16 Depth=1
	v_or_b32_e32 v0, 0x10000, v56
	v_cmp_eq_u32_sdwa s[16:17], v56, v59 src0_sel:WORD_0 src1_sel:DWORD
	s_nop 1
	v_cndmask_b32_e64 v0, v0, v56, s[16:17]
; %bb.180:                              ;   in Loop: Header=BB64_16 Depth=1
	s_or_b64 exec, exec, s[38:39]
	v_add_u32_e32 v54, 6, v58
	v_mov_b32_e32 v55, v59
	s_waitcnt lgkmcnt(0)
	v_lshl_add_u64 v[54:55], v[54:55], 1, s[24:25]
	global_store_short_d16_hi v[54:55], v0, off
	s_or_b64 exec, exec, s[36:37]
	v_add_u32_e32 v58, s19, v58
	s_and_saveexec_b64 s[16:17], vcc
	s_cbranch_execz .LBB64_110
.LBB64_181:                             ;   in Loop: Header=BB64_16 Depth=1
	v_and_b32_e32 v0, 0x7f800000, v81
	v_cmp_ne_u32_e32 vcc, s45, v0
                                        ; implicit-def: $vgpr0
	s_and_saveexec_b64 s[36:37], vcc
	s_xor_b64 s[36:37], exec, s[36:37]
; %bb.182:                              ;   in Loop: Header=BB64_16 Depth=1
	v_bfe_u32 v0, v81, 16, 1
	v_add3_u32 v0, v81, v0, s44
                                        ; implicit-def: $vgpr81
; %bb.183:                              ;   in Loop: Header=BB64_16 Depth=1
	s_andn2_saveexec_b64 s[36:37], s[36:37]
; %bb.184:                              ;   in Loop: Header=BB64_16 Depth=1
	v_or_b32_e32 v0, 0x10000, v81
	v_cmp_eq_u32_sdwa vcc, v81, v59 src0_sel:WORD_0 src1_sel:DWORD
	s_nop 1
	v_cndmask_b32_e32 v0, v0, v81, vcc
; %bb.185:                              ;   in Loop: Header=BB64_16 Depth=1
	s_or_b64 exec, exec, s[36:37]
	s_waitcnt lgkmcnt(0)
	v_lshl_add_u64 v[54:55], v[58:59], 1, s[24:25]
	global_store_short_d16_hi v[54:55], v0, off
	s_or_b64 exec, exec, s[16:17]
	s_and_saveexec_b64 s[16:17], s[4:5]
	s_cbranch_execz .LBB64_111
.LBB64_186:                             ;   in Loop: Header=BB64_16 Depth=1
	v_mov_b64_e32 v[0:1], v[64:65]
	v_and_b32_e32 v0, 0x7f800000, v1
	v_cmp_ne_u32_e32 vcc, s45, v0
                                        ; implicit-def: $vgpr0
	s_and_saveexec_b64 s[4:5], vcc
	s_xor_b64 s[4:5], exec, s[4:5]
; %bb.187:                              ;   in Loop: Header=BB64_16 Depth=1
	v_mov_b64_e32 v[0:1], v[64:65]
	v_bfe_u32 v0, v1, 16, 1
	v_add3_u32 v0, v1, v0, s44
; %bb.188:                              ;   in Loop: Header=BB64_16 Depth=1
	s_andn2_saveexec_b64 s[4:5], s[4:5]
; %bb.189:                              ;   in Loop: Header=BB64_16 Depth=1
	v_mov_b64_e32 v[0:1], v[64:65]
	v_or_b32_e32 v0, 0x10000, v1
	v_cmp_eq_u32_sdwa vcc, v1, v59 src0_sel:WORD_0 src1_sel:DWORD
	s_nop 1
	v_cndmask_b32_e32 v0, v0, v1, vcc
; %bb.190:                              ;   in Loop: Header=BB64_16 Depth=1
	s_or_b64 exec, exec, s[4:5]
	v_add_u32_e32 v54, 1, v58
	v_mov_b32_e32 v55, v59
	s_waitcnt lgkmcnt(0)
	v_lshl_add_u64 v[54:55], v[54:55], 1, s[24:25]
	global_store_short_d16_hi v[54:55], v0, off
	s_or_b64 exec, exec, s[16:17]
	s_and_saveexec_b64 s[4:5], s[6:7]
	s_cbranch_execz .LBB64_112
.LBB64_191:                             ;   in Loop: Header=BB64_16 Depth=1
	v_mov_b32_e32 v0, v64
	v_and_b32_e32 v0, 0x7f800000, v0
	v_cmp_ne_u32_e32 vcc, s45, v0
                                        ; implicit-def: $vgpr0
	s_and_saveexec_b64 s[6:7], vcc
	s_xor_b64 s[6:7], exec, s[6:7]
; %bb.192:                              ;   in Loop: Header=BB64_16 Depth=1
	v_bfe_u32 v0, v64, 16, 1
	v_add3_u32 v0, v64, v0, s44
                                        ; implicit-def: $vgpr64
; %bb.193:                              ;   in Loop: Header=BB64_16 Depth=1
	s_andn2_saveexec_b64 s[6:7], s[6:7]
; %bb.194:                              ;   in Loop: Header=BB64_16 Depth=1
	v_or_b32_e32 v0, 0x10000, v64
	v_cmp_eq_u32_sdwa vcc, v64, v59 src0_sel:WORD_0 src1_sel:DWORD
	s_nop 1
	v_cndmask_b32_e32 v0, v0, v64, vcc
; %bb.195:                              ;   in Loop: Header=BB64_16 Depth=1
	s_or_b64 exec, exec, s[6:7]
	v_add_u32_e32 v54, 2, v58
	v_mov_b32_e32 v55, v59
	s_waitcnt lgkmcnt(0)
	v_lshl_add_u64 v[54:55], v[54:55], 1, s[24:25]
	global_store_short_d16_hi v[54:55], v0, off
	s_or_b64 exec, exec, s[4:5]
	s_and_saveexec_b64 s[4:5], s[8:9]
	s_cbranch_execz .LBB64_113
.LBB64_196:                             ;   in Loop: Header=BB64_16 Depth=1
	v_mov_b64_e32 v[0:1], v[62:63]
	v_and_b32_e32 v0, 0x7f800000, v1
	v_cmp_ne_u32_e32 vcc, s45, v0
                                        ; implicit-def: $vgpr0
	s_and_saveexec_b64 s[6:7], vcc
	s_xor_b64 s[6:7], exec, s[6:7]
; %bb.197:                              ;   in Loop: Header=BB64_16 Depth=1
	v_mov_b64_e32 v[0:1], v[62:63]
	v_bfe_u32 v0, v1, 16, 1
	v_add3_u32 v0, v1, v0, s44
; %bb.198:                              ;   in Loop: Header=BB64_16 Depth=1
	s_andn2_saveexec_b64 s[6:7], s[6:7]
; %bb.199:                              ;   in Loop: Header=BB64_16 Depth=1
	v_mov_b64_e32 v[0:1], v[62:63]
	v_or_b32_e32 v0, 0x10000, v1
	v_cmp_eq_u32_sdwa vcc, v1, v59 src0_sel:WORD_0 src1_sel:DWORD
	s_nop 1
	v_cndmask_b32_e32 v0, v0, v1, vcc
; %bb.200:                              ;   in Loop: Header=BB64_16 Depth=1
	s_or_b64 exec, exec, s[6:7]
	v_add_u32_e32 v54, 3, v58
	v_mov_b32_e32 v55, v59
	s_waitcnt lgkmcnt(0)
	v_lshl_add_u64 v[54:55], v[54:55], 1, s[24:25]
	global_store_short_d16_hi v[54:55], v0, off
	s_or_b64 exec, exec, s[4:5]
	s_and_saveexec_b64 s[4:5], s[10:11]
	s_cbranch_execz .LBB64_114
.LBB64_201:                             ;   in Loop: Header=BB64_16 Depth=1
	v_mov_b32_e32 v0, v62
	v_and_b32_e32 v0, 0x7f800000, v0
	v_cmp_ne_u32_e32 vcc, s45, v0
                                        ; implicit-def: $vgpr0
	s_and_saveexec_b64 s[6:7], vcc
	s_xor_b64 s[6:7], exec, s[6:7]
; %bb.202:                              ;   in Loop: Header=BB64_16 Depth=1
	v_bfe_u32 v0, v62, 16, 1
	v_add3_u32 v0, v62, v0, s44
                                        ; implicit-def: $vgpr62
; %bb.203:                              ;   in Loop: Header=BB64_16 Depth=1
	s_andn2_saveexec_b64 s[6:7], s[6:7]
; %bb.204:                              ;   in Loop: Header=BB64_16 Depth=1
	v_or_b32_e32 v0, 0x10000, v62
	v_cmp_eq_u32_sdwa vcc, v62, v59 src0_sel:WORD_0 src1_sel:DWORD
	s_nop 1
	v_cndmask_b32_e32 v0, v0, v62, vcc
; %bb.205:                              ;   in Loop: Header=BB64_16 Depth=1
	s_or_b64 exec, exec, s[6:7]
	v_add_u32_e32 v54, 4, v58
	v_mov_b32_e32 v55, v59
	s_waitcnt lgkmcnt(0)
	v_lshl_add_u64 v[54:55], v[54:55], 1, s[24:25]
	global_store_short_d16_hi v[54:55], v0, off
	s_or_b64 exec, exec, s[4:5]
	s_and_saveexec_b64 s[4:5], s[12:13]
	s_cbranch_execz .LBB64_115
.LBB64_206:                             ;   in Loop: Header=BB64_16 Depth=1
	v_mov_b64_e32 v[0:1], v[60:61]
	v_and_b32_e32 v0, 0x7f800000, v1
	v_cmp_ne_u32_e32 vcc, s45, v0
                                        ; implicit-def: $vgpr0
	s_and_saveexec_b64 s[6:7], vcc
	s_xor_b64 s[6:7], exec, s[6:7]
; %bb.207:                              ;   in Loop: Header=BB64_16 Depth=1
	v_mov_b64_e32 v[0:1], v[60:61]
	v_bfe_u32 v0, v1, 16, 1
	v_add3_u32 v0, v1, v0, s44
; %bb.208:                              ;   in Loop: Header=BB64_16 Depth=1
	s_andn2_saveexec_b64 s[6:7], s[6:7]
; %bb.209:                              ;   in Loop: Header=BB64_16 Depth=1
	v_mov_b64_e32 v[0:1], v[60:61]
	v_or_b32_e32 v0, 0x10000, v1
	v_cmp_eq_u32_sdwa vcc, v1, v59 src0_sel:WORD_0 src1_sel:DWORD
	s_nop 1
	v_cndmask_b32_e32 v0, v0, v1, vcc
; %bb.210:                              ;   in Loop: Header=BB64_16 Depth=1
	s_or_b64 exec, exec, s[6:7]
	v_add_u32_e32 v54, 5, v58
	v_mov_b32_e32 v55, v59
	s_waitcnt lgkmcnt(0)
	v_lshl_add_u64 v[54:55], v[54:55], 1, s[24:25]
	global_store_short_d16_hi v[54:55], v0, off
	s_or_b64 exec, exec, s[4:5]
	s_and_b64 exec, exec, s[14:15]
	s_cbranch_execz .LBB64_216
.LBB64_211:                             ;   in Loop: Header=BB64_16 Depth=1
	v_mov_b32_e32 v0, v60
	v_and_b32_e32 v0, 0x7f800000, v0
	v_cmp_ne_u32_e32 vcc, s45, v0
                                        ; implicit-def: $vgpr0
	s_and_saveexec_b64 s[4:5], vcc
	s_xor_b64 s[4:5], exec, s[4:5]
; %bb.212:                              ;   in Loop: Header=BB64_16 Depth=1
	v_bfe_u32 v0, v60, 16, 1
	v_add3_u32 v0, v60, v0, s44
                                        ; implicit-def: $vgpr60
; %bb.213:                              ;   in Loop: Header=BB64_16 Depth=1
	s_andn2_saveexec_b64 s[4:5], s[4:5]
; %bb.214:                              ;   in Loop: Header=BB64_16 Depth=1
	v_or_b32_e32 v0, 0x10000, v60
	v_cmp_eq_u32_sdwa vcc, v60, v59 src0_sel:WORD_0 src1_sel:DWORD
	s_nop 1
	v_cndmask_b32_e32 v0, v0, v60, vcc
; %bb.215:                              ;   in Loop: Header=BB64_16 Depth=1
	s_or_b64 exec, exec, s[4:5]
	v_add_u32_e32 v58, 6, v58
	s_waitcnt lgkmcnt(0)
	v_lshl_add_u64 v[54:55], v[58:59], 1, s[24:25]
	global_store_short_d16_hi v[54:55], v0, off
.LBB64_216:                             ;   in Loop: Header=BB64_16 Depth=1
	s_or_b64 exec, exec, s[34:35]
	scratch_load_dwordx2 v[54:55], off, off offset:140 ; 8-byte Folded Reload
	s_waitcnt vmcnt(0)
	v_add_u32_e32 v54, s40, v54
	v_add_u32_e32 v0, 7, v54
	v_cmp_gt_u32_e32 vcc, s19, v54
	v_cmp_le_u32_e64 s[4:5], s19, v0
	s_and_b64 s[4:5], vcc, s[4:5]
	s_and_saveexec_b64 s[6:7], s[4:5]
	s_cbranch_execz .LBB64_15
; %bb.217:                              ;   in Loop: Header=BB64_16 Depth=1
	v_cmp_ne_u32_e32 vcc, s41, v54
	s_and_saveexec_b64 s[8:9], vcc
	s_cbranch_execz .LBB64_14
; %bb.218:                              ;   in Loop: Header=BB64_16 Depth=1
	v_subrev_u32_e32 v0, s41, v54
	v_cmp_lt_u32_e32 vcc, 1, v0
	s_mov_b64 s[10:11], 0
	s_mov_b64 s[12:13], 0
	v_cndmask_b32_e32 v0, 1, v0, vcc
.LBB64_219:                             ;   Parent Loop BB64_16 Depth=1
                                        ; =>  This Inner Loop Header: Depth=2
	s_cmp_lg_u32 s12, 6
	s_cselect_b64 vcc, -1, 0
	s_cmp_lg_u32 s12, 5
	v_cndmask_b32_e32 v8, 0, v8, vcc
	s_cselect_b64 vcc, -1, 0
	s_cmp_lg_u32 s12, 4
	v_cndmask_b32_e32 v7, 0, v7, vcc
	;; [unrolled: 3-line block ×6, first 2 shown]
	s_cselect_b64 vcc, -1, 0
	s_add_u32 s12, s12, 1
	s_addc_u32 s13, s13, 0
	v_cmp_eq_u32_e64 s[4:5], s12, v0
	s_or_b64 s[10:11], s[4:5], s[10:11]
	v_cndmask_b32_e32 v2, 0, v2, vcc
	s_andn2_b64 exec, exec, s[10:11]
	s_cbranch_execnz .LBB64_219
; %bb.220:                              ;   in Loop: Header=BB64_16 Depth=1
	s_or_b64 exec, exec, s[10:11]
	s_branch .LBB64_14
.LBB64_221:
	s_endpgm
	.section	.rodata,"a",@progbits
	.p2align	6, 0x0
	.amdhsa_kernel _ZN5aiter12wvSplitK_hf_I14__hip_bfloat16Li64ELi7ELi16ELi8ELi1ELi4EEEviiPKT_S4_PS2_ii
		.amdhsa_group_segment_fixed_size 65536
		.amdhsa_private_segment_fixed_size 156
		.amdhsa_kernarg_size 40
		.amdhsa_user_sgpr_count 2
		.amdhsa_user_sgpr_dispatch_ptr 0
		.amdhsa_user_sgpr_queue_ptr 0
		.amdhsa_user_sgpr_kernarg_segment_ptr 1
		.amdhsa_user_sgpr_dispatch_id 0
		.amdhsa_user_sgpr_kernarg_preload_length 0
		.amdhsa_user_sgpr_kernarg_preload_offset 0
		.amdhsa_user_sgpr_private_segment_size 0
		.amdhsa_uses_dynamic_stack 0
		.amdhsa_enable_private_segment 1
		.amdhsa_system_sgpr_workgroup_id_x 1
		.amdhsa_system_sgpr_workgroup_id_y 0
		.amdhsa_system_sgpr_workgroup_id_z 0
		.amdhsa_system_sgpr_workgroup_info 0
		.amdhsa_system_vgpr_workitem_id 1
		.amdhsa_next_free_vgpr 128
		.amdhsa_next_free_sgpr 46
		.amdhsa_accum_offset 128
		.amdhsa_reserve_vcc 1
		.amdhsa_float_round_mode_32 0
		.amdhsa_float_round_mode_16_64 0
		.amdhsa_float_denorm_mode_32 3
		.amdhsa_float_denorm_mode_16_64 3
		.amdhsa_dx10_clamp 1
		.amdhsa_ieee_mode 1
		.amdhsa_fp16_overflow 0
		.amdhsa_tg_split 0
		.amdhsa_exception_fp_ieee_invalid_op 0
		.amdhsa_exception_fp_denorm_src 0
		.amdhsa_exception_fp_ieee_div_zero 0
		.amdhsa_exception_fp_ieee_overflow 0
		.amdhsa_exception_fp_ieee_underflow 0
		.amdhsa_exception_fp_ieee_inexact 0
		.amdhsa_exception_int_div_zero 0
	.end_amdhsa_kernel
	.section	.text._ZN5aiter12wvSplitK_hf_I14__hip_bfloat16Li64ELi7ELi16ELi8ELi1ELi4EEEviiPKT_S4_PS2_ii,"axG",@progbits,_ZN5aiter12wvSplitK_hf_I14__hip_bfloat16Li64ELi7ELi16ELi8ELi1ELi4EEEviiPKT_S4_PS2_ii,comdat
.Lfunc_end64:
	.size	_ZN5aiter12wvSplitK_hf_I14__hip_bfloat16Li64ELi7ELi16ELi8ELi1ELi4EEEviiPKT_S4_PS2_ii, .Lfunc_end64-_ZN5aiter12wvSplitK_hf_I14__hip_bfloat16Li64ELi7ELi16ELi8ELi1ELi4EEEviiPKT_S4_PS2_ii
                                        ; -- End function
	.section	.AMDGPU.csdata,"",@progbits
; Kernel info:
; codeLenInByte = 10960
; NumSgprs: 52
; NumVgprs: 128
; NumAgprs: 0
; TotalNumVgprs: 128
; ScratchSize: 156
; MemoryBound: 0
; FloatMode: 240
; IeeeMode: 1
; LDSByteSize: 65536 bytes/workgroup (compile time only)
; SGPRBlocks: 6
; VGPRBlocks: 15
; NumSGPRsForWavesPerEU: 52
; NumVGPRsForWavesPerEU: 128
; AccumOffset: 128
; Occupancy: 4
; WaveLimiterHint : 0
; COMPUTE_PGM_RSRC2:SCRATCH_EN: 1
; COMPUTE_PGM_RSRC2:USER_SGPR: 2
; COMPUTE_PGM_RSRC2:TRAP_HANDLER: 0
; COMPUTE_PGM_RSRC2:TGID_X_EN: 1
; COMPUTE_PGM_RSRC2:TGID_Y_EN: 0
; COMPUTE_PGM_RSRC2:TGID_Z_EN: 0
; COMPUTE_PGM_RSRC2:TIDIG_COMP_CNT: 1
; COMPUTE_PGM_RSRC3_GFX90A:ACCUM_OFFSET: 31
; COMPUTE_PGM_RSRC3_GFX90A:TG_SPLIT: 0
	.section	.text._ZN5aiter16wvSplitK_hf_big_I14__hip_bfloat16Li64ELi7ELi16ELi8ELi1ELi4EEEviiPKT_S4_PS2_ii,"axG",@progbits,_ZN5aiter16wvSplitK_hf_big_I14__hip_bfloat16Li64ELi7ELi16ELi8ELi1ELi4EEEviiPKT_S4_PS2_ii,comdat
	.protected	_ZN5aiter16wvSplitK_hf_big_I14__hip_bfloat16Li64ELi7ELi16ELi8ELi1ELi4EEEviiPKT_S4_PS2_ii ; -- Begin function _ZN5aiter16wvSplitK_hf_big_I14__hip_bfloat16Li64ELi7ELi16ELi8ELi1ELi4EEEviiPKT_S4_PS2_ii
	.globl	_ZN5aiter16wvSplitK_hf_big_I14__hip_bfloat16Li64ELi7ELi16ELi8ELi1ELi4EEEviiPKT_S4_PS2_ii
	.p2align	8
	.type	_ZN5aiter16wvSplitK_hf_big_I14__hip_bfloat16Li64ELi7ELi16ELi8ELi1ELi4EEEviiPKT_S4_PS2_ii,@function
_ZN5aiter16wvSplitK_hf_big_I14__hip_bfloat16Li64ELi7ELi16ELi8ELi1ELi4EEEviiPKT_S4_PS2_ii: ; @_ZN5aiter16wvSplitK_hf_big_I14__hip_bfloat16Li64ELi7ELi16ELi8ELi1ELi4EEEviiPKT_S4_PS2_ii
; %bb.0:
	s_load_dwordx2 s[12:13], s[0:1], 0x20
	v_bfe_u32 v1, v0, 10, 10
	s_waitcnt lgkmcnt(0)
	v_cmp_gt_u32_e32 vcc, s12, v1
	s_and_saveexec_b64 s[4:5], vcc
	s_cbranch_execz .LBB65_204
; %bb.1:
	s_load_dwordx2 s[24:25], s[0:1], 0x0
	s_mul_i32 s2, s2, s12
	v_add_u32_e32 v2, s2, v1
	v_mul_lo_u32 v46, v2, 7
	v_add_u32_e32 v2, 7, v46
	s_mov_b32 s4, 1
	s_waitcnt lgkmcnt(0)
	v_cmp_gt_u32_e32 vcc, s25, v46
	v_cmp_le_u32_e64 s[2:3], s25, v2
	s_mov_b32 s5, s4
	s_mov_b32 s6, s4
	;; [unrolled: 1-line block ×6, first 2 shown]
	v_mov_b32_e32 v2, s4
	s_and_b64 s[14:15], vcc, s[2:3]
	v_mov_b32_e32 v3, s5
	v_mov_b32_e32 v4, s6
	;; [unrolled: 1-line block ×6, first 2 shown]
	s_and_saveexec_b64 s[2:3], s[14:15]
	s_cbranch_execz .LBB65_7
; %bb.2:
	s_add_i32 s11, s25, -7
	v_mov_b32_e32 v2, s4
	v_cmp_ne_u32_e32 vcc, s11, v46
	v_mov_b32_e32 v3, s5
	v_mov_b32_e32 v4, s6
	v_mov_b32_e32 v5, s7
	v_mov_b32_e32 v6, s8
	v_mov_b32_e32 v7, s9
	v_mov_b32_e32 v8, s10
	s_and_saveexec_b64 s[14:15], vcc
	s_cbranch_execz .LBB65_6
; %bb.3:
	v_subrev_u32_e32 v2, s11, v46
	v_cmp_lt_u32_e32 vcc, 1, v2
	s_mov_b64 s[16:17], 0
	s_mov_b64 s[18:19], 0
	v_cndmask_b32_e32 v10, 1, v2, vcc
	s_mov_b32 s5, s4
	s_mov_b32 s6, s4
	;; [unrolled: 1-line block ×6, first 2 shown]
.LBB65_4:                               ; =>This Inner Loop Header: Depth=1
	s_cmp_lg_u32 s18, 6
	s_cselect_b32 s10, s10, 0
	s_cmp_lg_u32 s18, 5
	s_cselect_b32 s9, s9, 0
	;; [unrolled: 2-line block ×7, first 2 shown]
	s_add_u32 s18, s18, 1
	s_addc_u32 s19, s19, 0
	v_cmp_eq_u32_e32 vcc, s18, v10
	v_mov_b32_e32 v2, s4
	s_or_b64 s[16:17], vcc, s[16:17]
	v_mov_b32_e32 v3, s5
	v_mov_b32_e32 v4, s6
	;; [unrolled: 1-line block ×6, first 2 shown]
	s_andn2_b64 exec, exec, s[16:17]
	s_cbranch_execnz .LBB65_4
; %bb.5:
	s_or_b64 exec, exec, s[16:17]
	v_mov_b32_e32 v46, s11
.LBB65_6:
	s_or_b64 exec, exec, s[14:15]
.LBB65_7:
	s_or_b64 exec, exec, s[2:3]
	s_mul_i32 s52, s12, 7
	s_abs_i32 s2, s52
	v_cvt_f32_u32_e32 v9, s2
	s_sub_i32 s5, 0, s2
	s_abs_i32 s4, s25
	s_ashr_i32 s3, s25, 31
	v_rcp_iflag_f32_e32 v9, v9
	s_nop 0
	v_mul_f32_e32 v9, 0x4f7ffffe, v9
	v_cvt_u32_f32_e32 v9, v9
	s_nop 0
	v_readfirstlane_b32 s6, v9
	s_mul_i32 s5, s5, s6
	s_mul_hi_u32 s5, s6, s5
	s_add_i32 s6, s6, s5
	s_mul_hi_u32 s5, s4, s6
	s_mul_i32 s5, s5, s2
	s_sub_i32 s4, s4, s5
	s_sub_i32 s5, s4, s2
	s_cmp_ge_u32 s4, s2
	s_cselect_b32 s4, s5, s4
	s_sub_i32 s5, s4, s2
	s_cmp_ge_u32 s4, s2
	s_cselect_b32 s2, s5, s4
	s_xor_b32 s2, s2, s3
	s_sub_i32 s2, s2, s3
	s_add_i32 s3, s52, s25
	s_sub_i32 s3, s3, s2
	s_cmp_eq_u32 s2, 0
	s_cselect_b32 s33, s25, s3
	v_cmp_gt_u32_e32 vcc, s33, v46
	s_and_b64 exec, exec, vcc
	s_cbranch_execz .LBB65_204
; %bb.8:
	v_and_b32_e32 v0, 0x3ff, v0
	s_load_dwordx4 s[20:23], s[0:1], 0x8
	s_load_dwordx2 s[26:27], s[0:1], 0x18
	v_lshlrev_b32_e32 v9, 3, v0
	v_cmp_eq_u32_e64 s[0:1], 63, v0
	v_lshlrev_b32_e32 v0, 4, v0
	s_mov_b32 s2, 0
	v_lshl_add_u32 v0, v1, 10, v0
	v_lshl_add_u32 v112, v1, 9, v9
	v_cvt_f64_i32_e32 v[10:11], s24
	s_mov_b32 s3, 0x40c00000
	s_mul_i32 s30, s24, 3
	scratch_store_dword off, v0, off        ; 4-byte Folded Spill
	v_lshl_add_u32 v0, s24, 1, v112
	v_min_f64 v[10:11], v[10:11], s[2:3]
	s_cmp_lg_u32 s24, 0
	scratch_store_dword off, v0, off offset:4 ; 4-byte Folded Spill
	v_add_u32_e32 v0, s30, v112
	v_cvt_u32_f64_e32 v10, v[10:11]
	s_cselect_b64 s[2:3], -1, 0
	s_ashr_i32 s29, s24, 31
	s_mov_b32 s28, s24
	scratch_store_dword off, v0, off offset:8 ; 4-byte Folded Spill
	v_add_u32_e32 v0, s24, v112
	s_lshl_b32 s51, s12, 9
	s_ashr_i32 s31, s30, 31
	s_add_i32 s53, s25, -7
	s_lshl_b64 s[34:35], s[28:29], 1
	s_lshl_b64 s[36:37], s[28:29], 2
	scratch_store_dword off, v0, off offset:12 ; 4-byte Folded Spill
	v_cndmask_b32_e64 v0, 0, 1, s[2:3]
	v_cmp_ne_u32_e32 vcc, 0, v10
	v_readfirstlane_b32 s50, v10
	s_waitcnt lgkmcnt(0)
	s_add_u32 s38, s26, 2
	v_cmp_ne_u32_e64 s[2:3], 1, v0
	v_cndmask_b32_e64 v0, 0, 1, vcc
	s_mul_i32 s52, s52, s13
	s_addc_u32 s39, s27, 0
	v_mul_lo_u32 v108, v10, 6
	s_lshl_b32 s54, s12, 10
	v_lshlrev_b32_e32 v110, 2, v10
	v_lshlrev_b32_e32 v111, 1, v10
	s_mov_b64 s[40:41], 0
	v_cmp_ne_u32_e64 s[4:5], 1, v0
	v_mov_b32_e32 v1, 0
	s_lshl_b32 s55, s50, 1
	s_mov_b32 s56, 0x7f800000
	s_movk_i32 s57, 0x7fff
	s_branch .LBB65_12
.LBB65_9:                               ;   in Loop: Header=BB65_12 Depth=1
	s_or_b64 exec, exec, s[10:11]
	v_mov_b32_e32 v46, s53
.LBB65_10:                              ;   in Loop: Header=BB65_12 Depth=1
	s_or_b64 exec, exec, s[8:9]
.LBB65_11:                              ;   in Loop: Header=BB65_12 Depth=1
	s_or_b64 exec, exec, s[42:43]
	v_cmp_le_u32_e32 vcc, s33, v46
	s_or_b64 s[40:41], vcc, s[40:41]
	s_andn2_b64 exec, exec, s[40:41]
	s_cbranch_execz .LBB65_204
.LBB65_12:                              ; =>This Loop Header: Depth=1
                                        ;     Child Loop BB65_16 Depth 2
                                        ;       Child Loop BB65_21 Depth 3
                                        ;     Child Loop BB65_202 Depth 2
	s_mov_b32 s14, 0
	s_and_b64 vcc, exec, s[2:3]
	v_mov_b32_e32 v49, v1
	v_mov_b32_e32 v48, v1
	;; [unrolled: 1-line block ×28, first 2 shown]
	s_cbranch_vccnz .LBB65_27
; %bb.13:                               ;   in Loop: Header=BB65_12 Depth=1
	v_mov_b32_e32 v109, 0
	v_cmp_gt_u32_e64 s[6:7], s25, v46
	v_mul_lo_u32 v47, v46, s24
	v_mov_b32_e32 v115, 0
	v_mov_b32_e32 v114, 0
	;; [unrolled: 1-line block ×15, first 2 shown]
	s_mov_b32 s15, 0
	v_mov_b32_e32 v58, 0
	v_mov_b32_e32 v59, v109
	;; [unrolled: 1-line block ×12, first 2 shown]
	s_branch .LBB65_16
.LBB65_14:                              ;   in Loop: Header=BB65_16 Depth=2
	s_or_b64 exec, exec, s[10:11]
.LBB65_15:                              ;   in Loop: Header=BB65_16 Depth=2
	s_or_b64 exec, exec, s[8:9]
	s_addk_i32 s15, 0x200
	s_cmp_ge_u32 s15, s24
	s_cbranch_scc1 .LBB65_27
.LBB65_16:                              ;   Parent Loop BB65_12 Depth=1
                                        ; =>  This Loop Header: Depth=2
                                        ;       Child Loop BB65_21 Depth 3
	s_cmp_eq_u32 s15, 0
	s_cselect_b64 s[8:9], -1, 0
	s_add_i32 s10, s14, s50
	s_cmp_eq_u32 s15, s10
	s_cselect_b64 s[12:13], -1, 0
	s_or_b64 s[12:13], s[8:9], s[12:13]
	s_andn2_b64 vcc, exec, s[12:13]
	s_cbranch_vccz .LBB65_18
; %bb.17:                               ;   in Loop: Header=BB65_16 Depth=2
	s_and_saveexec_b64 s[8:9], s[6:7]
	s_cbranch_execz .LBB65_15
	s_branch .LBB65_25
.LBB65_18:                              ;   in Loop: Header=BB65_16 Depth=2
	s_and_b64 s[8:9], s[8:9], exec
	s_cselect_b32 s14, s14, s10
	s_and_b64 vcc, exec, s[4:5]
	s_barrier
	s_cbranch_vccnz .LBB65_24
; %bb.19:                               ;   in Loop: Header=BB65_16 Depth=2
	scratch_load_dword v0, off, off offset:4 ; 4-byte Folded Reload
	scratch_load_dword v14, off, off        ; 4-byte Folded Reload
	v_add_u32_e32 v13, s14, v112
	s_mov_b32 s16, 0
	s_mov_b64 s[10:11], 0
                                        ; implicit-def: $sgpr12_sgpr13
	s_waitcnt vmcnt(1)
	v_add_u32_e32 v10, s14, v0
	scratch_load_dword v0, off, off offset:8 ; 4-byte Folded Reload
	s_waitcnt vmcnt(0)
	v_add_u32_e32 v11, s14, v0
	scratch_load_dword v0, off, off offset:12 ; 4-byte Folded Reload
	s_waitcnt vmcnt(0)
	v_add_u32_e32 v12, s14, v0
	s_branch .LBB65_21
.LBB65_20:                              ;   in Loop: Header=BB65_21 Depth=3
	s_or_b64 exec, exec, s[8:9]
	s_and_b64 s[8:9], exec, s[12:13]
	s_or_b64 s[10:11], s[8:9], s[10:11]
	s_andn2_b64 exec, exec, s[10:11]
	s_cbranch_execz .LBB65_23
.LBB65_21:                              ;   Parent Loop BB65_12 Depth=1
                                        ;     Parent Loop BB65_16 Depth=2
                                        ; =>    This Inner Loop Header: Depth=3
	v_add_u32_e32 v15, s16, v112
	v_add_u32_e32 v0, s16, v13
	v_cmp_gt_u32_e32 vcc, s24, v0
	v_cmp_gt_u32_e64 s[8:9], s50, v15
	s_and_b64 s[18:19], vcc, s[8:9]
	s_or_b64 s[12:13], s[12:13], exec
	s_and_saveexec_b64 s[8:9], s[18:19]
	s_cbranch_execz .LBB65_20
; %bb.22:                               ;   in Loop: Header=BB65_21 Depth=3
	v_lshl_add_u64 v[24:25], v[0:1], 1, s[22:23]
	v_add_u32_e32 v0, s16, v12
	v_lshl_add_u64 v[26:27], v[0:1], 1, s[22:23]
	v_add_u32_e32 v0, s16, v10
	global_load_dwordx4 v[16:19], v[24:25], off
	global_load_dwordx4 v[20:23], v[26:27], off
	v_lshl_add_u64 v[24:25], v[0:1], 1, s[22:23]
	v_add_u32_e32 v0, s16, v11
	global_load_dwordx4 v[24:27], v[24:25], off
	v_lshl_add_u64 v[28:29], v[0:1], 1, s[22:23]
	global_load_dwordx4 v[28:31], v[28:29], off
	s_add_i32 s16, s16, s51
	s_cmp_ge_u32 s16, s50
	s_cselect_b64 s[18:19], -1, 0
	s_andn2_b64 s[12:13], s[12:13], exec
	s_and_b64 s[18:19], s[18:19], exec
	v_add_u32_e32 v0, v14, v111
	v_add_u32_e32 v15, v14, v110
	;; [unrolled: 1-line block ×3, first 2 shown]
	s_or_b64 s[12:13], s[12:13], s[18:19]
	s_waitcnt vmcnt(3)
	ds_write_b128 v14, v[16:19]
	v_add_u32_e32 v14, s54, v14
	s_waitcnt vmcnt(2)
	ds_write2_b64 v0, v[20:21], v[22:23] offset1:1
	s_waitcnt vmcnt(1)
	ds_write2_b32 v15, v24, v25 offset1:1
	ds_write2_b32 v15, v26, v27 offset0:2 offset1:3
	s_waitcnt vmcnt(0)
	ds_write2_b64 v32, v[28:29], v[30:31] offset1:1
	s_branch .LBB65_20
.LBB65_23:                              ;   in Loop: Header=BB65_16 Depth=2
	s_or_b64 exec, exec, s[10:11]
.LBB65_24:                              ;   in Loop: Header=BB65_16 Depth=2
	s_waitcnt lgkmcnt(0)
	s_barrier
	s_and_saveexec_b64 s[8:9], s[6:7]
	s_cbranch_execz .LBB65_15
.LBB65_25:                              ;   in Loop: Header=BB65_16 Depth=2
	v_add_u32_e32 v10, s15, v9
	v_cmp_gt_u32_e32 vcc, s24, v10
	s_and_saveexec_b64 s[10:11], vcc
	s_cbranch_execz .LBB65_14
; %bb.26:                               ;   in Loop: Header=BB65_16 Depth=2
	v_add_u32_e32 v0, v10, v47
	v_lshl_add_u64 v[12:13], v[0:1], 1, s[20:21]
	global_load_dwordx4 v[42:45], v[12:13], off nt
	v_lshl_add_u64 v[14:15], s[28:29], 1, v[12:13]
	v_lshl_add_u64 v[12:13], s[30:31], 1, v[12:13]
	global_load_dwordx4 v[38:41], v[14:15], off nt
	global_load_dwordx4 v[34:37], v[12:13], off nt
	v_lshl_add_u64 v[12:13], v[14:15], 0, s[34:35]
	global_load_dwordx4 v[30:33], v[12:13], off nt
	v_lshl_add_u64 v[12:13], v[12:13], 0, s[36:37]
	;; [unrolled: 2-line block ×3, first 2 shown]
	global_load_dwordx4 v[18:21], v[12:13], off nt
	v_subrev_u32_e32 v0, s14, v10
	v_lshl_add_u64 v[10:11], v[12:13], 0, s[34:35]
	global_load_dwordx4 v[10:13], v[10:11], off nt
	v_lshlrev_b32_e32 v0, 1, v0
	ds_read_b128 v[14:17], v0
	v_add_u32_e32 v0, s55, v0
	ds_read_b128 v[22:25], v0
	v_add_u32_e32 v0, s55, v0
	s_waitcnt lgkmcnt(1)
	v_and_b32_e32 v94, 0xffff0000, v14
	v_lshlrev_b32_e32 v92, 16, v14
	s_waitcnt lgkmcnt(0)
	v_and_b32_e32 v95, 0xffff0000, v22
	v_and_b32_e32 v98, 0xffff0000, v15
	v_lshlrev_b32_e32 v93, 16, v22
	v_and_b32_e32 v99, 0xffff0000, v23
	v_lshlrev_b32_e32 v96, 16, v15
	;; [unrolled: 2-line block ×4, first 2 shown]
	v_lshlrev_b32_e32 v101, 16, v24
	v_and_b32_e32 v107, 0xffff0000, v25
	v_and_b32_e32 v106, 0xffff0000, v17
	v_lshlrev_b32_e32 v105, 16, v25
	v_lshlrev_b32_e32 v104, 16, v17
	s_waitcnt vmcnt(6)
	v_and_b32_e32 v70, 0xffff0000, v42
	v_lshlrev_b32_e32 v72, 16, v42
	v_and_b32_e32 v62, 0xffff0000, v43
	s_waitcnt vmcnt(5)
	v_and_b32_e32 v71, 0xffff0000, v38
	v_lshlrev_b32_e32 v73, 16, v38
	v_and_b32_e32 v63, 0xffff0000, v39
	v_pk_mul_f32 v[84:85], v[94:95], v[70:71] op_sel_hi:[0,1]
	v_lshlrev_b32_e32 v64, 16, v43
	v_and_b32_e32 v42, 0xffff0000, v44
	v_lshlrev_b32_e32 v65, 16, v39
	v_and_b32_e32 v43, 0xffff0000, v40
	v_pk_mul_f32 v[86:87], v[98:99], v[62:63] op_sel_hi:[0,1]
	v_pk_fma_f32 v[84:85], v[92:93], v[72:73], v[84:85] op_sel_hi:[0,1,1]
	v_lshlrev_b32_e32 v60, 16, v44
	v_and_b32_e32 v14, 0xffff0000, v45
	v_lshlrev_b32_e32 v61, 16, v40
	v_and_b32_e32 v15, 0xffff0000, v41
	s_waitcnt vmcnt(4)
	v_lshlrev_b32_e32 v69, 16, v35
	v_and_b32_e32 v67, 0xffff0000, v35
	v_lshlrev_b32_e32 v39, 16, v37
	v_and_b32_e32 v35, 0xffff0000, v37
	v_pk_mul_f32 v[88:89], v[102:103], v[42:43] op_sel_hi:[0,1]
	v_pk_fma_f32 v[86:87], v[96:97], v[64:65], v[86:87] op_sel_hi:[0,1,1]
	s_waitcnt vmcnt(1)
	v_lshlrev_b32_e32 v83, 16, v18
	v_and_b32_e32 v81, 0xffff0000, v18
	v_lshlrev_b32_e32 v79, 16, v19
	v_and_b32_e32 v37, 0xffff0000, v19
	v_pk_add_f32 v[18:19], v[58:59], v[84:85]
	v_lshlrev_b32_e32 v22, 16, v45
	v_lshlrev_b32_e32 v23, 16, v41
	v_lshlrev_b32_e32 v77, 16, v34
	v_and_b32_e32 v75, 0xffff0000, v34
	v_lshlrev_b32_e32 v45, 16, v36
	v_and_b32_e32 v41, 0xffff0000, v36
	v_lshlrev_b32_e32 v76, 16, v30
	;; [unrolled: 2-line block ×11, first 2 shown]
	v_and_b32_e32 v27, 0xffff0000, v21
	v_pk_add_f32 v[18:19], v[18:19], v[86:87]
	v_pk_fma_f32 v[20:21], v[100:101], v[60:61], v[88:89] op_sel_hi:[0,1,1]
	v_pk_mul_f32 v[16:17], v[106:107], v[14:15] op_sel_hi:[0,1]
	v_pk_add_f32 v[18:19], v[18:19], v[20:21]
	v_pk_fma_f32 v[16:17], v[104:105], v[22:23], v[16:17] op_sel_hi:[0,1,1]
	v_pk_add_f32 v[58:59], v[18:19], v[16:17]
	v_pk_mul_f32 v[16:17], v[94:95], v[74:75] op_sel_hi:[0,1]
	v_pk_fma_f32 v[16:17], v[92:93], v[76:77], v[16:17] op_sel_hi:[0,1,1]
	v_pk_mul_f32 v[18:19], v[98:99], v[66:67] op_sel_hi:[0,1]
	v_pk_add_f32 v[16:17], v[56:57], v[16:17]
	v_pk_fma_f32 v[18:19], v[96:97], v[68:69], v[18:19] op_sel_hi:[0,1,1]
	v_pk_add_f32 v[16:17], v[16:17], v[18:19]
	v_pk_mul_f32 v[18:19], v[102:103], v[40:41] op_sel_hi:[0,1]
	v_pk_fma_f32 v[18:19], v[100:101], v[44:45], v[18:19] op_sel_hi:[0,1,1]
	v_pk_add_f32 v[16:17], v[16:17], v[18:19]
	v_pk_mul_f32 v[18:19], v[106:107], v[34:35] op_sel_hi:[0,1]
	;; [unrolled: 3-line block ×3, first 2 shown]
	v_pk_fma_f32 v[16:17], v[92:93], v[82:83], v[16:17] op_sel_hi:[0,1,1]
	v_pk_mul_f32 v[18:19], v[98:99], v[36:37] op_sel_hi:[0,1]
	v_pk_add_f32 v[16:17], v[54:55], v[16:17]
	v_pk_fma_f32 v[18:19], v[96:97], v[78:79], v[18:19] op_sel_hi:[0,1,1]
	v_pk_add_f32 v[16:17], v[16:17], v[18:19]
	v_pk_mul_f32 v[18:19], v[102:103], v[30:31] op_sel_hi:[0,1]
	v_pk_fma_f32 v[18:19], v[100:101], v[32:33], v[18:19] op_sel_hi:[0,1,1]
	v_pk_add_f32 v[16:17], v[16:17], v[18:19]
	v_pk_mul_f32 v[18:19], v[106:107], v[26:27] op_sel_hi:[0,1]
	v_pk_fma_f32 v[18:19], v[104:105], v[28:29], v[18:19] op_sel_hi:[0,1,1]
	s_waitcnt vmcnt(0)
	v_and_b32_e32 v90, 0xffff0000, v10
	v_pk_add_f32 v[54:55], v[16:17], v[18:19]
	v_lshlrev_b32_e32 v88, 16, v10
	v_mov_b32_e32 v18, v90
	v_mov_b32_e32 v19, v70
	v_and_b32_e32 v86, 0xffff0000, v11
	v_mov_b32_e32 v16, v88
	v_mov_b32_e32 v17, v72
	v_pk_mul_f32 v[18:19], v[18:19], v[94:95]
	v_lshlrev_b32_e32 v84, 16, v11
	v_mov_b32_e32 v10, v86
	v_mov_b32_e32 v11, v62
	v_pk_fma_f32 v[16:17], v[16:17], v[92:93], v[18:19]
	v_mov_b32_e32 v18, v84
	v_mov_b32_e32 v19, v64
	v_pk_mul_f32 v[10:11], v[10:11], v[98:99]
	v_and_b32_e32 v24, 0xffff0000, v12
	v_pk_add_f32 v[16:17], v[52:53], v[16:17]
	v_pk_fma_f32 v[10:11], v[18:19], v[96:97], v[10:11]
	v_lshlrev_b32_e32 v20, 16, v12
	v_mov_b32_e32 v18, v24
	v_mov_b32_e32 v19, v42
	v_pk_add_f32 v[10:11], v[16:17], v[10:11]
	v_mov_b32_e32 v16, v20
	v_mov_b32_e32 v17, v60
	v_pk_mul_f32 v[18:19], v[18:19], v[102:103]
	v_mul_f32_e32 v12, v93, v73
	v_pk_fma_f32 v[16:17], v[16:17], v[100:101], v[18:19]
	v_fmac_f32_e32 v12, v95, v71
	v_pk_add_f32 v[10:11], v[10:11], v[16:17]
	ds_read_b128 v[16:19], v0
	v_mul_f32_e32 v92, v97, v65
	v_add_f32_e32 v12, v109, v12
	v_fmac_f32_e32 v92, v99, v63
	v_add_f32_e32 v12, v12, v92
	s_waitcnt lgkmcnt(0)
	v_lshlrev_b32_e32 v89, 16, v16
	v_and_b32_e32 v91, 0xffff0000, v16
	v_mul_f32_e32 v16, v93, v76
	v_fmac_f32_e32 v16, v95, v74
	v_mul_f32_e32 v92, v97, v68
	v_lshlrev_b32_e32 v21, 16, v18
	v_and_b32_e32 v25, 0xffff0000, v18
	v_add_f32_e32 v16, v115, v16
	v_mul_f32_e32 v18, v93, v77
	v_fmac_f32_e32 v92, v99, v66
	v_fmac_f32_e32 v18, v95, v75
	v_add_f32_e32 v16, v16, v92
	v_mul_f32_e32 v92, v97, v69
	v_add_f32_e32 v18, v114, v18
	v_mul_f32_e32 v52, v93, v82
	v_fmac_f32_e32 v92, v99, v67
	v_fmac_f32_e32 v52, v95, v80
	v_add_f32_e32 v18, v18, v92
	v_mul_f32_e32 v92, v97, v78
	;; [unrolled: 6-line block ×3, first 2 shown]
	v_add_f32_e32 v53, v127, v53
	v_fmac_f32_e32 v92, v99, v37
	v_add_f32_e32 v53, v53, v92
	v_mul_f32_e32 v92, v101, v61
	v_fmac_f32_e32 v92, v103, v43
	v_add_f32_e32 v12, v12, v92
	v_mul_f32_e32 v92, v101, v44
	;; [unrolled: 3-line block ×10, first 2 shown]
	v_fmac_f32_e32 v12, v107, v27
	v_and_b32_e32 v18, 0xffff0000, v13
	v_add_f32_e32 v127, v53, v12
	v_lshlrev_b32_e32 v16, 16, v13
	v_mov_b32_e32 v52, v18
	v_mov_b32_e32 v53, v14
	;; [unrolled: 1-line block ×4, first 2 shown]
	v_pk_mul_f32 v[52:53], v[52:53], v[106:107]
	v_and_b32_e32 v87, 0xffff0000, v17
	v_pk_fma_f32 v[12:13], v[12:13], v[104:105], v[52:53]
	v_lshlrev_b32_e32 v85, 16, v17
	v_pk_add_f32 v[52:53], v[10:11], v[12:13]
	v_mov_b32_e32 v12, v95
	v_mov_b32_e32 v13, v70
	;; [unrolled: 1-line block ×4, first 2 shown]
	v_pk_mul_f32 v[12:13], v[12:13], v[90:91]
	v_lshlrev_b32_e32 v17, 16, v19
	v_pk_fma_f32 v[10:11], v[10:11], v[88:89], v[12:13]
	v_mov_b32_e32 v12, v97
	v_pk_add_f32 v[10:11], v[50:51], v[10:11]
	v_mov_b32_e32 v50, v99
	v_mov_b32_e32 v51, v62
	v_mov_b32_e32 v13, v64
	v_pk_mul_f32 v[50:51], v[50:51], v[86:87]
	v_and_b32_e32 v19, 0xffff0000, v19
	v_pk_fma_f32 v[12:13], v[12:13], v[84:85], v[50:51]
	v_mov_b32_e32 v50, v103
	v_mov_b32_e32 v51, v42
	v_pk_add_f32 v[10:11], v[10:11], v[12:13]
	v_mov_b32_e32 v12, v101
	v_mov_b32_e32 v13, v60
	v_pk_mul_f32 v[50:51], v[50:51], v[24:25]
	v_mul_f32_e32 v92, v89, v77
	v_pk_fma_f32 v[12:13], v[12:13], v[20:21], v[50:51]
	v_mov_b32_e32 v50, v107
	v_mov_b32_e32 v51, v14
	v_pk_add_f32 v[10:11], v[10:11], v[12:13]
	v_mov_b32_e32 v12, v105
	v_mov_b32_e32 v13, v22
	v_pk_mul_f32 v[50:51], v[50:51], v[18:19]
	v_mul_f32_e32 v93, v89, v82
	v_pk_fma_f32 v[12:13], v[12:13], v[16:17], v[50:51]
	v_mul_f32_e32 v50, v89, v73
	v_mul_f32_e32 v51, v89, v76
	;; [unrolled: 1-line block ×4, first 2 shown]
	v_fmac_f32_e32 v50, v91, v71
	v_fmac_f32_e32 v51, v91, v74
	;; [unrolled: 1-line block ×6, first 2 shown]
	v_mul_f32_e32 v91, v85, v65
	v_add_f32_e32 v50, v126, v50
	v_fmac_f32_e32 v91, v87, v63
	v_add_f32_e32 v50, v50, v91
	v_mul_f32_e32 v91, v85, v68
	v_add_f32_e32 v51, v124, v51
	v_fmac_f32_e32 v91, v87, v66
	v_add_f32_e32 v51, v51, v91
	;; [unrolled: 4-line block ×4, first 2 shown]
	v_mul_f32_e32 v93, v85, v79
	v_mul_f32_e32 v85, v85, v84
	v_fmac_f32_e32 v93, v87, v37
	v_fmac_f32_e32 v85, v87, v86
	v_mul_f32_e32 v87, v21, v61
	v_fmac_f32_e32 v87, v25, v43
	v_add_f32_e32 v87, v50, v87
	v_mul_f32_e32 v50, v21, v44
	v_add_f32_e32 v89, v123, v89
	v_fmac_f32_e32 v50, v25, v40
	v_add_f32_e32 v85, v89, v85
	v_add_f32_e32 v89, v51, v50
	v_mul_f32_e32 v50, v21, v45
	v_fmac_f32_e32 v50, v25, v41
	v_add_f32_e32 v91, v91, v50
	v_mul_f32_e32 v50, v21, v32
	v_fmac_f32_e32 v50, v25, v30
	v_add_f32_e32 v94, v125, v94
	v_add_f32_e32 v92, v92, v50
	v_mul_f32_e32 v50, v21, v33
	v_add_f32_e32 v93, v94, v93
	v_fmac_f32_e32 v50, v25, v31
	v_add_f32_e32 v93, v93, v50
	v_pk_add_f32 v[50:51], v[10:11], v[12:13]
	v_mul_f32_e32 v10, v17, v23
	v_fmac_f32_e32 v10, v19, v15
	v_add_f32_e32 v126, v87, v10
	v_mul_f32_e32 v10, v17, v38
	v_fmac_f32_e32 v10, v19, v34
	v_add_f32_e32 v124, v89, v10
	;; [unrolled: 3-line block ×3, first 2 shown]
	v_mul_f32_e32 v10, v17, v28
	v_add_u32_e32 v0, s55, v0
	v_fmac_f32_e32 v10, v19, v26
	v_add_f32_e32 v121, v92, v10
	ds_read_b128 v[10:13], v0
	v_mul_f32_e32 v21, v21, v20
	v_fmac_f32_e32 v21, v25, v24
	v_mul_f32_e32 v25, v17, v29
	v_fmac_f32_e32 v25, v19, v27
	s_waitcnt lgkmcnt(0)
	v_lshlrev_b32_e32 v92, 16, v10
	v_add_f32_e32 v125, v93, v25
	v_and_b32_e32 v93, 0xffff0000, v10
	v_mul_f32_e32 v10, v77, v92
	v_fmac_f32_e32 v10, v93, v75
	v_mul_f32_e32 v0, v17, v16
	v_add_f32_e32 v17, v119, v10
	v_mul_f32_e32 v10, v92, v82
	v_add_f32_e32 v21, v85, v21
	v_fmac_f32_e32 v0, v19, v18
	v_fmac_f32_e32 v10, v93, v80
	v_add_f32_e32 v123, v21, v0
	v_mul_f32_e32 v0, v92, v72
	v_mov_b32_e32 v72, v73
	v_mov_b32_e32 v73, v74
	v_add_f32_e32 v19, v118, v10
	v_mul_f32_e32 v10, v83, v92
	v_fmac_f32_e32 v0, v93, v70
	v_mov_b32_e32 v70, v76
	v_pk_mul_f32 v[72:73], v[92:93], v[72:73]
	v_fmac_f32_e32 v10, v93, v81
	v_pk_fma_f32 v[70:71], v[92:93], v[70:71], v[72:73] op_sel:[0,0,1] op_sel_hi:[1,1,0]
	v_add_f32_e32 v21, v117, v10
	v_mul_f32_e32 v10, v92, v88
	v_pk_add_f32 v[48:49], v[48:49], v[70:71]
	v_fmac_f32_e32 v10, v93, v90
	v_lshlrev_b32_e32 v70, 16, v11
	v_add_f32_e32 v25, v116, v10
	v_and_b32_e32 v71, 0xffff0000, v11
	v_mul_f32_e32 v10, v70, v64
	v_add_f32_e32 v0, v120, v0
	v_fmac_f32_e32 v10, v71, v62
	v_add_f32_e32 v0, v0, v10
	v_mov_b32_e32 v10, v65
	v_mov_b32_e32 v11, v66
	;; [unrolled: 1-line block ×3, first 2 shown]
	v_pk_mul_f32 v[10:11], v[70:71], v[10:11]
	s_nop 0
	v_pk_fma_f32 v[10:11], v[70:71], v[62:63], v[10:11] op_sel:[0,0,1] op_sel_hi:[1,1,0]
	s_nop 0
	v_pk_add_f32 v[10:11], v[48:49], v[10:11]
	v_mul_f32_e32 v48, v69, v70
	v_fmac_f32_e32 v48, v71, v67
	v_add_f32_e32 v17, v17, v48
	v_mul_f32_e32 v48, v70, v78
	v_fmac_f32_e32 v48, v71, v36
	v_mul_f32_e32 v36, v79, v70
	v_fmac_f32_e32 v36, v71, v37
	v_add_f32_e32 v21, v21, v36
	v_mul_f32_e32 v36, v70, v84
	v_fmac_f32_e32 v36, v71, v86
	v_add_f32_e32 v25, v25, v36
	v_lshlrev_b32_e32 v36, 16, v12
	v_and_b32_e32 v37, 0xffff0000, v12
	v_mul_f32_e32 v12, v36, v60
	v_fmac_f32_e32 v12, v37, v42
	v_add_f32_e32 v0, v0, v12
	v_mul_f32_e32 v12, v45, v36
	v_fmac_f32_e32 v12, v37, v41
	v_add_f32_e32 v17, v17, v12
	v_mul_f32_e32 v12, v36, v32
	v_add_f32_e32 v19, v19, v48
	v_fmac_f32_e32 v12, v37, v30
	v_add_f32_e32 v19, v19, v12
	v_mul_f32_e32 v12, v33, v36
	v_fmac_f32_e32 v12, v37, v31
	v_add_f32_e32 v30, v21, v12
	v_mul_f32_e32 v12, v36, v20
	v_fmac_f32_e32 v12, v37, v24
	v_lshlrev_b32_e32 v20, 16, v13
	v_add_f32_e32 v24, v25, v12
	v_and_b32_e32 v21, 0xffff0000, v13
	v_mul_f32_e32 v12, v20, v22
	v_fmac_f32_e32 v12, v21, v14
	v_add_f32_e32 v120, v0, v12
	v_mul_f32_e32 v0, v39, v20
	v_fmac_f32_e32 v0, v21, v35
	v_add_f32_e32 v119, v17, v0
	v_mul_f32_e32 v0, v20, v28
	v_fmac_f32_e32 v0, v21, v26
	v_mov_b32_e32 v48, v61
	v_mov_b32_e32 v49, v40
	v_add_f32_e32 v118, v19, v0
	v_mul_f32_e32 v0, v29, v20
	v_mov_b32_e32 v42, v44
	v_pk_mul_f32 v[48:49], v[36:37], v[48:49]
	v_mov_b32_e32 v12, v23
	v_mov_b32_e32 v13, v34
	v_fmac_f32_e32 v0, v21, v27
	v_pk_fma_f32 v[42:43], v[36:37], v[42:43], v[48:49] op_sel:[0,0,1] op_sel_hi:[1,1,0]
	v_mov_b32_e32 v14, v38
	v_pk_mul_f32 v[12:13], v[20:21], v[12:13]
	v_add_f32_e32 v117, v30, v0
	v_mul_f32_e32 v0, v20, v16
	v_pk_add_f32 v[10:11], v[10:11], v[42:43]
	v_pk_fma_f32 v[12:13], v[20:21], v[14:15], v[12:13] op_sel:[0,0,1] op_sel_hi:[1,1,0]
	v_fmac_f32_e32 v0, v21, v18
	v_pk_add_f32 v[48:49], v[10:11], v[12:13]
	v_add_f32_e32 v116, v24, v0
	s_branch .LBB65_14
.LBB65_27:                              ;   in Loop: Header=BB65_12 Depth=1
	v_cmp_le_u32_e32 vcc, s25, v46
	s_and_saveexec_b64 s[6:7], vcc
	s_xor_b64 s[6:7], exec, s[6:7]
; %bb.28:                               ;   in Loop: Header=BB65_12 Depth=1
	v_add_u32_e32 v46, s52, v46
                                        ; implicit-def: $vgpr49
                                        ; implicit-def: $vgpr51
                                        ; implicit-def: $vgpr53
                                        ; implicit-def: $vgpr55
                                        ; implicit-def: $vgpr57
                                        ; implicit-def: $vgpr59
                                        ; implicit-def: $vgpr116
                                        ; implicit-def: $vgpr117
                                        ; implicit-def: $vgpr118
                                        ; implicit-def: $vgpr119
                                        ; implicit-def: $vgpr120
                                        ; implicit-def: $vgpr123
                                        ; implicit-def: $vgpr125
                                        ; implicit-def: $vgpr121
                                        ; implicit-def: $vgpr122
                                        ; implicit-def: $vgpr124
                                        ; implicit-def: $vgpr126
                                        ; implicit-def: $vgpr127
                                        ; implicit-def: $vgpr113
                                        ; implicit-def: $vgpr114
                                        ; implicit-def: $vgpr115
                                        ; implicit-def: $vgpr109
; %bb.29:                               ;   in Loop: Header=BB65_12 Depth=1
	s_andn2_saveexec_b64 s[42:43], s[6:7]
	s_cbranch_execz .LBB65_11
; %bb.30:                               ;   in Loop: Header=BB65_12 Depth=1
	;;#ASMSTART
	s_nop 0
	v_add_f32 v58, v58, v58 row_shr:8 bound_ctrl:0 
	;;#ASMEND
	;;#ASMSTART
	s_nop 0
	v_add_f32 v59, v59, v59 row_shr:8 bound_ctrl:0 
	;;#ASMEND
	;; [unrolled: 4-line block ×28, first 2 shown]
	s_nop 0
	;;#ASMSTART
	s_nop 0
	v_add_f32 v58, v58, v58 row_shr:4 bound_ctrl:0 
	;;#ASMEND
	;;#ASMSTART
	s_nop 0
	v_add_f32 v59, v59, v59 row_shr:4 bound_ctrl:0 
	;;#ASMEND
	;; [unrolled: 4-line block ×28, first 2 shown]
	s_nop 0
	;;#ASMSTART
	s_nop 0
	v_add_f32 v58, v58, v58 row_shr:2 bound_ctrl:0 
	;;#ASMEND
	;;#ASMSTART
	s_nop 0
	v_add_f32 v59, v59, v59 row_shr:2 bound_ctrl:0 
	;;#ASMEND
	;; [unrolled: 4-line block ×28, first 2 shown]
	s_nop 0
	;;#ASMSTART
	s_nop 0
	v_add_f32 v58, v58, v58 wave_shr:1 bound_ctrl:0
	;;#ASMEND
	;;#ASMSTART
	s_nop 0
	v_add_f32 v59, v59, v59 wave_shr:1 bound_ctrl:0
	;;#ASMEND
	;; [unrolled: 4-line block ×28, first 2 shown]
	s_nop 0
	;;#ASMSTART
	s_nop 0
	v_add_f32 v58, v58, v58 row_bcast:15 bound_ctrl:0
	;;#ASMEND
	;;#ASMSTART
	s_nop 0
	v_add_f32 v59, v59, v59 row_bcast:15 bound_ctrl:0
	;;#ASMEND
	;; [unrolled: 4-line block ×28, first 2 shown]
	s_nop 0
	;;#ASMSTART
	s_nop 0
	v_add_f32 v58, v58, v58 row_bcast:31 bound_ctrl:0
	;;#ASMEND
	;;#ASMSTART
	s_nop 0
	v_add_f32 v59, v59, v59 row_bcast:31 bound_ctrl:0
	;;#ASMEND
	;; [unrolled: 4-line block ×28, first 2 shown]
	s_and_saveexec_b64 s[44:45], s[0:1]
	s_cbranch_execz .LBB65_199
; %bb.31:                               ;   in Loop: Header=BB65_12 Depth=1
	v_cmp_ne_u32_e32 vcc, 0, v2
	s_and_saveexec_b64 s[8:9], vcc
	s_cbranch_execnz .LBB65_59
; %bb.32:                               ;   in Loop: Header=BB65_12 Depth=1
	s_or_b64 exec, exec, s[8:9]
	v_cmp_ne_u32_e64 s[6:7], 0, v3
	s_and_saveexec_b64 s[10:11], s[6:7]
	s_cbranch_execnz .LBB65_64
.LBB65_33:                              ;   in Loop: Header=BB65_12 Depth=1
	s_or_b64 exec, exec, s[10:11]
	v_cmp_ne_u32_e64 s[8:9], 0, v4
	s_and_saveexec_b64 s[12:13], s[8:9]
	s_cbranch_execnz .LBB65_69
.LBB65_34:                              ;   in Loop: Header=BB65_12 Depth=1
	s_or_b64 exec, exec, s[12:13]
	v_cmp_ne_u32_e64 s[10:11], 0, v5
	s_and_saveexec_b64 s[14:15], s[10:11]
	s_cbranch_execnz .LBB65_74
.LBB65_35:                              ;   in Loop: Header=BB65_12 Depth=1
	s_or_b64 exec, exec, s[14:15]
	v_cmp_ne_u32_e64 s[12:13], 0, v6
	s_and_saveexec_b64 s[16:17], s[12:13]
	s_cbranch_execnz .LBB65_79
.LBB65_36:                              ;   in Loop: Header=BB65_12 Depth=1
	s_or_b64 exec, exec, s[16:17]
	v_cmp_ne_u32_e64 s[14:15], 0, v7
	s_and_saveexec_b64 s[18:19], s[14:15]
	s_cbranch_execnz .LBB65_84
.LBB65_37:                              ;   in Loop: Header=BB65_12 Depth=1
	s_or_b64 exec, exec, s[18:19]
	v_cmp_ne_u32_e64 s[16:17], 0, v8
	s_and_saveexec_b64 s[46:47], s[16:17]
	s_cbranch_execnz .LBB65_89
.LBB65_38:                              ;   in Loop: Header=BB65_12 Depth=1
	s_or_b64 exec, exec, s[46:47]
	v_add_u32_e32 v0, s25, v46
	s_and_saveexec_b64 s[46:47], vcc
	s_cbranch_execnz .LBB65_94
.LBB65_39:                              ;   in Loop: Header=BB65_12 Depth=1
	s_or_b64 exec, exec, s[46:47]
	s_and_saveexec_b64 s[46:47], s[6:7]
	s_cbranch_execnz .LBB65_99
.LBB65_40:                              ;   in Loop: Header=BB65_12 Depth=1
	s_or_b64 exec, exec, s[46:47]
	s_and_saveexec_b64 s[46:47], s[8:9]
	s_cbranch_execnz .LBB65_104
.LBB65_41:                              ;   in Loop: Header=BB65_12 Depth=1
	s_or_b64 exec, exec, s[46:47]
	s_and_saveexec_b64 s[46:47], s[10:11]
	s_cbranch_execnz .LBB65_109
.LBB65_42:                              ;   in Loop: Header=BB65_12 Depth=1
	s_or_b64 exec, exec, s[46:47]
	s_and_saveexec_b64 s[46:47], s[12:13]
	s_cbranch_execnz .LBB65_114
.LBB65_43:                              ;   in Loop: Header=BB65_12 Depth=1
	s_or_b64 exec, exec, s[46:47]
	s_and_saveexec_b64 s[46:47], s[14:15]
	s_cbranch_execnz .LBB65_119
.LBB65_44:                              ;   in Loop: Header=BB65_12 Depth=1
	s_or_b64 exec, exec, s[46:47]
	s_and_saveexec_b64 s[46:47], s[16:17]
	s_cbranch_execnz .LBB65_124
.LBB65_45:                              ;   in Loop: Header=BB65_12 Depth=1
	s_or_b64 exec, exec, s[46:47]
	v_add_u32_e32 v0, s25, v0
	s_and_saveexec_b64 s[46:47], vcc
	s_cbranch_execnz .LBB65_129
.LBB65_46:                              ;   in Loop: Header=BB65_12 Depth=1
	s_or_b64 exec, exec, s[46:47]
	s_and_saveexec_b64 s[46:47], s[6:7]
	s_cbranch_execnz .LBB65_134
.LBB65_47:                              ;   in Loop: Header=BB65_12 Depth=1
	s_or_b64 exec, exec, s[46:47]
	s_and_saveexec_b64 s[46:47], s[8:9]
	s_cbranch_execnz .LBB65_139
.LBB65_48:                              ;   in Loop: Header=BB65_12 Depth=1
	s_or_b64 exec, exec, s[46:47]
	s_and_saveexec_b64 s[46:47], s[10:11]
	s_cbranch_execnz .LBB65_144
.LBB65_49:                              ;   in Loop: Header=BB65_12 Depth=1
	s_or_b64 exec, exec, s[46:47]
	s_and_saveexec_b64 s[46:47], s[12:13]
	s_cbranch_execnz .LBB65_149
.LBB65_50:                              ;   in Loop: Header=BB65_12 Depth=1
	s_or_b64 exec, exec, s[46:47]
	s_and_saveexec_b64 s[46:47], s[14:15]
	s_cbranch_execnz .LBB65_154
.LBB65_51:                              ;   in Loop: Header=BB65_12 Depth=1
	s_or_b64 exec, exec, s[46:47]
	s_and_saveexec_b64 s[46:47], s[16:17]
	s_cbranch_execnz .LBB65_159
.LBB65_52:                              ;   in Loop: Header=BB65_12 Depth=1
	s_or_b64 exec, exec, s[46:47]
	v_add_u32_e32 v0, s25, v0
	s_and_saveexec_b64 s[18:19], vcc
	s_cbranch_execnz .LBB65_164
.LBB65_53:                              ;   in Loop: Header=BB65_12 Depth=1
	s_or_b64 exec, exec, s[18:19]
	s_and_saveexec_b64 s[18:19], s[6:7]
	s_cbranch_execnz .LBB65_169
.LBB65_54:                              ;   in Loop: Header=BB65_12 Depth=1
	s_or_b64 exec, exec, s[18:19]
	s_and_saveexec_b64 s[6:7], s[8:9]
	s_cbranch_execnz .LBB65_174
.LBB65_55:                              ;   in Loop: Header=BB65_12 Depth=1
	s_or_b64 exec, exec, s[6:7]
	s_and_saveexec_b64 s[6:7], s[10:11]
	s_cbranch_execnz .LBB65_179
.LBB65_56:                              ;   in Loop: Header=BB65_12 Depth=1
	s_or_b64 exec, exec, s[6:7]
	s_and_saveexec_b64 s[6:7], s[12:13]
	s_cbranch_execnz .LBB65_184
.LBB65_57:                              ;   in Loop: Header=BB65_12 Depth=1
	s_or_b64 exec, exec, s[6:7]
	s_and_saveexec_b64 s[6:7], s[14:15]
	s_cbranch_execnz .LBB65_189
.LBB65_58:                              ;   in Loop: Header=BB65_12 Depth=1
	s_or_b64 exec, exec, s[6:7]
	s_and_b64 exec, exec, s[16:17]
	s_cbranch_execnz .LBB65_194
	s_branch .LBB65_199
.LBB65_59:                              ;   in Loop: Header=BB65_12 Depth=1
	v_and_b32_e32 v0, 0x7f800000, v58
	v_cmp_ne_u32_e64 s[6:7], s56, v0
                                        ; implicit-def: $vgpr0
	s_and_saveexec_b64 s[10:11], s[6:7]
	s_xor_b64 s[6:7], exec, s[10:11]
; %bb.60:                               ;   in Loop: Header=BB65_12 Depth=1
	v_bfe_u32 v0, v58, 16, 1
	v_add3_u32 v0, v58, v0, s57
; %bb.61:                               ;   in Loop: Header=BB65_12 Depth=1
	s_andn2_saveexec_b64 s[10:11], s[6:7]
; %bb.62:                               ;   in Loop: Header=BB65_12 Depth=1
	v_or_b32_e32 v0, 0x10000, v58
	v_cmp_eq_u32_sdwa s[6:7], v58, v1 src0_sel:WORD_0 src1_sel:DWORD
	s_nop 1
	v_cndmask_b32_e64 v0, v0, v58, s[6:7]
; %bb.63:                               ;   in Loop: Header=BB65_12 Depth=1
	s_or_b64 exec, exec, s[10:11]
	v_mov_b32_e32 v47, v1
	v_lshl_add_u64 v[10:11], v[46:47], 1, s[26:27]
	global_store_short_d16_hi v[10:11], v0, off
	s_or_b64 exec, exec, s[8:9]
	v_cmp_ne_u32_e64 s[6:7], 0, v3
	s_and_saveexec_b64 s[10:11], s[6:7]
	s_cbranch_execz .LBB65_33
.LBB65_64:                              ;   in Loop: Header=BB65_12 Depth=1
	v_and_b32_e32 v0, 0x7f800000, v59
	v_cmp_ne_u32_e64 s[8:9], s56, v0
                                        ; implicit-def: $vgpr0
	s_and_saveexec_b64 s[12:13], s[8:9]
	s_xor_b64 s[8:9], exec, s[12:13]
; %bb.65:                               ;   in Loop: Header=BB65_12 Depth=1
	v_bfe_u32 v0, v59, 16, 1
	v_add3_u32 v0, v59, v0, s57
                                        ; implicit-def: $vgpr59
; %bb.66:                               ;   in Loop: Header=BB65_12 Depth=1
	s_andn2_saveexec_b64 s[12:13], s[8:9]
; %bb.67:                               ;   in Loop: Header=BB65_12 Depth=1
	v_or_b32_e32 v0, 0x10000, v59
	v_cmp_eq_u32_sdwa s[8:9], v59, v1 src0_sel:WORD_0 src1_sel:DWORD
	s_nop 1
	v_cndmask_b32_e64 v0, v0, v59, s[8:9]
; %bb.68:                               ;   in Loop: Header=BB65_12 Depth=1
	s_or_b64 exec, exec, s[12:13]
	v_mov_b32_e32 v47, v1
	v_lshl_add_u64 v[10:11], v[46:47], 1, s[38:39]
	global_store_short_d16_hi v[10:11], v0, off
	s_or_b64 exec, exec, s[10:11]
	v_cmp_ne_u32_e64 s[8:9], 0, v4
	s_and_saveexec_b64 s[12:13], s[8:9]
	s_cbranch_execz .LBB65_34
.LBB65_69:                              ;   in Loop: Header=BB65_12 Depth=1
	v_and_b32_e32 v0, 0x7f800000, v56
	v_cmp_ne_u32_e64 s[10:11], s56, v0
                                        ; implicit-def: $vgpr10
	s_and_saveexec_b64 s[14:15], s[10:11]
	s_xor_b64 s[10:11], exec, s[14:15]
; %bb.70:                               ;   in Loop: Header=BB65_12 Depth=1
	v_bfe_u32 v0, v56, 16, 1
	v_add3_u32 v10, v56, v0, s57
; %bb.71:                               ;   in Loop: Header=BB65_12 Depth=1
	s_andn2_saveexec_b64 s[14:15], s[10:11]
; %bb.72:                               ;   in Loop: Header=BB65_12 Depth=1
	v_or_b32_e32 v0, 0x10000, v56
	v_cmp_eq_u32_sdwa s[10:11], v56, v1 src0_sel:WORD_0 src1_sel:DWORD
	s_nop 1
	v_cndmask_b32_e64 v10, v0, v56, s[10:11]
; %bb.73:                               ;   in Loop: Header=BB65_12 Depth=1
	s_or_b64 exec, exec, s[14:15]
	v_add_u32_e32 v0, 2, v46
	v_lshl_add_u64 v[12:13], v[0:1], 1, s[26:27]
	global_store_short_d16_hi v[12:13], v10, off
	s_or_b64 exec, exec, s[12:13]
	v_cmp_ne_u32_e64 s[10:11], 0, v5
	s_and_saveexec_b64 s[14:15], s[10:11]
	s_cbranch_execz .LBB65_35
.LBB65_74:                              ;   in Loop: Header=BB65_12 Depth=1
	v_and_b32_e32 v0, 0x7f800000, v57
	v_cmp_ne_u32_e64 s[12:13], s56, v0
                                        ; implicit-def: $vgpr10
	s_and_saveexec_b64 s[16:17], s[12:13]
	s_xor_b64 s[12:13], exec, s[16:17]
; %bb.75:                               ;   in Loop: Header=BB65_12 Depth=1
	v_bfe_u32 v0, v57, 16, 1
	v_add3_u32 v10, v57, v0, s57
                                        ; implicit-def: $vgpr57
; %bb.76:                               ;   in Loop: Header=BB65_12 Depth=1
	s_andn2_saveexec_b64 s[16:17], s[12:13]
; %bb.77:                               ;   in Loop: Header=BB65_12 Depth=1
	v_or_b32_e32 v0, 0x10000, v57
	v_cmp_eq_u32_sdwa s[12:13], v57, v1 src0_sel:WORD_0 src1_sel:DWORD
	s_nop 1
	v_cndmask_b32_e64 v10, v0, v57, s[12:13]
; %bb.78:                               ;   in Loop: Header=BB65_12 Depth=1
	s_or_b64 exec, exec, s[16:17]
	v_add_u32_e32 v0, 3, v46
	v_lshl_add_u64 v[12:13], v[0:1], 1, s[26:27]
	global_store_short_d16_hi v[12:13], v10, off
	s_or_b64 exec, exec, s[14:15]
	v_cmp_ne_u32_e64 s[12:13], 0, v6
	s_and_saveexec_b64 s[16:17], s[12:13]
	s_cbranch_execz .LBB65_36
.LBB65_79:                              ;   in Loop: Header=BB65_12 Depth=1
	v_and_b32_e32 v0, 0x7f800000, v54
	v_cmp_ne_u32_e64 s[14:15], s56, v0
                                        ; implicit-def: $vgpr10
	s_and_saveexec_b64 s[18:19], s[14:15]
	s_xor_b64 s[14:15], exec, s[18:19]
; %bb.80:                               ;   in Loop: Header=BB65_12 Depth=1
	v_bfe_u32 v0, v54, 16, 1
	v_add3_u32 v10, v54, v0, s57
; %bb.81:                               ;   in Loop: Header=BB65_12 Depth=1
	s_andn2_saveexec_b64 s[18:19], s[14:15]
; %bb.82:                               ;   in Loop: Header=BB65_12 Depth=1
	v_or_b32_e32 v0, 0x10000, v54
	v_cmp_eq_u32_sdwa s[14:15], v54, v1 src0_sel:WORD_0 src1_sel:DWORD
	s_nop 1
	v_cndmask_b32_e64 v10, v0, v54, s[14:15]
; %bb.83:                               ;   in Loop: Header=BB65_12 Depth=1
	s_or_b64 exec, exec, s[18:19]
	v_add_u32_e32 v0, 4, v46
	v_lshl_add_u64 v[12:13], v[0:1], 1, s[26:27]
	global_store_short_d16_hi v[12:13], v10, off
	s_or_b64 exec, exec, s[16:17]
	v_cmp_ne_u32_e64 s[14:15], 0, v7
	s_and_saveexec_b64 s[18:19], s[14:15]
	s_cbranch_execz .LBB65_37
.LBB65_84:                              ;   in Loop: Header=BB65_12 Depth=1
	v_and_b32_e32 v0, 0x7f800000, v55
	v_cmp_ne_u32_e64 s[16:17], s56, v0
                                        ; implicit-def: $vgpr10
	s_and_saveexec_b64 s[46:47], s[16:17]
	s_xor_b64 s[16:17], exec, s[46:47]
; %bb.85:                               ;   in Loop: Header=BB65_12 Depth=1
	v_bfe_u32 v0, v55, 16, 1
	v_add3_u32 v10, v55, v0, s57
                                        ; implicit-def: $vgpr55
; %bb.86:                               ;   in Loop: Header=BB65_12 Depth=1
	s_andn2_saveexec_b64 s[46:47], s[16:17]
; %bb.87:                               ;   in Loop: Header=BB65_12 Depth=1
	v_or_b32_e32 v0, 0x10000, v55
	v_cmp_eq_u32_sdwa s[16:17], v55, v1 src0_sel:WORD_0 src1_sel:DWORD
	s_nop 1
	v_cndmask_b32_e64 v10, v0, v55, s[16:17]
; %bb.88:                               ;   in Loop: Header=BB65_12 Depth=1
	s_or_b64 exec, exec, s[46:47]
	v_add_u32_e32 v0, 5, v46
	v_lshl_add_u64 v[12:13], v[0:1], 1, s[26:27]
	global_store_short_d16_hi v[12:13], v10, off
	s_or_b64 exec, exec, s[18:19]
	v_cmp_ne_u32_e64 s[16:17], 0, v8
	s_and_saveexec_b64 s[46:47], s[16:17]
	s_cbranch_execz .LBB65_38
.LBB65_89:                              ;   in Loop: Header=BB65_12 Depth=1
	v_and_b32_e32 v0, 0x7f800000, v52
	v_cmp_ne_u32_e64 s[18:19], s56, v0
                                        ; implicit-def: $vgpr10
	s_and_saveexec_b64 s[48:49], s[18:19]
	s_xor_b64 s[18:19], exec, s[48:49]
; %bb.90:                               ;   in Loop: Header=BB65_12 Depth=1
	v_bfe_u32 v0, v52, 16, 1
	v_add3_u32 v10, v52, v0, s57
; %bb.91:                               ;   in Loop: Header=BB65_12 Depth=1
	s_andn2_saveexec_b64 s[48:49], s[18:19]
; %bb.92:                               ;   in Loop: Header=BB65_12 Depth=1
	v_or_b32_e32 v0, 0x10000, v52
	v_cmp_eq_u32_sdwa s[18:19], v52, v1 src0_sel:WORD_0 src1_sel:DWORD
	s_nop 1
	v_cndmask_b32_e64 v10, v0, v52, s[18:19]
; %bb.93:                               ;   in Loop: Header=BB65_12 Depth=1
	s_or_b64 exec, exec, s[48:49]
	v_add_u32_e32 v0, 6, v46
	v_lshl_add_u64 v[12:13], v[0:1], 1, s[26:27]
	global_store_short_d16_hi v[12:13], v10, off
	s_or_b64 exec, exec, s[46:47]
	v_add_u32_e32 v0, s25, v46
	s_and_saveexec_b64 s[46:47], vcc
	s_cbranch_execz .LBB65_39
.LBB65_94:                              ;   in Loop: Header=BB65_12 Depth=1
	v_and_b32_e32 v10, 0x7f800000, v53
	v_cmp_ne_u32_e64 s[18:19], s56, v10
                                        ; implicit-def: $vgpr10
	s_and_saveexec_b64 s[48:49], s[18:19]
	s_xor_b64 s[18:19], exec, s[48:49]
; %bb.95:                               ;   in Loop: Header=BB65_12 Depth=1
	v_bfe_u32 v10, v53, 16, 1
	v_add3_u32 v10, v53, v10, s57
                                        ; implicit-def: $vgpr53
; %bb.96:                               ;   in Loop: Header=BB65_12 Depth=1
	s_andn2_saveexec_b64 s[48:49], s[18:19]
; %bb.97:                               ;   in Loop: Header=BB65_12 Depth=1
	v_or_b32_e32 v10, 0x10000, v53
	v_cmp_eq_u32_sdwa s[18:19], v53, v1 src0_sel:WORD_0 src1_sel:DWORD
	s_nop 1
	v_cndmask_b32_e64 v10, v10, v53, s[18:19]
; %bb.98:                               ;   in Loop: Header=BB65_12 Depth=1
	s_or_b64 exec, exec, s[48:49]
	v_lshl_add_u64 v[12:13], v[0:1], 1, s[26:27]
	global_store_short_d16_hi v[12:13], v10, off
	s_or_b64 exec, exec, s[46:47]
	s_and_saveexec_b64 s[46:47], s[6:7]
	s_cbranch_execz .LBB65_40
.LBB65_99:                              ;   in Loop: Header=BB65_12 Depth=1
	v_and_b32_e32 v10, 0x7f800000, v109
	v_cmp_ne_u32_e64 s[18:19], s56, v10
                                        ; implicit-def: $vgpr10
	s_and_saveexec_b64 s[48:49], s[18:19]
	s_xor_b64 s[18:19], exec, s[48:49]
; %bb.100:                              ;   in Loop: Header=BB65_12 Depth=1
	v_bfe_u32 v10, v109, 16, 1
	v_add3_u32 v10, v109, v10, s57
                                        ; implicit-def: $vgpr109
; %bb.101:                              ;   in Loop: Header=BB65_12 Depth=1
	s_andn2_saveexec_b64 s[48:49], s[18:19]
; %bb.102:                              ;   in Loop: Header=BB65_12 Depth=1
	v_or_b32_e32 v10, 0x10000, v109
	v_cmp_eq_u32_sdwa s[18:19], v109, v1 src0_sel:WORD_0 src1_sel:DWORD
	s_nop 1
	v_cndmask_b32_e64 v10, v10, v109, s[18:19]
; %bb.103:                              ;   in Loop: Header=BB65_12 Depth=1
	s_or_b64 exec, exec, s[48:49]
	v_add_u32_e32 v12, 1, v0
	v_mov_b32_e32 v13, v1
	v_lshl_add_u64 v[12:13], v[12:13], 1, s[26:27]
	global_store_short_d16_hi v[12:13], v10, off
	s_or_b64 exec, exec, s[46:47]
	s_and_saveexec_b64 s[46:47], s[8:9]
	s_cbranch_execz .LBB65_41
.LBB65_104:                             ;   in Loop: Header=BB65_12 Depth=1
	v_and_b32_e32 v10, 0x7f800000, v115
	v_cmp_ne_u32_e64 s[18:19], s56, v10
                                        ; implicit-def: $vgpr10
	s_and_saveexec_b64 s[48:49], s[18:19]
	s_xor_b64 s[18:19], exec, s[48:49]
; %bb.105:                              ;   in Loop: Header=BB65_12 Depth=1
	v_bfe_u32 v10, v115, 16, 1
	v_add3_u32 v10, v115, v10, s57
                                        ; implicit-def: $vgpr115
; %bb.106:                              ;   in Loop: Header=BB65_12 Depth=1
	s_andn2_saveexec_b64 s[48:49], s[18:19]
; %bb.107:                              ;   in Loop: Header=BB65_12 Depth=1
	v_or_b32_e32 v10, 0x10000, v115
	v_cmp_eq_u32_sdwa s[18:19], v115, v1 src0_sel:WORD_0 src1_sel:DWORD
	s_nop 1
	v_cndmask_b32_e64 v10, v10, v115, s[18:19]
; %bb.108:                              ;   in Loop: Header=BB65_12 Depth=1
	s_or_b64 exec, exec, s[48:49]
	v_add_u32_e32 v12, 2, v0
	v_mov_b32_e32 v13, v1
	v_lshl_add_u64 v[12:13], v[12:13], 1, s[26:27]
	global_store_short_d16_hi v[12:13], v10, off
	s_or_b64 exec, exec, s[46:47]
	s_and_saveexec_b64 s[46:47], s[10:11]
	s_cbranch_execz .LBB65_42
.LBB65_109:                             ;   in Loop: Header=BB65_12 Depth=1
	v_and_b32_e32 v10, 0x7f800000, v114
	v_cmp_ne_u32_e64 s[18:19], s56, v10
                                        ; implicit-def: $vgpr10
	s_and_saveexec_b64 s[48:49], s[18:19]
	s_xor_b64 s[18:19], exec, s[48:49]
; %bb.110:                              ;   in Loop: Header=BB65_12 Depth=1
	v_bfe_u32 v10, v114, 16, 1
	v_add3_u32 v10, v114, v10, s57
                                        ; implicit-def: $vgpr114
; %bb.111:                              ;   in Loop: Header=BB65_12 Depth=1
	s_andn2_saveexec_b64 s[48:49], s[18:19]
; %bb.112:                              ;   in Loop: Header=BB65_12 Depth=1
	v_or_b32_e32 v10, 0x10000, v114
	v_cmp_eq_u32_sdwa s[18:19], v114, v1 src0_sel:WORD_0 src1_sel:DWORD
	s_nop 1
	v_cndmask_b32_e64 v10, v10, v114, s[18:19]
; %bb.113:                              ;   in Loop: Header=BB65_12 Depth=1
	s_or_b64 exec, exec, s[48:49]
	v_add_u32_e32 v12, 3, v0
	v_mov_b32_e32 v13, v1
	v_lshl_add_u64 v[12:13], v[12:13], 1, s[26:27]
	global_store_short_d16_hi v[12:13], v10, off
	s_or_b64 exec, exec, s[46:47]
	s_and_saveexec_b64 s[46:47], s[12:13]
	s_cbranch_execz .LBB65_43
.LBB65_114:                             ;   in Loop: Header=BB65_12 Depth=1
	v_and_b32_e32 v10, 0x7f800000, v113
	v_cmp_ne_u32_e64 s[18:19], s56, v10
                                        ; implicit-def: $vgpr10
	s_and_saveexec_b64 s[48:49], s[18:19]
	s_xor_b64 s[18:19], exec, s[48:49]
; %bb.115:                              ;   in Loop: Header=BB65_12 Depth=1
	v_bfe_u32 v10, v113, 16, 1
	v_add3_u32 v10, v113, v10, s57
                                        ; implicit-def: $vgpr113
; %bb.116:                              ;   in Loop: Header=BB65_12 Depth=1
	s_andn2_saveexec_b64 s[48:49], s[18:19]
; %bb.117:                              ;   in Loop: Header=BB65_12 Depth=1
	v_or_b32_e32 v10, 0x10000, v113
	v_cmp_eq_u32_sdwa s[18:19], v113, v1 src0_sel:WORD_0 src1_sel:DWORD
	s_nop 1
	v_cndmask_b32_e64 v10, v10, v113, s[18:19]
; %bb.118:                              ;   in Loop: Header=BB65_12 Depth=1
	s_or_b64 exec, exec, s[48:49]
	v_add_u32_e32 v12, 4, v0
	v_mov_b32_e32 v13, v1
	v_lshl_add_u64 v[12:13], v[12:13], 1, s[26:27]
	global_store_short_d16_hi v[12:13], v10, off
	s_or_b64 exec, exec, s[46:47]
	s_and_saveexec_b64 s[46:47], s[14:15]
	s_cbranch_execz .LBB65_44
.LBB65_119:                             ;   in Loop: Header=BB65_12 Depth=1
	v_and_b32_e32 v10, 0x7f800000, v127
	v_cmp_ne_u32_e64 s[18:19], s56, v10
                                        ; implicit-def: $vgpr10
	s_and_saveexec_b64 s[48:49], s[18:19]
	s_xor_b64 s[18:19], exec, s[48:49]
; %bb.120:                              ;   in Loop: Header=BB65_12 Depth=1
	v_bfe_u32 v10, v127, 16, 1
	v_add3_u32 v10, v127, v10, s57
                                        ; implicit-def: $vgpr127
; %bb.121:                              ;   in Loop: Header=BB65_12 Depth=1
	s_andn2_saveexec_b64 s[48:49], s[18:19]
; %bb.122:                              ;   in Loop: Header=BB65_12 Depth=1
	v_or_b32_e32 v10, 0x10000, v127
	v_cmp_eq_u32_sdwa s[18:19], v127, v1 src0_sel:WORD_0 src1_sel:DWORD
	s_nop 1
	v_cndmask_b32_e64 v10, v10, v127, s[18:19]
; %bb.123:                              ;   in Loop: Header=BB65_12 Depth=1
	s_or_b64 exec, exec, s[48:49]
	v_add_u32_e32 v12, 5, v0
	v_mov_b32_e32 v13, v1
	v_lshl_add_u64 v[12:13], v[12:13], 1, s[26:27]
	global_store_short_d16_hi v[12:13], v10, off
	s_or_b64 exec, exec, s[46:47]
	s_and_saveexec_b64 s[46:47], s[16:17]
	s_cbranch_execz .LBB65_45
.LBB65_124:                             ;   in Loop: Header=BB65_12 Depth=1
	v_and_b32_e32 v10, 0x7f800000, v50
	v_cmp_ne_u32_e64 s[18:19], s56, v10
                                        ; implicit-def: $vgpr10
	s_and_saveexec_b64 s[48:49], s[18:19]
	s_xor_b64 s[18:19], exec, s[48:49]
; %bb.125:                              ;   in Loop: Header=BB65_12 Depth=1
	v_bfe_u32 v10, v50, 16, 1
	v_add3_u32 v10, v50, v10, s57
; %bb.126:                              ;   in Loop: Header=BB65_12 Depth=1
	s_andn2_saveexec_b64 s[48:49], s[18:19]
; %bb.127:                              ;   in Loop: Header=BB65_12 Depth=1
	v_or_b32_e32 v10, 0x10000, v50
	v_cmp_eq_u32_sdwa s[18:19], v50, v1 src0_sel:WORD_0 src1_sel:DWORD
	s_nop 1
	v_cndmask_b32_e64 v10, v10, v50, s[18:19]
; %bb.128:                              ;   in Loop: Header=BB65_12 Depth=1
	s_or_b64 exec, exec, s[48:49]
	v_add_u32_e32 v12, 6, v0
	v_mov_b32_e32 v13, v1
	v_lshl_add_u64 v[12:13], v[12:13], 1, s[26:27]
	global_store_short_d16_hi v[12:13], v10, off
	s_or_b64 exec, exec, s[46:47]
	v_add_u32_e32 v0, s25, v0
	s_and_saveexec_b64 s[46:47], vcc
	s_cbranch_execz .LBB65_46
.LBB65_129:                             ;   in Loop: Header=BB65_12 Depth=1
	v_and_b32_e32 v10, 0x7f800000, v51
	v_cmp_ne_u32_e64 s[18:19], s56, v10
                                        ; implicit-def: $vgpr10
	s_and_saveexec_b64 s[48:49], s[18:19]
	s_xor_b64 s[18:19], exec, s[48:49]
; %bb.130:                              ;   in Loop: Header=BB65_12 Depth=1
	v_bfe_u32 v10, v51, 16, 1
	v_add3_u32 v10, v51, v10, s57
                                        ; implicit-def: $vgpr51
; %bb.131:                              ;   in Loop: Header=BB65_12 Depth=1
	s_andn2_saveexec_b64 s[48:49], s[18:19]
; %bb.132:                              ;   in Loop: Header=BB65_12 Depth=1
	v_or_b32_e32 v10, 0x10000, v51
	v_cmp_eq_u32_sdwa s[18:19], v51, v1 src0_sel:WORD_0 src1_sel:DWORD
	s_nop 1
	v_cndmask_b32_e64 v10, v10, v51, s[18:19]
; %bb.133:                              ;   in Loop: Header=BB65_12 Depth=1
	s_or_b64 exec, exec, s[48:49]
	v_lshl_add_u64 v[12:13], v[0:1], 1, s[26:27]
	global_store_short_d16_hi v[12:13], v10, off
	s_or_b64 exec, exec, s[46:47]
	s_and_saveexec_b64 s[46:47], s[6:7]
	s_cbranch_execz .LBB65_47
.LBB65_134:                             ;   in Loop: Header=BB65_12 Depth=1
	v_and_b32_e32 v10, 0x7f800000, v126
	v_cmp_ne_u32_e64 s[18:19], s56, v10
                                        ; implicit-def: $vgpr10
	s_and_saveexec_b64 s[48:49], s[18:19]
	s_xor_b64 s[18:19], exec, s[48:49]
; %bb.135:                              ;   in Loop: Header=BB65_12 Depth=1
	v_bfe_u32 v10, v126, 16, 1
	v_add3_u32 v10, v126, v10, s57
                                        ; implicit-def: $vgpr126
; %bb.136:                              ;   in Loop: Header=BB65_12 Depth=1
	s_andn2_saveexec_b64 s[48:49], s[18:19]
; %bb.137:                              ;   in Loop: Header=BB65_12 Depth=1
	v_or_b32_e32 v10, 0x10000, v126
	v_cmp_eq_u32_sdwa s[18:19], v126, v1 src0_sel:WORD_0 src1_sel:DWORD
	s_nop 1
	v_cndmask_b32_e64 v10, v10, v126, s[18:19]
; %bb.138:                              ;   in Loop: Header=BB65_12 Depth=1
	s_or_b64 exec, exec, s[48:49]
	v_add_u32_e32 v12, 1, v0
	v_mov_b32_e32 v13, v1
	v_lshl_add_u64 v[12:13], v[12:13], 1, s[26:27]
	global_store_short_d16_hi v[12:13], v10, off
	s_or_b64 exec, exec, s[46:47]
	s_and_saveexec_b64 s[46:47], s[8:9]
	s_cbranch_execz .LBB65_48
.LBB65_139:                             ;   in Loop: Header=BB65_12 Depth=1
	v_and_b32_e32 v10, 0x7f800000, v124
	v_cmp_ne_u32_e64 s[18:19], s56, v10
                                        ; implicit-def: $vgpr10
	s_and_saveexec_b64 s[48:49], s[18:19]
	s_xor_b64 s[18:19], exec, s[48:49]
; %bb.140:                              ;   in Loop: Header=BB65_12 Depth=1
	v_bfe_u32 v10, v124, 16, 1
	v_add3_u32 v10, v124, v10, s57
                                        ; implicit-def: $vgpr124
; %bb.141:                              ;   in Loop: Header=BB65_12 Depth=1
	s_andn2_saveexec_b64 s[48:49], s[18:19]
; %bb.142:                              ;   in Loop: Header=BB65_12 Depth=1
	v_or_b32_e32 v10, 0x10000, v124
	v_cmp_eq_u32_sdwa s[18:19], v124, v1 src0_sel:WORD_0 src1_sel:DWORD
	s_nop 1
	v_cndmask_b32_e64 v10, v10, v124, s[18:19]
; %bb.143:                              ;   in Loop: Header=BB65_12 Depth=1
	s_or_b64 exec, exec, s[48:49]
	v_add_u32_e32 v12, 2, v0
	v_mov_b32_e32 v13, v1
	v_lshl_add_u64 v[12:13], v[12:13], 1, s[26:27]
	global_store_short_d16_hi v[12:13], v10, off
	s_or_b64 exec, exec, s[46:47]
	s_and_saveexec_b64 s[46:47], s[10:11]
	s_cbranch_execz .LBB65_49
.LBB65_144:                             ;   in Loop: Header=BB65_12 Depth=1
	v_and_b32_e32 v10, 0x7f800000, v122
	v_cmp_ne_u32_e64 s[18:19], s56, v10
                                        ; implicit-def: $vgpr10
	s_and_saveexec_b64 s[48:49], s[18:19]
	s_xor_b64 s[18:19], exec, s[48:49]
; %bb.145:                              ;   in Loop: Header=BB65_12 Depth=1
	v_bfe_u32 v10, v122, 16, 1
	v_add3_u32 v10, v122, v10, s57
                                        ; implicit-def: $vgpr122
; %bb.146:                              ;   in Loop: Header=BB65_12 Depth=1
	s_andn2_saveexec_b64 s[48:49], s[18:19]
; %bb.147:                              ;   in Loop: Header=BB65_12 Depth=1
	v_or_b32_e32 v10, 0x10000, v122
	v_cmp_eq_u32_sdwa s[18:19], v122, v1 src0_sel:WORD_0 src1_sel:DWORD
	s_nop 1
	v_cndmask_b32_e64 v10, v10, v122, s[18:19]
; %bb.148:                              ;   in Loop: Header=BB65_12 Depth=1
	s_or_b64 exec, exec, s[48:49]
	v_add_u32_e32 v12, 3, v0
	v_mov_b32_e32 v13, v1
	v_lshl_add_u64 v[12:13], v[12:13], 1, s[26:27]
	global_store_short_d16_hi v[12:13], v10, off
	s_or_b64 exec, exec, s[46:47]
	s_and_saveexec_b64 s[46:47], s[12:13]
	s_cbranch_execz .LBB65_50
.LBB65_149:                             ;   in Loop: Header=BB65_12 Depth=1
	v_and_b32_e32 v10, 0x7f800000, v121
	v_cmp_ne_u32_e64 s[18:19], s56, v10
                                        ; implicit-def: $vgpr10
	s_and_saveexec_b64 s[48:49], s[18:19]
	s_xor_b64 s[18:19], exec, s[48:49]
; %bb.150:                              ;   in Loop: Header=BB65_12 Depth=1
	v_bfe_u32 v10, v121, 16, 1
	v_add3_u32 v10, v121, v10, s57
                                        ; implicit-def: $vgpr121
; %bb.151:                              ;   in Loop: Header=BB65_12 Depth=1
	s_andn2_saveexec_b64 s[48:49], s[18:19]
; %bb.152:                              ;   in Loop: Header=BB65_12 Depth=1
	v_or_b32_e32 v10, 0x10000, v121
	v_cmp_eq_u32_sdwa s[18:19], v121, v1 src0_sel:WORD_0 src1_sel:DWORD
	s_nop 1
	v_cndmask_b32_e64 v10, v10, v121, s[18:19]
; %bb.153:                              ;   in Loop: Header=BB65_12 Depth=1
	s_or_b64 exec, exec, s[48:49]
	v_add_u32_e32 v12, 4, v0
	v_mov_b32_e32 v13, v1
	v_lshl_add_u64 v[12:13], v[12:13], 1, s[26:27]
	global_store_short_d16_hi v[12:13], v10, off
	s_or_b64 exec, exec, s[46:47]
	s_and_saveexec_b64 s[46:47], s[14:15]
	s_cbranch_execz .LBB65_51
.LBB65_154:                             ;   in Loop: Header=BB65_12 Depth=1
	v_and_b32_e32 v10, 0x7f800000, v125
	v_cmp_ne_u32_e64 s[18:19], s56, v10
                                        ; implicit-def: $vgpr10
	s_and_saveexec_b64 s[48:49], s[18:19]
	s_xor_b64 s[18:19], exec, s[48:49]
; %bb.155:                              ;   in Loop: Header=BB65_12 Depth=1
	v_bfe_u32 v10, v125, 16, 1
	v_add3_u32 v10, v125, v10, s57
                                        ; implicit-def: $vgpr125
; %bb.156:                              ;   in Loop: Header=BB65_12 Depth=1
	s_andn2_saveexec_b64 s[48:49], s[18:19]
; %bb.157:                              ;   in Loop: Header=BB65_12 Depth=1
	v_or_b32_e32 v10, 0x10000, v125
	v_cmp_eq_u32_sdwa s[18:19], v125, v1 src0_sel:WORD_0 src1_sel:DWORD
	s_nop 1
	v_cndmask_b32_e64 v10, v10, v125, s[18:19]
; %bb.158:                              ;   in Loop: Header=BB65_12 Depth=1
	s_or_b64 exec, exec, s[48:49]
	v_add_u32_e32 v12, 5, v0
	v_mov_b32_e32 v13, v1
	v_lshl_add_u64 v[12:13], v[12:13], 1, s[26:27]
	global_store_short_d16_hi v[12:13], v10, off
	s_or_b64 exec, exec, s[46:47]
	s_and_saveexec_b64 s[46:47], s[16:17]
	s_cbranch_execz .LBB65_52
.LBB65_159:                             ;   in Loop: Header=BB65_12 Depth=1
	v_and_b32_e32 v10, 0x7f800000, v123
	v_cmp_ne_u32_e64 s[18:19], s56, v10
                                        ; implicit-def: $vgpr10
	s_and_saveexec_b64 s[48:49], s[18:19]
	s_xor_b64 s[18:19], exec, s[48:49]
; %bb.160:                              ;   in Loop: Header=BB65_12 Depth=1
	v_bfe_u32 v10, v123, 16, 1
	v_add3_u32 v10, v123, v10, s57
                                        ; implicit-def: $vgpr123
; %bb.161:                              ;   in Loop: Header=BB65_12 Depth=1
	s_andn2_saveexec_b64 s[48:49], s[18:19]
; %bb.162:                              ;   in Loop: Header=BB65_12 Depth=1
	v_or_b32_e32 v10, 0x10000, v123
	v_cmp_eq_u32_sdwa s[18:19], v123, v1 src0_sel:WORD_0 src1_sel:DWORD
	s_nop 1
	v_cndmask_b32_e64 v10, v10, v123, s[18:19]
; %bb.163:                              ;   in Loop: Header=BB65_12 Depth=1
	s_or_b64 exec, exec, s[48:49]
	v_add_u32_e32 v12, 6, v0
	v_mov_b32_e32 v13, v1
	v_lshl_add_u64 v[12:13], v[12:13], 1, s[26:27]
	global_store_short_d16_hi v[12:13], v10, off
	s_or_b64 exec, exec, s[46:47]
	v_add_u32_e32 v0, s25, v0
	s_and_saveexec_b64 s[18:19], vcc
	s_cbranch_execz .LBB65_53
.LBB65_164:                             ;   in Loop: Header=BB65_12 Depth=1
	v_and_b32_e32 v10, 0x7f800000, v120
	v_cmp_ne_u32_e32 vcc, s56, v10
                                        ; implicit-def: $vgpr10
	s_and_saveexec_b64 s[46:47], vcc
	s_xor_b64 s[46:47], exec, s[46:47]
; %bb.165:                              ;   in Loop: Header=BB65_12 Depth=1
	v_bfe_u32 v10, v120, 16, 1
	v_add3_u32 v10, v120, v10, s57
                                        ; implicit-def: $vgpr120
; %bb.166:                              ;   in Loop: Header=BB65_12 Depth=1
	s_andn2_saveexec_b64 s[46:47], s[46:47]
; %bb.167:                              ;   in Loop: Header=BB65_12 Depth=1
	v_or_b32_e32 v10, 0x10000, v120
	v_cmp_eq_u32_sdwa vcc, v120, v1 src0_sel:WORD_0 src1_sel:DWORD
	s_nop 1
	v_cndmask_b32_e32 v10, v10, v120, vcc
; %bb.168:                              ;   in Loop: Header=BB65_12 Depth=1
	s_or_b64 exec, exec, s[46:47]
	v_lshl_add_u64 v[12:13], v[0:1], 1, s[26:27]
	global_store_short_d16_hi v[12:13], v10, off
	s_or_b64 exec, exec, s[18:19]
	s_and_saveexec_b64 s[18:19], s[6:7]
	s_cbranch_execz .LBB65_54
.LBB65_169:                             ;   in Loop: Header=BB65_12 Depth=1
	v_and_b32_e32 v10, 0x7f800000, v49
	v_cmp_ne_u32_e32 vcc, s56, v10
                                        ; implicit-def: $vgpr10
	s_and_saveexec_b64 s[6:7], vcc
	s_xor_b64 s[6:7], exec, s[6:7]
; %bb.170:                              ;   in Loop: Header=BB65_12 Depth=1
	v_bfe_u32 v10, v49, 16, 1
	v_add3_u32 v10, v49, v10, s57
; %bb.171:                              ;   in Loop: Header=BB65_12 Depth=1
	s_andn2_saveexec_b64 s[6:7], s[6:7]
; %bb.172:                              ;   in Loop: Header=BB65_12 Depth=1
	v_or_b32_e32 v10, 0x10000, v49
	v_cmp_eq_u32_sdwa vcc, v49, v1 src0_sel:WORD_0 src1_sel:DWORD
	s_nop 1
	v_cndmask_b32_e32 v10, v10, v49, vcc
; %bb.173:                              ;   in Loop: Header=BB65_12 Depth=1
	s_or_b64 exec, exec, s[6:7]
	v_add_u32_e32 v12, 1, v0
	v_mov_b32_e32 v13, v1
	v_lshl_add_u64 v[12:13], v[12:13], 1, s[26:27]
	global_store_short_d16_hi v[12:13], v10, off
	s_or_b64 exec, exec, s[18:19]
	s_and_saveexec_b64 s[6:7], s[8:9]
	s_cbranch_execz .LBB65_55
.LBB65_174:                             ;   in Loop: Header=BB65_12 Depth=1
	v_and_b32_e32 v10, 0x7f800000, v48
	v_cmp_ne_u32_e32 vcc, s56, v10
                                        ; implicit-def: $vgpr10
	s_and_saveexec_b64 s[8:9], vcc
	s_xor_b64 s[8:9], exec, s[8:9]
; %bb.175:                              ;   in Loop: Header=BB65_12 Depth=1
	v_bfe_u32 v10, v48, 16, 1
	v_add3_u32 v10, v48, v10, s57
                                        ; implicit-def: $vgpr48
; %bb.176:                              ;   in Loop: Header=BB65_12 Depth=1
	s_andn2_saveexec_b64 s[8:9], s[8:9]
; %bb.177:                              ;   in Loop: Header=BB65_12 Depth=1
	v_or_b32_e32 v10, 0x10000, v48
	v_cmp_eq_u32_sdwa vcc, v48, v1 src0_sel:WORD_0 src1_sel:DWORD
	s_nop 1
	v_cndmask_b32_e32 v10, v10, v48, vcc
; %bb.178:                              ;   in Loop: Header=BB65_12 Depth=1
	s_or_b64 exec, exec, s[8:9]
	v_add_u32_e32 v12, 2, v0
	v_mov_b32_e32 v13, v1
	v_lshl_add_u64 v[12:13], v[12:13], 1, s[26:27]
	global_store_short_d16_hi v[12:13], v10, off
	s_or_b64 exec, exec, s[6:7]
	s_and_saveexec_b64 s[6:7], s[10:11]
	s_cbranch_execz .LBB65_56
.LBB65_179:                             ;   in Loop: Header=BB65_12 Depth=1
	v_and_b32_e32 v10, 0x7f800000, v119
	v_cmp_ne_u32_e32 vcc, s56, v10
                                        ; implicit-def: $vgpr10
	s_and_saveexec_b64 s[8:9], vcc
	s_xor_b64 s[8:9], exec, s[8:9]
; %bb.180:                              ;   in Loop: Header=BB65_12 Depth=1
	v_bfe_u32 v10, v119, 16, 1
	v_add3_u32 v10, v119, v10, s57
                                        ; implicit-def: $vgpr119
; %bb.181:                              ;   in Loop: Header=BB65_12 Depth=1
	s_andn2_saveexec_b64 s[8:9], s[8:9]
; %bb.182:                              ;   in Loop: Header=BB65_12 Depth=1
	v_or_b32_e32 v10, 0x10000, v119
	v_cmp_eq_u32_sdwa vcc, v119, v1 src0_sel:WORD_0 src1_sel:DWORD
	s_nop 1
	v_cndmask_b32_e32 v10, v10, v119, vcc
; %bb.183:                              ;   in Loop: Header=BB65_12 Depth=1
	s_or_b64 exec, exec, s[8:9]
	v_add_u32_e32 v12, 3, v0
	v_mov_b32_e32 v13, v1
	v_lshl_add_u64 v[12:13], v[12:13], 1, s[26:27]
	global_store_short_d16_hi v[12:13], v10, off
	s_or_b64 exec, exec, s[6:7]
	s_and_saveexec_b64 s[6:7], s[12:13]
	s_cbranch_execz .LBB65_57
.LBB65_184:                             ;   in Loop: Header=BB65_12 Depth=1
	v_and_b32_e32 v10, 0x7f800000, v118
	v_cmp_ne_u32_e32 vcc, s56, v10
                                        ; implicit-def: $vgpr10
	s_and_saveexec_b64 s[8:9], vcc
	s_xor_b64 s[8:9], exec, s[8:9]
; %bb.185:                              ;   in Loop: Header=BB65_12 Depth=1
	v_bfe_u32 v10, v118, 16, 1
	v_add3_u32 v10, v118, v10, s57
                                        ; implicit-def: $vgpr118
; %bb.186:                              ;   in Loop: Header=BB65_12 Depth=1
	s_andn2_saveexec_b64 s[8:9], s[8:9]
; %bb.187:                              ;   in Loop: Header=BB65_12 Depth=1
	v_or_b32_e32 v10, 0x10000, v118
	v_cmp_eq_u32_sdwa vcc, v118, v1 src0_sel:WORD_0 src1_sel:DWORD
	s_nop 1
	v_cndmask_b32_e32 v10, v10, v118, vcc
; %bb.188:                              ;   in Loop: Header=BB65_12 Depth=1
	s_or_b64 exec, exec, s[8:9]
	v_add_u32_e32 v12, 4, v0
	v_mov_b32_e32 v13, v1
	v_lshl_add_u64 v[12:13], v[12:13], 1, s[26:27]
	global_store_short_d16_hi v[12:13], v10, off
	s_or_b64 exec, exec, s[6:7]
	s_and_saveexec_b64 s[6:7], s[14:15]
	s_cbranch_execz .LBB65_58
.LBB65_189:                             ;   in Loop: Header=BB65_12 Depth=1
	v_and_b32_e32 v10, 0x7f800000, v117
	v_cmp_ne_u32_e32 vcc, s56, v10
                                        ; implicit-def: $vgpr10
	s_and_saveexec_b64 s[8:9], vcc
	s_xor_b64 s[8:9], exec, s[8:9]
; %bb.190:                              ;   in Loop: Header=BB65_12 Depth=1
	v_bfe_u32 v10, v117, 16, 1
	v_add3_u32 v10, v117, v10, s57
                                        ; implicit-def: $vgpr117
; %bb.191:                              ;   in Loop: Header=BB65_12 Depth=1
	s_andn2_saveexec_b64 s[8:9], s[8:9]
; %bb.192:                              ;   in Loop: Header=BB65_12 Depth=1
	v_or_b32_e32 v10, 0x10000, v117
	v_cmp_eq_u32_sdwa vcc, v117, v1 src0_sel:WORD_0 src1_sel:DWORD
	s_nop 1
	v_cndmask_b32_e32 v10, v10, v117, vcc
; %bb.193:                              ;   in Loop: Header=BB65_12 Depth=1
	s_or_b64 exec, exec, s[8:9]
	v_add_u32_e32 v12, 5, v0
	v_mov_b32_e32 v13, v1
	v_lshl_add_u64 v[12:13], v[12:13], 1, s[26:27]
	global_store_short_d16_hi v[12:13], v10, off
	s_or_b64 exec, exec, s[6:7]
	s_and_b64 exec, exec, s[16:17]
	s_cbranch_execz .LBB65_199
.LBB65_194:                             ;   in Loop: Header=BB65_12 Depth=1
	v_and_b32_e32 v10, 0x7f800000, v116
	v_cmp_ne_u32_e32 vcc, s56, v10
                                        ; implicit-def: $vgpr10
	s_and_saveexec_b64 s[6:7], vcc
	s_xor_b64 s[6:7], exec, s[6:7]
; %bb.195:                              ;   in Loop: Header=BB65_12 Depth=1
	v_bfe_u32 v10, v116, 16, 1
	v_add3_u32 v10, v116, v10, s57
                                        ; implicit-def: $vgpr116
; %bb.196:                              ;   in Loop: Header=BB65_12 Depth=1
	s_andn2_saveexec_b64 s[6:7], s[6:7]
; %bb.197:                              ;   in Loop: Header=BB65_12 Depth=1
	v_or_b32_e32 v10, 0x10000, v116
	v_cmp_eq_u32_sdwa vcc, v116, v1 src0_sel:WORD_0 src1_sel:DWORD
	s_nop 1
	v_cndmask_b32_e32 v10, v10, v116, vcc
; %bb.198:                              ;   in Loop: Header=BB65_12 Depth=1
	s_or_b64 exec, exec, s[6:7]
	v_add_u32_e32 v0, 6, v0
	v_lshl_add_u64 v[12:13], v[0:1], 1, s[26:27]
	global_store_short_d16_hi v[12:13], v10, off
.LBB65_199:                             ;   in Loop: Header=BB65_12 Depth=1
	s_or_b64 exec, exec, s[44:45]
	v_add_u32_e32 v46, s52, v46
	v_add_u32_e32 v0, 7, v46
	v_cmp_gt_u32_e32 vcc, s25, v46
	v_cmp_le_u32_e64 s[6:7], s25, v0
	s_and_b64 s[6:7], vcc, s[6:7]
	s_and_saveexec_b64 s[8:9], s[6:7]
	s_cbranch_execz .LBB65_10
; %bb.200:                              ;   in Loop: Header=BB65_12 Depth=1
	v_cmp_ne_u32_e32 vcc, s53, v46
	s_and_saveexec_b64 s[10:11], vcc
	s_cbranch_execz .LBB65_9
; %bb.201:                              ;   in Loop: Header=BB65_12 Depth=1
	v_subrev_u32_e32 v0, s53, v46
	v_cmp_lt_u32_e32 vcc, 1, v0
	s_mov_b64 s[12:13], 0
	s_mov_b64 s[14:15], 0
	v_cndmask_b32_e32 v0, 1, v0, vcc
.LBB65_202:                             ;   Parent Loop BB65_12 Depth=1
                                        ; =>  This Inner Loop Header: Depth=2
	s_cmp_lg_u32 s14, 6
	s_cselect_b64 vcc, -1, 0
	s_cmp_lg_u32 s14, 5
	v_cndmask_b32_e32 v8, 0, v8, vcc
	s_cselect_b64 vcc, -1, 0
	s_cmp_lg_u32 s14, 4
	v_cndmask_b32_e32 v7, 0, v7, vcc
	;; [unrolled: 3-line block ×6, first 2 shown]
	s_cselect_b64 vcc, -1, 0
	s_add_u32 s14, s14, 1
	s_addc_u32 s15, s15, 0
	v_cmp_eq_u32_e64 s[6:7], s14, v0
	s_or_b64 s[12:13], s[6:7], s[12:13]
	v_cndmask_b32_e32 v2, 0, v2, vcc
	s_andn2_b64 exec, exec, s[12:13]
	s_cbranch_execnz .LBB65_202
; %bb.203:                              ;   in Loop: Header=BB65_12 Depth=1
	s_or_b64 exec, exec, s[12:13]
	s_branch .LBB65_9
.LBB65_204:
	s_endpgm
	.section	.rodata,"a",@progbits
	.p2align	6, 0x0
	.amdhsa_kernel _ZN5aiter16wvSplitK_hf_big_I14__hip_bfloat16Li64ELi7ELi16ELi8ELi1ELi4EEEviiPKT_S4_PS2_ii
		.amdhsa_group_segment_fixed_size 65536
		.amdhsa_private_segment_fixed_size 20
		.amdhsa_kernarg_size 40
		.amdhsa_user_sgpr_count 2
		.amdhsa_user_sgpr_dispatch_ptr 0
		.amdhsa_user_sgpr_queue_ptr 0
		.amdhsa_user_sgpr_kernarg_segment_ptr 1
		.amdhsa_user_sgpr_dispatch_id 0
		.amdhsa_user_sgpr_kernarg_preload_length 0
		.amdhsa_user_sgpr_kernarg_preload_offset 0
		.amdhsa_user_sgpr_private_segment_size 0
		.amdhsa_uses_dynamic_stack 0
		.amdhsa_enable_private_segment 1
		.amdhsa_system_sgpr_workgroup_id_x 1
		.amdhsa_system_sgpr_workgroup_id_y 0
		.amdhsa_system_sgpr_workgroup_id_z 0
		.amdhsa_system_sgpr_workgroup_info 0
		.amdhsa_system_vgpr_workitem_id 1
		.amdhsa_next_free_vgpr 128
		.amdhsa_next_free_sgpr 58
		.amdhsa_accum_offset 128
		.amdhsa_reserve_vcc 1
		.amdhsa_float_round_mode_32 0
		.amdhsa_float_round_mode_16_64 0
		.amdhsa_float_denorm_mode_32 3
		.amdhsa_float_denorm_mode_16_64 3
		.amdhsa_dx10_clamp 1
		.amdhsa_ieee_mode 1
		.amdhsa_fp16_overflow 0
		.amdhsa_tg_split 0
		.amdhsa_exception_fp_ieee_invalid_op 0
		.amdhsa_exception_fp_denorm_src 0
		.amdhsa_exception_fp_ieee_div_zero 0
		.amdhsa_exception_fp_ieee_overflow 0
		.amdhsa_exception_fp_ieee_underflow 0
		.amdhsa_exception_fp_ieee_inexact 0
		.amdhsa_exception_int_div_zero 0
	.end_amdhsa_kernel
	.section	.text._ZN5aiter16wvSplitK_hf_big_I14__hip_bfloat16Li64ELi7ELi16ELi8ELi1ELi4EEEviiPKT_S4_PS2_ii,"axG",@progbits,_ZN5aiter16wvSplitK_hf_big_I14__hip_bfloat16Li64ELi7ELi16ELi8ELi1ELi4EEEviiPKT_S4_PS2_ii,comdat
.Lfunc_end65:
	.size	_ZN5aiter16wvSplitK_hf_big_I14__hip_bfloat16Li64ELi7ELi16ELi8ELi1ELi4EEEviiPKT_S4_PS2_ii, .Lfunc_end65-_ZN5aiter16wvSplitK_hf_big_I14__hip_bfloat16Li64ELi7ELi16ELi8ELi1ELi4EEEviiPKT_S4_PS2_ii
                                        ; -- End function
	.section	.AMDGPU.csdata,"",@progbits
; Kernel info:
; codeLenInByte = 10152
; NumSgprs: 64
; NumVgprs: 128
; NumAgprs: 0
; TotalNumVgprs: 128
; ScratchSize: 20
; MemoryBound: 0
; FloatMode: 240
; IeeeMode: 1
; LDSByteSize: 65536 bytes/workgroup (compile time only)
; SGPRBlocks: 7
; VGPRBlocks: 15
; NumSGPRsForWavesPerEU: 64
; NumVGPRsForWavesPerEU: 128
; AccumOffset: 128
; Occupancy: 4
; WaveLimiterHint : 0
; COMPUTE_PGM_RSRC2:SCRATCH_EN: 1
; COMPUTE_PGM_RSRC2:USER_SGPR: 2
; COMPUTE_PGM_RSRC2:TRAP_HANDLER: 0
; COMPUTE_PGM_RSRC2:TGID_X_EN: 1
; COMPUTE_PGM_RSRC2:TGID_Y_EN: 0
; COMPUTE_PGM_RSRC2:TGID_Z_EN: 0
; COMPUTE_PGM_RSRC2:TIDIG_COMP_CNT: 1
; COMPUTE_PGM_RSRC3_GFX90A:ACCUM_OFFSET: 31
; COMPUTE_PGM_RSRC3_GFX90A:TG_SPLIT: 0
	.section	.text._ZN5aiter17wvSplitKQ_hf_sml_I6__halfhLi64ELi2ELi16ELi16ELi2ELi1EEEviiiPKT0_S4_PT_PKfS8_ii,"axG",@progbits,_ZN5aiter17wvSplitKQ_hf_sml_I6__halfhLi64ELi2ELi16ELi16ELi2ELi1EEEviiiPKT0_S4_PT_PKfS8_ii,comdat
	.protected	_ZN5aiter17wvSplitKQ_hf_sml_I6__halfhLi64ELi2ELi16ELi16ELi2ELi1EEEviiiPKT0_S4_PT_PKfS8_ii ; -- Begin function _ZN5aiter17wvSplitKQ_hf_sml_I6__halfhLi64ELi2ELi16ELi16ELi2ELi1EEEviiiPKT0_S4_PT_PKfS8_ii
	.globl	_ZN5aiter17wvSplitKQ_hf_sml_I6__halfhLi64ELi2ELi16ELi16ELi2ELi1EEEviiiPKT0_S4_PT_PKfS8_ii
	.p2align	8
	.type	_ZN5aiter17wvSplitKQ_hf_sml_I6__halfhLi64ELi2ELi16ELi16ELi2ELi1EEEviiiPKT0_S4_PT_PKfS8_ii,@function
_ZN5aiter17wvSplitKQ_hf_sml_I6__halfhLi64ELi2ELi16ELi16ELi2ELi1EEEviiiPKT0_S4_PT_PKfS8_ii: ; @_ZN5aiter17wvSplitKQ_hf_sml_I6__halfhLi64ELi2ELi16ELi16ELi2ELi1EEEviiiPKT0_S4_PT_PKfS8_ii
; %bb.0:
	s_load_dwordx4 s[8:11], s[0:1], 0x0
	s_load_dwordx4 s[4:7], s[0:1], 0x28
	v_bfe_u32 v1, v0, 10, 10
	v_and_b32_e32 v0, 0x3ff, v0
	v_lshlrev_b32_e32 v60, 4, v0
	v_lshl_add_u32 v2, v1, 10, v60
	s_waitcnt lgkmcnt(0)
	s_min_i32 s3, s8, 0x10000
	v_cmp_gt_u32_e32 vcc, s3, v2
	s_and_saveexec_b64 s[12:13], vcc
	s_cbranch_execz .LBB66_3
; %bb.1:
	s_load_dwordx2 s[14:15], s[0:1], 0x18
	s_mov_b64 s[16:17], 0
.LBB66_2:                               ; =>This Inner Loop Header: Depth=1
	s_waitcnt lgkmcnt(0)
	global_load_dwordx4 v[4:7], v2, s[14:15]
	s_waitcnt vmcnt(0)
	ds_write_b128 v2, v[4:7]
	v_add_u32_e32 v2, 0x4000, v2
	v_cmp_le_u32_e32 vcc, s3, v2
	s_or_b64 s[16:17], vcc, s[16:17]
	s_andn2_b64 exec, exec, s[16:17]
	s_cbranch_execnz .LBB66_2
.LBB66_3:
	s_or_b64 exec, exec, s[12:13]
	s_load_dwordx2 s[16:17], s[0:1], 0x38
	s_waitcnt lgkmcnt(0)
	s_barrier
	v_cmp_gt_u32_e32 vcc, s16, v1
	s_and_saveexec_b64 s[12:13], vcc
	s_cbranch_execz .LBB66_22
; %bb.4:
	s_mul_i32 s2, s2, s16
	v_add_lshl_u32 v56, s2, v1, 1
	v_cmp_gt_u32_e32 vcc, s10, v56
	s_and_b64 exec, exec, vcc
	s_cbranch_execz .LBB66_22
; %bb.5:
	s_load_dword s11, s[4:5], 0x0
	s_load_dword s22, s[6:7], 0x0
	s_load_dwordx2 s[12:13], s[0:1], 0x10
	s_load_dwordx2 s[14:15], s[0:1], 0x20
	s_cmp_lg_u32 s8, 0
	s_cselect_b64 s[2:3], -1, 0
	v_cmp_eq_u32_e64 s[0:1], 0, v0
	v_cndmask_b32_e64 v0, 0, 1, s[2:3]
	v_cmp_ne_u32_e64 s[2:3], 1, v0
	v_mbcnt_lo_u32_b32 v0, -1, 0
	v_mbcnt_hi_u32_b32 v0, -1, v0
	s_mul_i32 s4, s16, s17
	v_lshlrev_b32_e32 v0, 2, v0
	s_mov_b32 s7, 0
	s_lshl_b32 s23, s4, 1
	s_mov_b32 s6, s9
	s_mov_b64 s[16:17], 0
	v_mov_b32_e32 v59, 0
	v_and_b32_e32 v61, 0x100, v0
	s_branch .LBB66_7
.LBB66_6:                               ;   in Loop: Header=BB66_7 Depth=1
	s_or_b64 exec, exec, s[4:5]
	v_add_u32_e32 v56, s23, v56
	v_cmp_le_u32_e32 vcc, s10, v56
	s_or_b64 s[16:17], vcc, s[16:17]
	s_andn2_b64 exec, exec, s[16:17]
	s_cbranch_execz .LBB66_22
.LBB66_7:                               ; =>This Loop Header: Depth=1
                                        ;     Child Loop BB66_10 Depth 2
	s_and_b64 vcc, exec, s[2:3]
	v_mov_b32_e32 v31, v59
	v_mov_b32_e32 v30, v59
	;; [unrolled: 1-line block ×13, first 2 shown]
	s_waitcnt lgkmcnt(0)
	v_mov_b32_e32 v18, v59
	v_mov_b32_e32 v17, v59
	;; [unrolled: 1-line block ×19, first 2 shown]
	s_cbranch_vccnz .LBB66_20
; %bb.8:                                ;   in Loop: Header=BB66_7 Depth=1
	v_mov_b32_e32 v0, 0
	v_mul_lo_u32 v57, v56, s9
	s_mov_b32 s24, 0
	v_mov_b32_e32 v1, v0
	v_mov_b32_e32 v2, v0
	;; [unrolled: 1-line block ×31, first 2 shown]
	s_branch .LBB66_10
.LBB66_9:                               ;   in Loop: Header=BB66_10 Depth=2
	s_addk_i32 s24, 0x800
	s_cmp_ge_u32 s24, s8
	s_cbranch_scc1 .LBB66_20
.LBB66_10:                              ;   Parent Loop BB66_7 Depth=1
                                        ; =>  This Inner Loop Header: Depth=2
	v_add_u32_e32 v62, s24, v60
	v_mov_b64_e32 v[32:33], 0
	v_cmp_gt_u32_e32 vcc, s8, v62
	v_add_u32_e32 v63, 0x400, v62
	v_mov_b64_e32 v[40:41], v[32:33]
	v_mov_b64_e32 v[42:43], v[32:33]
	;; [unrolled: 1-line block ×8, first 2 shown]
	s_and_saveexec_b64 s[18:19], vcc
	s_cbranch_execz .LBB66_14
; %bb.11:                               ;   in Loop: Header=BB66_10 Depth=2
	v_add_u32_e32 v58, v62, v57
	s_waitcnt lgkmcnt(0)
	v_lshl_add_u64 v[34:35], s[12:13], 0, v[58:59]
	v_lshl_add_u64 v[34:35], v[34:35], 0, s[6:7]
	global_load_dwordx4 v[48:51], v58, s[12:13] nt
	global_load_dwordx4 v[36:39], v[34:35], off nt
	v_mov_b64_e32 v[46:47], 0
	v_cmp_gt_u32_e64 s[4:5], s8, v63
	v_mov_b64_e32 v[44:45], v[46:47]
	v_mov_b64_e32 v[42:43], v[46:47]
	;; [unrolled: 1-line block ×3, first 2 shown]
	s_and_saveexec_b64 s[20:21], s[4:5]
	s_cbranch_execz .LBB66_13
; %bb.12:                               ;   in Loop: Header=BB66_10 Depth=2
	v_add_u32_e32 v58, v63, v57
	v_lshl_add_u64 v[34:35], s[12:13], 0, v[58:59]
	v_lshl_add_u64 v[34:35], v[34:35], 0, s[6:7]
	global_load_dwordx4 v[44:47], v58, s[12:13] nt
	global_load_dwordx4 v[40:43], v[34:35], off nt
.LBB66_13:                              ;   in Loop: Header=BB66_10 Depth=2
	s_or_b64 exec, exec, s[20:21]
.LBB66_14:                              ;   in Loop: Header=BB66_10 Depth=2
	s_or_b64 exec, exec, s[18:19]
	v_mov_b64_e32 v[34:35], v[32:33]
	v_mov_b64_e32 v[52:53], v[32:33]
	;; [unrolled: 1-line block ×3, first 2 shown]
	s_and_saveexec_b64 s[4:5], vcc
	s_cbranch_execz .LBB66_18
; %bb.15:                               ;   in Loop: Header=BB66_10 Depth=2
	ds_read_b128 v[52:55], v62
	v_mov_b64_e32 v[34:35], 0
	v_cmp_gt_u32_e32 vcc, s8, v63
	v_mov_b64_e32 v[32:33], v[34:35]
	s_and_saveexec_b64 s[18:19], vcc
	s_cbranch_execz .LBB66_17
; %bb.16:                               ;   in Loop: Header=BB66_10 Depth=2
	ds_read_b128 v[32:35], v62 offset:1024
.LBB66_17:                              ;   in Loop: Header=BB66_10 Depth=2
	s_or_b64 exec, exec, s[18:19]
.LBB66_18:                              ;   in Loop: Header=BB66_10 Depth=2
	s_or_b64 exec, exec, s[4:5]
	s_waitcnt vmcnt(1) lgkmcnt(0)
	v_mfma_f32_32x32x16_fp8_fp8 v[16:31], v[52:53], v[48:49], v[16:31]
	s_or_b32 s4, s24, 0x400
	s_cmp_ge_u32 s4, s8
	s_waitcnt vmcnt(0)
	v_mfma_f32_32x32x16_fp8_fp8 v[0:15], v[52:53], v[36:37], v[0:15]
	v_mfma_f32_32x32x16_fp8_fp8 v[16:31], v[54:55], v[50:51], v[16:31]
	;; [unrolled: 1-line block ×3, first 2 shown]
	s_cbranch_scc1 .LBB66_9
; %bb.19:                               ;   in Loop: Header=BB66_10 Depth=2
	v_mfma_f32_32x32x16_fp8_fp8 v[16:31], v[32:33], v[44:45], v[16:31]
	v_mfma_f32_32x32x16_fp8_fp8 v[0:15], v[32:33], v[40:41], v[0:15]
	;; [unrolled: 1-line block ×4, first 2 shown]
	s_branch .LBB66_9
.LBB66_20:                              ;   in Loop: Header=BB66_7 Depth=1
	;;#ASMSTART
	v_add_f32 v24, v25, v24 row_shl:1 bound_ctrl:0 
	;;#ASMEND
	;;#ASMSTART
	v_add_f32 v8, v9, v8 row_shl:1 bound_ctrl:0 
	;;#ASMEND
	;;#ASMSTART
	v_add_f32 v16, v17, v16 row_shl:1 bound_ctrl:0 
	;;#ASMEND
	;;#ASMSTART
	v_add_f32 v0, v1, v0 row_shl:1 bound_ctrl:0 
	;;#ASMEND
	s_nop 0
	;;#ASMSTART
	v_add_f32 v24, v26, v24 row_shl:2 bound_ctrl:0 
	;;#ASMEND
	;;#ASMSTART
	v_add_f32 v8, v10, v8 row_shl:2 bound_ctrl:0 
	;;#ASMEND
	;;#ASMSTART
	v_add_f32 v16, v18, v16 row_shl:2 bound_ctrl:0 
	;;#ASMEND
	;;#ASMSTART
	v_add_f32 v0, v2, v0 row_shl:2 bound_ctrl:0 
	;;#ASMEND
	s_nop 0
	;; [unrolled: 13-line block ×6, first 2 shown]
	;;#ASMSTART
	v_add_f32 v24, v31, v24 row_shl:11 bound_ctrl:0 
	;;#ASMEND
	ds_bpermute_b32 v18, v61, v24 offset:208
	;;#ASMSTART
	v_add_f32 v8, v15, v8 row_shl:11 bound_ctrl:0 
	;;#ASMEND
	ds_bpermute_b32 v2, v61, v8 offset:208
	;; [unrolled: 4-line block ×3, first 2 shown]
	s_waitcnt lgkmcnt(0)
	v_add_f32_e32 v18, v24, v18
	ds_bpermute_b32 v18, v61, v18 offset:64
	v_add_f32_e32 v2, v8, v2
	;;#ASMSTART
	v_add_f32 v0, v7, v0 row_shl:11 bound_ctrl:0 
	;;#ASMEND
	ds_bpermute_b32 v1, v61, v0 offset:144
	ds_bpermute_b32 v2, v61, v2 offset:64
	s_and_saveexec_b64 s[4:5], s[0:1]
	s_cbranch_execz .LBB66_6
; %bb.21:                               ;   in Loop: Header=BB66_7 Depth=1
	s_waitcnt lgkmcnt(1)
	v_add_f32_e32 v0, v0, v1
	s_waitcnt lgkmcnt(0)
	v_add_f32_e32 v2, v0, v2
	v_add_f32_e32 v0, v16, v17
	;; [unrolled: 1-line block ×3, first 2 shown]
	v_mul_f32_e32 v0, s11, v0
	v_fma_mixlo_f16 v3, s22, v0, 0
	v_mov_b32_e32 v57, v59
	v_mul_f32_e32 v2, s11, v2
	v_lshl_add_u64 v[0:1], v[56:57], 1, s[14:15]
	v_fma_mixhi_f16 v3, s22, v2, 0
	global_store_dword v[0:1], v3, off
	s_branch .LBB66_6
.LBB66_22:
	s_endpgm
	.section	.rodata,"a",@progbits
	.p2align	6, 0x0
	.amdhsa_kernel _ZN5aiter17wvSplitKQ_hf_sml_I6__halfhLi64ELi2ELi16ELi16ELi2ELi1EEEviiiPKT0_S4_PT_PKfS8_ii
		.amdhsa_group_segment_fixed_size 65536
		.amdhsa_private_segment_fixed_size 0
		.amdhsa_kernarg_size 64
		.amdhsa_user_sgpr_count 2
		.amdhsa_user_sgpr_dispatch_ptr 0
		.amdhsa_user_sgpr_queue_ptr 0
		.amdhsa_user_sgpr_kernarg_segment_ptr 1
		.amdhsa_user_sgpr_dispatch_id 0
		.amdhsa_user_sgpr_kernarg_preload_length 0
		.amdhsa_user_sgpr_kernarg_preload_offset 0
		.amdhsa_user_sgpr_private_segment_size 0
		.amdhsa_uses_dynamic_stack 0
		.amdhsa_enable_private_segment 0
		.amdhsa_system_sgpr_workgroup_id_x 1
		.amdhsa_system_sgpr_workgroup_id_y 0
		.amdhsa_system_sgpr_workgroup_id_z 0
		.amdhsa_system_sgpr_workgroup_info 0
		.amdhsa_system_vgpr_workitem_id 1
		.amdhsa_next_free_vgpr 64
		.amdhsa_next_free_sgpr 25
		.amdhsa_accum_offset 64
		.amdhsa_reserve_vcc 1
		.amdhsa_float_round_mode_32 0
		.amdhsa_float_round_mode_16_64 0
		.amdhsa_float_denorm_mode_32 3
		.amdhsa_float_denorm_mode_16_64 3
		.amdhsa_dx10_clamp 1
		.amdhsa_ieee_mode 1
		.amdhsa_fp16_overflow 0
		.amdhsa_tg_split 0
		.amdhsa_exception_fp_ieee_invalid_op 0
		.amdhsa_exception_fp_denorm_src 0
		.amdhsa_exception_fp_ieee_div_zero 0
		.amdhsa_exception_fp_ieee_overflow 0
		.amdhsa_exception_fp_ieee_underflow 0
		.amdhsa_exception_fp_ieee_inexact 0
		.amdhsa_exception_int_div_zero 0
	.end_amdhsa_kernel
	.section	.text._ZN5aiter17wvSplitKQ_hf_sml_I6__halfhLi64ELi2ELi16ELi16ELi2ELi1EEEviiiPKT0_S4_PT_PKfS8_ii,"axG",@progbits,_ZN5aiter17wvSplitKQ_hf_sml_I6__halfhLi64ELi2ELi16ELi16ELi2ELi1EEEviiiPKT0_S4_PT_PKfS8_ii,comdat
.Lfunc_end66:
	.size	_ZN5aiter17wvSplitKQ_hf_sml_I6__halfhLi64ELi2ELi16ELi16ELi2ELi1EEEviiiPKT0_S4_PT_PKfS8_ii, .Lfunc_end66-_ZN5aiter17wvSplitKQ_hf_sml_I6__halfhLi64ELi2ELi16ELi16ELi2ELi1EEEviiiPKT0_S4_PT_PKfS8_ii
                                        ; -- End function
	.section	.AMDGPU.csdata,"",@progbits
; Kernel info:
; codeLenInByte = 1348
; NumSgprs: 31
; NumVgprs: 64
; NumAgprs: 0
; TotalNumVgprs: 64
; ScratchSize: 0
; MemoryBound: 1
; FloatMode: 240
; IeeeMode: 1
; LDSByteSize: 65536 bytes/workgroup (compile time only)
; SGPRBlocks: 3
; VGPRBlocks: 7
; NumSGPRsForWavesPerEU: 31
; NumVGPRsForWavesPerEU: 64
; AccumOffset: 64
; Occupancy: 4
; WaveLimiterHint : 0
; COMPUTE_PGM_RSRC2:SCRATCH_EN: 0
; COMPUTE_PGM_RSRC2:USER_SGPR: 2
; COMPUTE_PGM_RSRC2:TRAP_HANDLER: 0
; COMPUTE_PGM_RSRC2:TGID_X_EN: 1
; COMPUTE_PGM_RSRC2:TGID_Y_EN: 0
; COMPUTE_PGM_RSRC2:TGID_Z_EN: 0
; COMPUTE_PGM_RSRC2:TIDIG_COMP_CNT: 1
; COMPUTE_PGM_RSRC3_GFX90A:ACCUM_OFFSET: 15
; COMPUTE_PGM_RSRC3_GFX90A:TG_SPLIT: 0
	.section	.text._ZN5aiter13wvSplitKQ_hf_I6__halfhLi64ELi2ELi16ELi16ELi2ELi1EEEviiiPKT0_S4_PT_PKfS8_ii,"axG",@progbits,_ZN5aiter13wvSplitKQ_hf_I6__halfhLi64ELi2ELi16ELi16ELi2ELi1EEEviiiPKT0_S4_PT_PKfS8_ii,comdat
	.protected	_ZN5aiter13wvSplitKQ_hf_I6__halfhLi64ELi2ELi16ELi16ELi2ELi1EEEviiiPKT0_S4_PT_PKfS8_ii ; -- Begin function _ZN5aiter13wvSplitKQ_hf_I6__halfhLi64ELi2ELi16ELi16ELi2ELi1EEEviiiPKT0_S4_PT_PKfS8_ii
	.globl	_ZN5aiter13wvSplitKQ_hf_I6__halfhLi64ELi2ELi16ELi16ELi2ELi1EEEviiiPKT0_S4_PT_PKfS8_ii
	.p2align	8
	.type	_ZN5aiter13wvSplitKQ_hf_I6__halfhLi64ELi2ELi16ELi16ELi2ELi1EEEviiiPKT0_S4_PT_PKfS8_ii,@function
_ZN5aiter13wvSplitKQ_hf_I6__halfhLi64ELi2ELi16ELi16ELi2ELi1EEEviiiPKT0_S4_PT_PKfS8_ii: ; @_ZN5aiter13wvSplitKQ_hf_I6__halfhLi64ELi2ELi16ELi16ELi2ELi1EEEviiiPKT0_S4_PT_PKfS8_ii
; %bb.0:
	s_load_dwordx4 s[12:15], s[0:1], 0x0
	s_load_dwordx2 s[10:11], s[0:1], 0x18
	s_load_dwordx4 s[4:7], s[0:1], 0x28
	v_bfe_u32 v1, v0, 10, 10
	v_and_b32_e32 v0, 0x3ff, v0
	v_lshlrev_b32_e32 v60, 4, v0
	v_lshl_add_u32 v2, v1, 10, v60
	s_waitcnt lgkmcnt(0)
	s_min_i32 s3, s12, 0x10000
	v_cmp_gt_u32_e32 vcc, s3, v2
	s_and_saveexec_b64 s[8:9], vcc
	s_cbranch_execz .LBB67_3
; %bb.1:
	s_mov_b64 s[16:17], 0
.LBB67_2:                               ; =>This Inner Loop Header: Depth=1
	global_load_dwordx4 v[4:7], v2, s[10:11]
	s_waitcnt vmcnt(0)
	ds_write_b128 v2, v[4:7]
	v_add_u32_e32 v2, 0x4000, v2
	v_cmp_le_u32_e32 vcc, s3, v2
	s_or_b64 s[16:17], vcc, s[16:17]
	s_andn2_b64 exec, exec, s[16:17]
	s_cbranch_execnz .LBB67_2
.LBB67_3:
	s_or_b64 exec, exec, s[8:9]
	s_load_dwordx2 s[8:9], s[0:1], 0x38
	s_waitcnt lgkmcnt(0)
	s_barrier
	v_cmp_gt_u32_e32 vcc, s8, v1
	s_and_saveexec_b64 s[16:17], vcc
	s_cbranch_execz .LBB67_36
; %bb.4:
	s_mul_i32 s2, s2, s8
	v_add_lshl_u32 v56, s2, v1, 1
	v_cmp_gt_u32_e32 vcc, s14, v56
	s_and_b64 exec, exec, vcc
	s_cbranch_execz .LBB67_36
; %bb.5:
	s_load_dword s15, s[4:5], 0x0
	s_load_dword s28, s[6:7], 0x0
	s_load_dwordx2 s[16:17], s[0:1], 0x10
	s_load_dwordx2 s[18:19], s[0:1], 0x20
	s_cmp_lg_u32 s12, 0
	s_cselect_b64 s[2:3], -1, 0
	v_cmp_eq_u32_e64 s[0:1], 0, v0
	v_cndmask_b32_e64 v0, 0, 1, s[2:3]
	v_cmp_ne_u32_e64 s[2:3], 1, v0
	v_mbcnt_lo_u32_b32 v0, -1, 0
	v_mbcnt_hi_u32_b32 v0, -1, v0
	s_mul_i32 s4, s8, s9
	v_lshlrev_b32_e32 v0, 2, v0
	s_lshl_b32 s29, s4, 1
	s_ashr_i32 s21, s13, 31
	s_mov_b32 s20, s13
	s_mov_b64 s[22:23], 0
	v_mov_b32_e32 v59, 0
	s_mov_b32 s30, 0xffff
	v_and_b32_e32 v61, 0x100, v0
                                        ; implicit-def: $vgpr40_vgpr41_vgpr42_vgpr43
                                        ; implicit-def: $vgpr44_vgpr45_vgpr46_vgpr47
                                        ; implicit-def: $vgpr32_vgpr33_vgpr34_vgpr35
                                        ; implicit-def: $vgpr36_vgpr37_vgpr38_vgpr39
                                        ; implicit-def: $vgpr50_vgpr51
                                        ; implicit-def: $vgpr54_vgpr55
	s_branch .LBB67_7
.LBB67_6:                               ;   in Loop: Header=BB67_7 Depth=1
	s_or_b64 exec, exec, s[4:5]
	v_add_u32_e32 v56, s29, v56
	v_cmp_le_u32_e32 vcc, s14, v56
	s_or_b64 s[22:23], vcc, s[22:23]
	s_andn2_b64 exec, exec, s[22:23]
	s_cbranch_execz .LBB67_36
.LBB67_7:                               ; =>This Loop Header: Depth=1
                                        ;     Child Loop BB67_11 Depth 2
	v_or_b32_e32 v62, 1, v56
	s_and_b64 vcc, exec, s[2:3]
	v_cmp_gt_u32_e64 s[4:5], s14, v62
	s_cbranch_vccnz .LBB67_32
; %bb.8:                                ;   in Loop: Header=BB67_7 Depth=1
	v_mov_b32_e32 v0, 0
	v_mul_lo_u32 v57, v56, s13
	s_mov_b32 s31, 0
	s_waitcnt lgkmcnt(0)
	v_mov_b32_e32 v1, v0
	v_mov_b32_e32 v2, v0
	;; [unrolled: 1-line block ×31, first 2 shown]
	s_branch .LBB67_11
.LBB67_9:                               ;   in Loop: Header=BB67_11 Depth=2
	s_or_b64 exec, exec, s[8:9]
.LBB67_10:                              ;   in Loop: Header=BB67_11 Depth=2
	s_or_b64 exec, exec, s[6:7]
	s_addk_i32 s31, 0x800
	s_cmp_ge_u32 s31, s12
	s_cbranch_scc1 .LBB67_33
.LBB67_11:                              ;   Parent Loop BB67_7 Depth=1
                                        ; =>  This Inner Loop Header: Depth=2
	v_add_u32_e32 v63, s31, v60
	v_cmp_gt_u32_e32 vcc, s12, v63
	s_and_saveexec_b64 s[24:25], vcc
	s_cbranch_execz .LBB67_29
; %bb.12:                               ;   in Loop: Header=BB67_11 Depth=2
	v_add_u32_e32 v58, v63, v57
	s_waitcnt lgkmcnt(0)
	global_load_dwordx4 v[36:39], v58, s[16:17] nt
	s_and_saveexec_b64 s[6:7], s[4:5]
	s_cbranch_execz .LBB67_14
; %bb.13:                               ;   in Loop: Header=BB67_11 Depth=2
	s_waitcnt vmcnt(1)
	v_lshl_add_u64 v[44:45], s[16:17], 0, v[58:59]
	v_lshl_add_u64 v[44:45], v[44:45], 0, s[20:21]
	global_load_dwordx4 v[44:47], v[44:45], off nt
.LBB67_14:                              ;   in Loop: Header=BB67_11 Depth=2
	s_or_b64 exec, exec, s[6:7]
	v_add_u32_e32 v64, 0x400, v63
	v_cmp_gt_u32_e64 s[6:7], s12, v64
	s_and_saveexec_b64 s[8:9], s[6:7]
	s_cbranch_execz .LBB67_18
; %bb.15:                               ;   in Loop: Header=BB67_11 Depth=2
	v_add_u32_e32 v58, v64, v57
	global_load_dwordx4 v[32:35], v58, s[16:17] nt
	s_and_saveexec_b64 s[26:27], s[4:5]
	s_cbranch_execz .LBB67_17
; %bb.16:                               ;   in Loop: Header=BB67_11 Depth=2
	s_waitcnt vmcnt(2)
	v_lshl_add_u64 v[40:41], s[16:17], 0, v[58:59]
	v_lshl_add_u64 v[40:41], v[40:41], 0, s[20:21]
	global_load_dwordx4 v[40:43], v[40:41], off nt
.LBB67_17:                              ;   in Loop: Header=BB67_11 Depth=2
	s_or_b64 exec, exec, s[26:27]
.LBB67_18:                              ;   in Loop: Header=BB67_11 Depth=2
	s_or_b64 exec, exec, s[8:9]
	v_cmp_lt_u32_e64 s[8:9], s30, v63
                                        ; implicit-def: $vgpr52_vgpr53
	s_and_saveexec_b64 s[26:27], s[8:9]
	s_xor_b64 s[8:9], exec, s[26:27]
	s_cbranch_execnz .LBB67_21
; %bb.19:                               ;   in Loop: Header=BB67_11 Depth=2
	s_andn2_saveexec_b64 s[8:9], s[8:9]
	s_cbranch_execnz .LBB67_22
.LBB67_20:                              ;   in Loop: Header=BB67_11 Depth=2
	s_or_b64 exec, exec, s[8:9]
	s_and_saveexec_b64 s[8:9], s[6:7]
	s_cbranch_execnz .LBB67_23
	s_branch .LBB67_28
.LBB67_21:                              ;   in Loop: Header=BB67_11 Depth=2
	global_load_dwordx4 v[52:55], v63, s[10:11]
	s_andn2_saveexec_b64 s[8:9], s[8:9]
	s_cbranch_execz .LBB67_20
.LBB67_22:                              ;   in Loop: Header=BB67_11 Depth=2
	s_waitcnt vmcnt(0)
	ds_read_b128 v[52:55], v63
	s_or_b64 exec, exec, s[8:9]
	s_and_saveexec_b64 s[8:9], s[6:7]
	s_cbranch_execz .LBB67_28
.LBB67_23:                              ;   in Loop: Header=BB67_11 Depth=2
	v_cmp_lt_u32_e64 s[6:7], s30, v64
                                        ; implicit-def: $vgpr48_vgpr49
	s_and_saveexec_b64 s[26:27], s[6:7]
	s_xor_b64 s[6:7], exec, s[26:27]
	s_cbranch_execz .LBB67_25
; %bb.24:                               ;   in Loop: Header=BB67_11 Depth=2
	global_load_dwordx4 v[48:51], v64, s[10:11]
.LBB67_25:                              ;   in Loop: Header=BB67_11 Depth=2
	s_andn2_saveexec_b64 s[6:7], s[6:7]
	s_cbranch_execz .LBB67_27
; %bb.26:                               ;   in Loop: Header=BB67_11 Depth=2
	s_waitcnt vmcnt(0)
	ds_read_b128 v[48:51], v63 offset:1024
.LBB67_27:                              ;   in Loop: Header=BB67_11 Depth=2
	s_or_b64 exec, exec, s[6:7]
.LBB67_28:                              ;   in Loop: Header=BB67_11 Depth=2
	s_or_b64 exec, exec, s[8:9]
.LBB67_29:                              ;   in Loop: Header=BB67_11 Depth=2
	s_or_b64 exec, exec, s[24:25]
	s_and_saveexec_b64 s[6:7], vcc
	s_cbranch_execz .LBB67_10
; %bb.30:                               ;   in Loop: Header=BB67_11 Depth=2
	s_waitcnt vmcnt(0) lgkmcnt(0)
	v_mfma_f32_32x32x16_fp8_fp8 v[16:31], v[52:53], v[36:37], v[16:31]
	v_add_u32_e32 v58, 0x400, v63
	v_cmp_gt_u32_e32 vcc, s12, v58
	v_mfma_f32_32x32x16_fp8_fp8 v[0:15], v[52:53], v[44:45], v[0:15]
	v_mfma_f32_32x32x16_fp8_fp8 v[16:31], v[54:55], v[38:39], v[16:31]
	;; [unrolled: 1-line block ×3, first 2 shown]
	s_and_saveexec_b64 s[8:9], vcc
	s_cbranch_execz .LBB67_9
; %bb.31:                               ;   in Loop: Header=BB67_11 Depth=2
	v_mfma_f32_32x32x16_fp8_fp8 v[16:31], v[48:49], v[32:33], v[16:31]
	v_mfma_f32_32x32x16_fp8_fp8 v[0:15], v[48:49], v[40:41], v[0:15]
	;; [unrolled: 1-line block ×4, first 2 shown]
	s_branch .LBB67_9
.LBB67_32:                              ;   in Loop: Header=BB67_7 Depth=1
	v_mov_b32_e32 v31, v59
	v_mov_b32_e32 v30, v59
	;; [unrolled: 1-line block ×13, first 2 shown]
	s_waitcnt lgkmcnt(0)
	v_mov_b32_e32 v18, v59
	v_mov_b32_e32 v17, v59
	;; [unrolled: 1-line block ×19, first 2 shown]
.LBB67_33:                              ;   in Loop: Header=BB67_7 Depth=1
	;;#ASMSTART
	v_add_f32 v24, v25, v24 row_shl:1 bound_ctrl:0 
	;;#ASMEND
	;;#ASMSTART
	v_add_f32 v8, v9, v8 row_shl:1 bound_ctrl:0 
	;;#ASMEND
	;;#ASMSTART
	v_add_f32 v16, v17, v16 row_shl:1 bound_ctrl:0 
	;;#ASMEND
	;;#ASMSTART
	v_add_f32 v0, v1, v0 row_shl:1 bound_ctrl:0 
	;;#ASMEND
	s_nop 0
	;;#ASMSTART
	v_add_f32 v24, v26, v24 row_shl:2 bound_ctrl:0 
	;;#ASMEND
	;;#ASMSTART
	v_add_f32 v8, v10, v8 row_shl:2 bound_ctrl:0 
	;;#ASMEND
	;;#ASMSTART
	v_add_f32 v16, v18, v16 row_shl:2 bound_ctrl:0 
	;;#ASMEND
	;;#ASMSTART
	v_add_f32 v0, v2, v0 row_shl:2 bound_ctrl:0 
	;;#ASMEND
	s_nop 0
	;; [unrolled: 13-line block ×6, first 2 shown]
	;;#ASMSTART
	v_add_f32 v24, v31, v24 row_shl:11 bound_ctrl:0 
	;;#ASMEND
	ds_bpermute_b32 v18, v61, v24 offset:208
	;;#ASMSTART
	v_add_f32 v8, v15, v8 row_shl:11 bound_ctrl:0 
	;;#ASMEND
	ds_bpermute_b32 v2, v61, v8 offset:208
	;; [unrolled: 4-line block ×3, first 2 shown]
	s_waitcnt lgkmcnt(0)
	v_add_f32_e32 v18, v24, v18
	ds_bpermute_b32 v18, v61, v18 offset:64
	v_add_f32_e32 v2, v8, v2
	;;#ASMSTART
	v_add_f32 v0, v7, v0 row_shl:11 bound_ctrl:0 
	;;#ASMEND
	ds_bpermute_b32 v1, v61, v0 offset:144
	ds_bpermute_b32 v4, v61, v2 offset:64
	s_and_saveexec_b64 s[4:5], s[0:1]
	s_cbranch_execz .LBB67_6
; %bb.34:                               ;   in Loop: Header=BB67_7 Depth=1
	v_add_f32_e32 v2, v16, v17
	s_waitcnt lgkmcnt(2)
	v_add_f32_e32 v2, v2, v18
	v_mul_f32_e32 v2, s15, v2
	v_mov_b32_e32 v57, v59
	v_fma_mixlo_f16 v5, s28, v2, 0
	v_lshl_add_u64 v[2:3], v[56:57], 1, s[18:19]
	v_cmp_gt_u32_e32 vcc, s14, v62
	global_store_short v[2:3], v5, off
	s_and_b64 exec, exec, vcc
	s_cbranch_execz .LBB67_6
; %bb.35:                               ;   in Loop: Header=BB67_7 Depth=1
	s_waitcnt lgkmcnt(1)
	v_add_f32_e32 v0, v0, v1
	s_waitcnt lgkmcnt(0)
	v_add_f32_e32 v0, v0, v4
	v_mul_f32_e32 v0, s15, v0
	v_fma_mixlo_f16 v0, s28, v0, 0
	global_store_short v[2:3], v0, off offset:2
	s_branch .LBB67_6
.LBB67_36:
	s_endpgm
	.section	.rodata,"a",@progbits
	.p2align	6, 0x0
	.amdhsa_kernel _ZN5aiter13wvSplitKQ_hf_I6__halfhLi64ELi2ELi16ELi16ELi2ELi1EEEviiiPKT0_S4_PT_PKfS8_ii
		.amdhsa_group_segment_fixed_size 65536
		.amdhsa_private_segment_fixed_size 0
		.amdhsa_kernarg_size 64
		.amdhsa_user_sgpr_count 2
		.amdhsa_user_sgpr_dispatch_ptr 0
		.amdhsa_user_sgpr_queue_ptr 0
		.amdhsa_user_sgpr_kernarg_segment_ptr 1
		.amdhsa_user_sgpr_dispatch_id 0
		.amdhsa_user_sgpr_kernarg_preload_length 0
		.amdhsa_user_sgpr_kernarg_preload_offset 0
		.amdhsa_user_sgpr_private_segment_size 0
		.amdhsa_uses_dynamic_stack 0
		.amdhsa_enable_private_segment 0
		.amdhsa_system_sgpr_workgroup_id_x 1
		.amdhsa_system_sgpr_workgroup_id_y 0
		.amdhsa_system_sgpr_workgroup_id_z 0
		.amdhsa_system_sgpr_workgroup_info 0
		.amdhsa_system_vgpr_workitem_id 1
		.amdhsa_next_free_vgpr 65
		.amdhsa_next_free_sgpr 32
		.amdhsa_accum_offset 68
		.amdhsa_reserve_vcc 1
		.amdhsa_float_round_mode_32 0
		.amdhsa_float_round_mode_16_64 0
		.amdhsa_float_denorm_mode_32 3
		.amdhsa_float_denorm_mode_16_64 3
		.amdhsa_dx10_clamp 1
		.amdhsa_ieee_mode 1
		.amdhsa_fp16_overflow 0
		.amdhsa_tg_split 0
		.amdhsa_exception_fp_ieee_invalid_op 0
		.amdhsa_exception_fp_denorm_src 0
		.amdhsa_exception_fp_ieee_div_zero 0
		.amdhsa_exception_fp_ieee_overflow 0
		.amdhsa_exception_fp_ieee_underflow 0
		.amdhsa_exception_fp_ieee_inexact 0
		.amdhsa_exception_int_div_zero 0
	.end_amdhsa_kernel
	.section	.text._ZN5aiter13wvSplitKQ_hf_I6__halfhLi64ELi2ELi16ELi16ELi2ELi1EEEviiiPKT0_S4_PT_PKfS8_ii,"axG",@progbits,_ZN5aiter13wvSplitKQ_hf_I6__halfhLi64ELi2ELi16ELi16ELi2ELi1EEEviiiPKT0_S4_PT_PKfS8_ii,comdat
.Lfunc_end67:
	.size	_ZN5aiter13wvSplitKQ_hf_I6__halfhLi64ELi2ELi16ELi16ELi2ELi1EEEviiiPKT0_S4_PT_PKfS8_ii, .Lfunc_end67-_ZN5aiter13wvSplitKQ_hf_I6__halfhLi64ELi2ELi16ELi16ELi2ELi1EEEviiiPKT0_S4_PT_PKfS8_ii
                                        ; -- End function
	.section	.AMDGPU.csdata,"",@progbits
; Kernel info:
; codeLenInByte = 1464
; NumSgprs: 38
; NumVgprs: 65
; NumAgprs: 0
; TotalNumVgprs: 65
; ScratchSize: 0
; MemoryBound: 1
; FloatMode: 240
; IeeeMode: 1
; LDSByteSize: 65536 bytes/workgroup (compile time only)
; SGPRBlocks: 4
; VGPRBlocks: 8
; NumSGPRsForWavesPerEU: 38
; NumVGPRsForWavesPerEU: 65
; AccumOffset: 68
; Occupancy: 4
; WaveLimiterHint : 0
; COMPUTE_PGM_RSRC2:SCRATCH_EN: 0
; COMPUTE_PGM_RSRC2:USER_SGPR: 2
; COMPUTE_PGM_RSRC2:TRAP_HANDLER: 0
; COMPUTE_PGM_RSRC2:TGID_X_EN: 1
; COMPUTE_PGM_RSRC2:TGID_Y_EN: 0
; COMPUTE_PGM_RSRC2:TGID_Z_EN: 0
; COMPUTE_PGM_RSRC2:TIDIG_COMP_CNT: 1
; COMPUTE_PGM_RSRC3_GFX90A:ACCUM_OFFSET: 16
; COMPUTE_PGM_RSRC3_GFX90A:TG_SPLIT: 0
	.section	.text._ZN5aiter17wvSplitKQ_hf_sml_I6__halfhLi64ELi2ELi16ELi16ELi2ELi2EEEviiiPKT0_S4_PT_PKfS8_ii,"axG",@progbits,_ZN5aiter17wvSplitKQ_hf_sml_I6__halfhLi64ELi2ELi16ELi16ELi2ELi2EEEviiiPKT0_S4_PT_PKfS8_ii,comdat
	.protected	_ZN5aiter17wvSplitKQ_hf_sml_I6__halfhLi64ELi2ELi16ELi16ELi2ELi2EEEviiiPKT0_S4_PT_PKfS8_ii ; -- Begin function _ZN5aiter17wvSplitKQ_hf_sml_I6__halfhLi64ELi2ELi16ELi16ELi2ELi2EEEviiiPKT0_S4_PT_PKfS8_ii
	.globl	_ZN5aiter17wvSplitKQ_hf_sml_I6__halfhLi64ELi2ELi16ELi16ELi2ELi2EEEviiiPKT0_S4_PT_PKfS8_ii
	.p2align	8
	.type	_ZN5aiter17wvSplitKQ_hf_sml_I6__halfhLi64ELi2ELi16ELi16ELi2ELi2EEEviiiPKT0_S4_PT_PKfS8_ii,@function
_ZN5aiter17wvSplitKQ_hf_sml_I6__halfhLi64ELi2ELi16ELi16ELi2ELi2EEEviiiPKT0_S4_PT_PKfS8_ii: ; @_ZN5aiter17wvSplitKQ_hf_sml_I6__halfhLi64ELi2ELi16ELi16ELi2ELi2EEEviiiPKT0_S4_PT_PKfS8_ii
; %bb.0:
	s_load_dwordx4 s[8:11], s[0:1], 0x0
	s_load_dwordx4 s[4:7], s[0:1], 0x28
	v_bfe_u32 v1, v0, 10, 10
	v_and_b32_e32 v0, 0x3ff, v0
	v_lshlrev_b32_e32 v100, 4, v0
	s_waitcnt lgkmcnt(0)
	s_lshl_b32 s3, s8, 1
	v_lshl_add_u32 v2, v1, 10, v100
	s_min_i32 s3, s3, 0x10000
	v_cmp_gt_u32_e32 vcc, s3, v2
	s_and_saveexec_b64 s[12:13], vcc
	s_cbranch_execz .LBB68_3
; %bb.1:
	s_load_dwordx2 s[14:15], s[0:1], 0x18
	s_mov_b64 s[16:17], 0
.LBB68_2:                               ; =>This Inner Loop Header: Depth=1
	s_waitcnt lgkmcnt(0)
	global_load_dwordx4 v[4:7], v2, s[14:15]
	s_waitcnt vmcnt(0)
	ds_write_b128 v2, v[4:7]
	v_add_u32_e32 v2, 0x4000, v2
	v_cmp_le_u32_e32 vcc, s3, v2
	s_or_b64 s[16:17], vcc, s[16:17]
	s_andn2_b64 exec, exec, s[16:17]
	s_cbranch_execnz .LBB68_2
.LBB68_3:
	s_or_b64 exec, exec, s[12:13]
	s_load_dwordx2 s[16:17], s[0:1], 0x38
	s_waitcnt lgkmcnt(0)
	s_barrier
	v_cmp_gt_u32_e32 vcc, s16, v1
	s_and_saveexec_b64 s[12:13], vcc
	s_cbranch_execz .LBB68_23
; %bb.4:
	s_mul_i32 s2, s2, s16
	v_add_u32_e32 v1, s2, v1
	v_lshlrev_b32_e32 v96, 1, v1
	v_cmp_gt_u32_e32 vcc, s10, v96
	s_and_b64 exec, exec, vcc
	s_cbranch_execz .LBB68_23
; %bb.5:
	s_load_dword s11, s[4:5], 0x0
	s_load_dword s22, s[6:7], 0x0
	s_load_dwordx2 s[12:13], s[0:1], 0x10
	s_load_dwordx2 s[14:15], s[0:1], 0x20
	s_cmp_lg_u32 s8, 0
	v_cmp_eq_u32_e64 s[0:1], 0, v0
	s_cselect_b64 s[2:3], -1, 0
	v_mul_lo_u32 v0, s9, v1
	v_lshl_add_u32 v102, v0, 1, v100
	v_cndmask_b32_e64 v0, 0, 1, s[2:3]
	v_cmp_ne_u32_e64 s[2:3], 1, v0
	v_mbcnt_lo_u32_b32 v0, -1, 0
	s_mul_i32 s4, s16, s17
	v_mbcnt_hi_u32_b32 v0, -1, v0
	s_lshl_b32 s23, s4, 1
	s_mul_i32 s4, s4, s9
	v_lshlrev_b32_e32 v0, 2, v0
	s_mov_b32 s7, 0
	s_mov_b32 s6, s9
	v_add_u32_e32 v101, s8, v100
	s_lshl_b32 s9, s4, 1
	s_mov_b64 s[16:17], 0
	v_mov_b32_e32 v99, 0
	v_and_b32_e32 v103, 0x100, v0
	s_branch .LBB68_7
.LBB68_6:                               ;   in Loop: Header=BB68_7 Depth=1
	s_or_b64 exec, exec, s[4:5]
	v_add_u32_e32 v96, s23, v96
	v_cmp_le_u32_e32 vcc, s10, v96
	s_or_b64 s[16:17], vcc, s[16:17]
	v_add_u32_e32 v102, s9, v102
	s_andn2_b64 exec, exec, s[16:17]
	s_cbranch_execz .LBB68_23
.LBB68_7:                               ; =>This Loop Header: Depth=1
                                        ;     Child Loop BB68_9 Depth 2
	s_and_b64 vcc, exec, s[2:3]
	v_mov_b32_e32 v15, v99
	v_mov_b32_e32 v14, v99
	;; [unrolled: 1-line block ×7, first 2 shown]
	s_waitcnt lgkmcnt(0)
	v_mov_b32_e32 v8, v99
	v_mov_b32_e32 v7, v99
	;; [unrolled: 1-line block ×57, first 2 shown]
	s_cbranch_vccnz .LBB68_21
; %bb.8:                                ;   in Loop: Header=BB68_7 Depth=1
	v_mov_b32_e32 v32, 0
	s_movk_i32 s24, 0x400
	v_mov_b32_e32 v33, v32
	v_mov_b32_e32 v34, v32
	;; [unrolled: 1-line block ×63, first 2 shown]
.LBB68_9:                               ;   Parent Loop BB68_7 Depth=1
                                        ; =>  This Inner Loop Header: Depth=2
	v_add_u32_e32 v97, s24, v100
	v_add_u32_e32 v104, 0xfffffc00, v97
	v_mov_b64_e32 v[64:65], 0
	v_cmp_gt_u32_e32 vcc, s8, v104
	v_mov_b64_e32 v[68:69], v[64:65]
	v_mov_b64_e32 v[70:71], v[64:65]
	;; [unrolled: 1-line block ×8, first 2 shown]
	s_and_saveexec_b64 s[18:19], vcc
	s_cbranch_execz .LBB68_13
; %bb.10:                               ;   in Loop: Header=BB68_9 Depth=2
	v_add_u32_e32 v66, s24, v102
	v_add_u32_e32 v98, 0xfffffc00, v66
	s_waitcnt lgkmcnt(0)
	v_lshl_add_u64 v[68:69], s[12:13], 0, v[98:99]
	v_lshl_add_u64 v[68:69], v[68:69], 0, s[6:7]
	global_load_dwordx4 v[80:83], v98, s[12:13] nt
	global_load_dwordx4 v[76:79], v[68:69], off nt
	v_mov_b64_e32 v[74:75], 0
	v_cmp_gt_u32_e64 s[4:5], s8, v97
	v_mov_b64_e32 v[72:73], v[74:75]
	v_mov_b64_e32 v[70:71], v[74:75]
	;; [unrolled: 1-line block ×3, first 2 shown]
	s_and_saveexec_b64 s[20:21], s[4:5]
	s_cbranch_execz .LBB68_12
; %bb.11:                               ;   in Loop: Header=BB68_9 Depth=2
	v_mov_b32_e32 v67, v99
	v_lshl_add_u64 v[68:69], s[12:13], 0, v[66:67]
	v_lshl_add_u64 v[68:69], v[68:69], 0, s[6:7]
	global_load_dwordx4 v[72:75], v66, s[12:13] nt
	s_nop 0
	global_load_dwordx4 v[68:71], v[68:69], off nt
.LBB68_12:                              ;   in Loop: Header=BB68_9 Depth=2
	s_or_b64 exec, exec, s[20:21]
.LBB68_13:                              ;   in Loop: Header=BB68_9 Depth=2
	s_or_b64 exec, exec, s[18:19]
	v_mov_b64_e32 v[66:67], v[64:65]
	v_mov_b64_e32 v[88:89], v[64:65]
	;; [unrolled: 1-line block ×7, first 2 shown]
	s_and_saveexec_b64 s[4:5], vcc
	s_cbranch_execz .LBB68_17
; %bb.14:                               ;   in Loop: Header=BB68_9 Depth=2
	v_add_u32_e32 v98, s24, v101
	v_add_u32_e32 v64, 0xfffffc00, v98
	ds_read_b128 v[92:95], v104
	ds_read_b128 v[88:91], v64
	v_mov_b64_e32 v[86:87], 0
	v_cmp_gt_u32_e32 vcc, s8, v97
	v_mov_b64_e32 v[84:85], v[86:87]
	v_mov_b64_e32 v[66:67], v[86:87]
	v_mov_b64_e32 v[64:65], v[86:87]
	s_and_saveexec_b64 s[18:19], vcc
	s_cbranch_execz .LBB68_16
; %bb.15:                               ;   in Loop: Header=BB68_9 Depth=2
	ds_read_b128 v[84:87], v97
	ds_read_b128 v[64:67], v98
.LBB68_16:                              ;   in Loop: Header=BB68_9 Depth=2
	s_or_b64 exec, exec, s[18:19]
.LBB68_17:                              ;   in Loop: Header=BB68_9 Depth=2
	s_or_b64 exec, exec, s[4:5]
	s_waitcnt vmcnt(1) lgkmcnt(0)
	v_mfma_f32_32x32x16_fp8_fp8 v[0:15], v[92:93], v[80:81], v[0:15]
	s_cmp_ge_u32 s24, s8
	s_waitcnt vmcnt(0)
	v_mfma_f32_32x32x16_fp8_fp8 v[16:31], v[92:93], v[76:77], v[16:31]
	v_mfma_f32_32x32x16_fp8_fp8 v[48:63], v[88:89], v[80:81], v[48:63]
	;; [unrolled: 1-line block ×7, first 2 shown]
	s_cbranch_scc1 .LBB68_19
; %bb.18:                               ;   in Loop: Header=BB68_9 Depth=2
	v_mfma_f32_32x32x16_fp8_fp8 v[0:15], v[84:85], v[72:73], v[0:15]
	v_mfma_f32_32x32x16_fp8_fp8 v[16:31], v[84:85], v[68:69], v[16:31]
	;; [unrolled: 1-line block ×8, first 2 shown]
.LBB68_19:                              ;   in Loop: Header=BB68_9 Depth=2
	s_add_i32 s4, s24, 0x800
	s_add_i32 s5, s24, 0x400
	s_cmp_ge_u32 s5, s8
	s_cbranch_scc1 .LBB68_21
; %bb.20:                               ;   in Loop: Header=BB68_9 Depth=2
	s_mov_b32 s24, s4
	s_branch .LBB68_9
.LBB68_21:                              ;   in Loop: Header=BB68_7 Depth=1
	;;#ASMSTART
	v_add_f32 v8, v9, v8 row_shl:1 bound_ctrl:0 
	;;#ASMEND
	;;#ASMSTART
	v_add_f32 v0, v1, v0 row_shl:1 bound_ctrl:0 
	;;#ASMEND
	;;#ASMSTART
	v_add_f32 v24, v25, v24 row_shl:1 bound_ctrl:0 
	;;#ASMEND
	;;#ASMSTART
	v_add_f32 v56, v57, v56 row_shl:1 bound_ctrl:0 
	;;#ASMEND
	;;#ASMSTART
	v_add_f32 v40, v41, v40 row_shl:1 bound_ctrl:0 
	;;#ASMEND
	;;#ASMSTART
	v_add_f32 v16, v17, v16 row_shl:1 bound_ctrl:0 
	;;#ASMEND
	s_nop 0
	;;#ASMSTART
	v_add_f32 v8, v10, v8 row_shl:2 bound_ctrl:0 
	;;#ASMEND
	;;#ASMSTART
	v_add_f32 v0, v2, v0 row_shl:2 bound_ctrl:0 
	;;#ASMEND
	;;#ASMSTART
	v_add_f32 v24, v26, v24 row_shl:2 bound_ctrl:0 
	;;#ASMEND
	;;#ASMSTART
	v_add_f32 v56, v58, v56 row_shl:2 bound_ctrl:0 
	;;#ASMEND
	;;#ASMSTART
	v_add_f32 v40, v42, v40 row_shl:2 bound_ctrl:0 
	;;#ASMEND
	;;#ASMSTART
	v_add_f32 v48, v49, v48 row_shl:1 bound_ctrl:0 
	;;#ASMEND
	s_nop 0
	;; [unrolled: 19-line block ×6, first 2 shown]
	;;#ASMSTART
	v_add_f32 v8, v15, v8 row_shl:11 bound_ctrl:0 
	;;#ASMEND
	ds_bpermute_b32 v2, v103, v8 offset:208
	;;#ASMSTART
	v_add_f32 v24, v31, v24 row_shl:11 bound_ctrl:0 
	;;#ASMEND
	ds_bpermute_b32 v4, v103, v24 offset:208
	;; [unrolled: 4-line block ×3, first 2 shown]
	s_waitcnt lgkmcnt(0)
	v_add_f32_e32 v2, v8, v2
	;;#ASMSTART
	v_add_f32 v40, v47, v40 row_shl:11 bound_ctrl:0 
	;;#ASMEND
	ds_bpermute_b32 v8, v103, v40 offset:208
	;;#ASMSTART
	v_add_f32 v16, v19, v16 row_shl:3 bound_ctrl:0 
	;;#ASMEND
	;;#ASMSTART
	v_add_f32 v48, v51, v48 row_shl:3 bound_ctrl:0 
	;;#ASMEND
	;; [unrolled: 3-line block ×3, first 2 shown]
	v_add_f32_e32 v4, v24, v4
	;;#ASMSTART
	v_add_f32 v16, v20, v16 row_shl:8 bound_ctrl:0 
	;;#ASMEND
	;;#ASMSTART
	v_add_f32 v48, v52, v48 row_shl:8 bound_ctrl:0 
	;;#ASMEND
	;; [unrolled: 3-line block ×3, first 2 shown]
	v_add_f32_e32 v6, v56, v6
	;;#ASMSTART
	v_add_f32 v16, v21, v16 row_shl:9 bound_ctrl:0 
	;;#ASMEND
	;;#ASMSTART
	v_add_f32 v48, v53, v48 row_shl:9 bound_ctrl:0 
	;;#ASMEND
	;; [unrolled: 3-line block ×3, first 2 shown]
	s_waitcnt lgkmcnt(0)
	v_add_f32_e32 v8, v40, v8
	;;#ASMSTART
	v_add_f32 v16, v22, v16 row_shl:10 bound_ctrl:0 
	;;#ASMEND
	;;#ASMSTART
	v_add_f32 v48, v54, v48 row_shl:10 bound_ctrl:0 
	;;#ASMEND
	;; [unrolled: 3-line block ×4, first 2 shown]
	ds_bpermute_b32 v1, v103, v0 offset:144
	ds_bpermute_b32 v2, v103, v2 offset:64
	;;#ASMSTART
	v_add_f32 v16, v23, v16 row_shl:11 bound_ctrl:0 
	;;#ASMEND
	ds_bpermute_b32 v3, v103, v16 offset:144
	ds_bpermute_b32 v4, v103, v4 offset:64
	;;#ASMSTART
	v_add_f32 v48, v55, v48 row_shl:11 bound_ctrl:0 
	;;#ASMEND
	;; [unrolled: 5-line block ×3, first 2 shown]
	ds_bpermute_b32 v7, v103, v32 offset:144
	ds_bpermute_b32 v8, v103, v8 offset:64
	s_and_saveexec_b64 s[4:5], s[0:1]
	s_cbranch_execz .LBB68_6
; %bb.22:                               ;   in Loop: Header=BB68_7 Depth=1
	s_waitcnt lgkmcnt(7)
	v_add_f32_e32 v0, v0, v1
	s_waitcnt lgkmcnt(5)
	v_add_f32_e32 v3, v16, v3
	v_add_f32_e32 v0, v0, v2
	s_waitcnt lgkmcnt(4)
	v_add_f32_e32 v3, v3, v4
	v_mul_f32_e32 v0, s11, v0
	s_waitcnt lgkmcnt(3)
	v_add_f32_e32 v5, v48, v5
	v_fma_mixlo_f16 v2, s22, v0, 0
	v_mov_b32_e32 v97, v99
	v_mul_f32_e32 v3, s11, v3
	s_waitcnt lgkmcnt(2)
	v_add_f32_e32 v5, v5, v6
	v_lshl_add_u64 v[0:1], v[96:97], 1, s[14:15]
	v_fma_mixhi_f16 v2, s22, v3, 0
	s_waitcnt lgkmcnt(1)
	v_add_f32_e32 v7, v32, v7
	global_store_dword v[0:1], v2, off
	v_add_u32_e32 v98, s10, v96
	v_mul_f32_e32 v0, s11, v5
	s_waitcnt lgkmcnt(0)
	v_add_f32_e32 v7, v7, v8
	v_fma_mixlo_f16 v2, s22, v0, 0
	v_lshl_add_u64 v[0:1], v[98:99], 1, s[14:15]
	global_store_short v[0:1], v2, off
	v_mul_f32_e32 v0, s11, v7
	v_add_u32_e32 v98, 1, v98
	v_fma_mixlo_f16 v2, s22, v0, 0
	v_lshl_add_u64 v[0:1], v[98:99], 1, s[14:15]
	global_store_short v[0:1], v2, off
	s_branch .LBB68_6
.LBB68_23:
	s_endpgm
	.section	.rodata,"a",@progbits
	.p2align	6, 0x0
	.amdhsa_kernel _ZN5aiter17wvSplitKQ_hf_sml_I6__halfhLi64ELi2ELi16ELi16ELi2ELi2EEEviiiPKT0_S4_PT_PKfS8_ii
		.amdhsa_group_segment_fixed_size 65536
		.amdhsa_private_segment_fixed_size 0
		.amdhsa_kernarg_size 64
		.amdhsa_user_sgpr_count 2
		.amdhsa_user_sgpr_dispatch_ptr 0
		.amdhsa_user_sgpr_queue_ptr 0
		.amdhsa_user_sgpr_kernarg_segment_ptr 1
		.amdhsa_user_sgpr_dispatch_id 0
		.amdhsa_user_sgpr_kernarg_preload_length 0
		.amdhsa_user_sgpr_kernarg_preload_offset 0
		.amdhsa_user_sgpr_private_segment_size 0
		.amdhsa_uses_dynamic_stack 0
		.amdhsa_enable_private_segment 0
		.amdhsa_system_sgpr_workgroup_id_x 1
		.amdhsa_system_sgpr_workgroup_id_y 0
		.amdhsa_system_sgpr_workgroup_id_z 0
		.amdhsa_system_sgpr_workgroup_info 0
		.amdhsa_system_vgpr_workitem_id 1
		.amdhsa_next_free_vgpr 105
		.amdhsa_next_free_sgpr 25
		.amdhsa_accum_offset 108
		.amdhsa_reserve_vcc 1
		.amdhsa_float_round_mode_32 0
		.amdhsa_float_round_mode_16_64 0
		.amdhsa_float_denorm_mode_32 3
		.amdhsa_float_denorm_mode_16_64 3
		.amdhsa_dx10_clamp 1
		.amdhsa_ieee_mode 1
		.amdhsa_fp16_overflow 0
		.amdhsa_tg_split 0
		.amdhsa_exception_fp_ieee_invalid_op 0
		.amdhsa_exception_fp_denorm_src 0
		.amdhsa_exception_fp_ieee_div_zero 0
		.amdhsa_exception_fp_ieee_overflow 0
		.amdhsa_exception_fp_ieee_underflow 0
		.amdhsa_exception_fp_ieee_inexact 0
		.amdhsa_exception_int_div_zero 0
	.end_amdhsa_kernel
	.section	.text._ZN5aiter17wvSplitKQ_hf_sml_I6__halfhLi64ELi2ELi16ELi16ELi2ELi2EEEviiiPKT0_S4_PT_PKfS8_ii,"axG",@progbits,_ZN5aiter17wvSplitKQ_hf_sml_I6__halfhLi64ELi2ELi16ELi16ELi2ELi2EEEviiiPKT0_S4_PT_PKfS8_ii,comdat
.Lfunc_end68:
	.size	_ZN5aiter17wvSplitKQ_hf_sml_I6__halfhLi64ELi2ELi16ELi16ELi2ELi2EEEviiiPKT0_S4_PT_PKfS8_ii, .Lfunc_end68-_ZN5aiter17wvSplitKQ_hf_sml_I6__halfhLi64ELi2ELi16ELi16ELi2ELi2EEEviiiPKT0_S4_PT_PKfS8_ii
                                        ; -- End function
	.section	.AMDGPU.csdata,"",@progbits
; Kernel info:
; codeLenInByte = 2148
; NumSgprs: 31
; NumVgprs: 105
; NumAgprs: 0
; TotalNumVgprs: 105
; ScratchSize: 0
; MemoryBound: 1
; FloatMode: 240
; IeeeMode: 1
; LDSByteSize: 65536 bytes/workgroup (compile time only)
; SGPRBlocks: 3
; VGPRBlocks: 13
; NumSGPRsForWavesPerEU: 31
; NumVGPRsForWavesPerEU: 105
; AccumOffset: 108
; Occupancy: 4
; WaveLimiterHint : 0
; COMPUTE_PGM_RSRC2:SCRATCH_EN: 0
; COMPUTE_PGM_RSRC2:USER_SGPR: 2
; COMPUTE_PGM_RSRC2:TRAP_HANDLER: 0
; COMPUTE_PGM_RSRC2:TGID_X_EN: 1
; COMPUTE_PGM_RSRC2:TGID_Y_EN: 0
; COMPUTE_PGM_RSRC2:TGID_Z_EN: 0
; COMPUTE_PGM_RSRC2:TIDIG_COMP_CNT: 1
; COMPUTE_PGM_RSRC3_GFX90A:ACCUM_OFFSET: 26
; COMPUTE_PGM_RSRC3_GFX90A:TG_SPLIT: 0
	.section	.text._ZN5aiter13wvSplitKQ_hf_I6__halfhLi64ELi2ELi16ELi16ELi2ELi2EEEviiiPKT0_S4_PT_PKfS8_ii,"axG",@progbits,_ZN5aiter13wvSplitKQ_hf_I6__halfhLi64ELi2ELi16ELi16ELi2ELi2EEEviiiPKT0_S4_PT_PKfS8_ii,comdat
	.protected	_ZN5aiter13wvSplitKQ_hf_I6__halfhLi64ELi2ELi16ELi16ELi2ELi2EEEviiiPKT0_S4_PT_PKfS8_ii ; -- Begin function _ZN5aiter13wvSplitKQ_hf_I6__halfhLi64ELi2ELi16ELi16ELi2ELi2EEEviiiPKT0_S4_PT_PKfS8_ii
	.globl	_ZN5aiter13wvSplitKQ_hf_I6__halfhLi64ELi2ELi16ELi16ELi2ELi2EEEviiiPKT0_S4_PT_PKfS8_ii
	.p2align	8
	.type	_ZN5aiter13wvSplitKQ_hf_I6__halfhLi64ELi2ELi16ELi16ELi2ELi2EEEviiiPKT0_S4_PT_PKfS8_ii,@function
_ZN5aiter13wvSplitKQ_hf_I6__halfhLi64ELi2ELi16ELi16ELi2ELi2EEEviiiPKT0_S4_PT_PKfS8_ii: ; @_ZN5aiter13wvSplitKQ_hf_I6__halfhLi64ELi2ELi16ELi16ELi2ELi2EEEviiiPKT0_S4_PT_PKfS8_ii
; %bb.0:
	s_load_dwordx4 s[12:15], s[0:1], 0x0
	s_load_dwordx2 s[10:11], s[0:1], 0x18
	s_load_dwordx4 s[4:7], s[0:1], 0x28
	v_bfe_u32 v1, v0, 10, 10
	v_and_b32_e32 v0, 0x3ff, v0
	v_lshlrev_b32_e32 v100, 4, v0
	s_waitcnt lgkmcnt(0)
	s_lshl_b32 s3, s12, 1
	v_lshl_add_u32 v2, v1, 10, v100
	s_min_i32 s3, s3, 0x10000
	v_cmp_gt_u32_e32 vcc, s3, v2
	s_and_saveexec_b64 s[8:9], vcc
	s_cbranch_execz .LBB69_3
; %bb.1:
	s_mov_b64 s[16:17], 0
.LBB69_2:                               ; =>This Inner Loop Header: Depth=1
	global_load_dwordx4 v[4:7], v2, s[10:11]
	s_waitcnt vmcnt(0)
	ds_write_b128 v2, v[4:7]
	v_add_u32_e32 v2, 0x4000, v2
	v_cmp_le_u32_e32 vcc, s3, v2
	s_or_b64 s[16:17], vcc, s[16:17]
	s_andn2_b64 exec, exec, s[16:17]
	s_cbranch_execnz .LBB69_2
.LBB69_3:
	s_or_b64 exec, exec, s[8:9]
	s_load_dwordx2 s[8:9], s[0:1], 0x38
	s_waitcnt lgkmcnt(0)
	s_barrier
	v_cmp_gt_u32_e32 vcc, s8, v1
	s_and_saveexec_b64 s[16:17], vcc
	s_cbranch_execz .LBB69_46
; %bb.4:
	s_mul_i32 s2, s2, s8
	v_add_u32_e32 v1, s2, v1
	v_lshlrev_b32_e32 v96, 1, v1
	v_cmp_gt_u32_e32 vcc, s14, v96
	s_and_b64 exec, exec, vcc
	s_cbranch_execz .LBB69_46
; %bb.5:
	s_load_dword s15, s[4:5], 0x0
	s_load_dword s28, s[6:7], 0x0
	s_load_dwordx2 s[16:17], s[0:1], 0x10
	s_load_dwordx2 s[18:19], s[0:1], 0x20
	s_cmp_lg_u32 s12, 0
	v_cmp_eq_u32_e64 s[0:1], 0, v0
	s_cselect_b64 s[2:3], -1, 0
	v_mul_lo_u32 v0, s13, v1
	v_lshl_add_u32 v102, v0, 1, v100
	v_cndmask_b32_e64 v0, 0, 1, s[2:3]
	v_cmp_ne_u32_e64 s[2:3], 1, v0
	v_mbcnt_lo_u32_b32 v0, -1, 0
	s_mul_i32 s4, s8, s9
	v_mbcnt_hi_u32_b32 v0, -1, v0
	s_lshl_b32 s29, s4, 1
	s_mul_i32 s4, s4, s13
	v_lshlrev_b32_e32 v0, 2, v0
	s_ashr_i32 s21, s13, 31
	s_mov_b32 s20, s13
	v_add_u32_e32 v101, s12, v100
	s_lshl_b32 s13, s4, 1
	s_mov_b64 s[22:23], 0
	v_mov_b32_e32 v99, 0
	s_mov_b32 s30, 0xffff
	v_and_b32_e32 v103, 0x100, v0
                                        ; implicit-def: $vgpr68_vgpr69_vgpr70_vgpr71
                                        ; implicit-def: $vgpr76_vgpr77_vgpr78_vgpr79
                                        ; implicit-def: $vgpr64_vgpr65_vgpr66_vgpr67
                                        ; implicit-def: $vgpr72_vgpr73_vgpr74_vgpr75
                                        ; implicit-def: $vgpr90_vgpr91
                                        ; implicit-def: $vgpr94_vgpr95
                                        ; implicit-def: $vgpr82_vgpr83
                                        ; implicit-def: $vgpr86_vgpr87
	s_branch .LBB69_7
.LBB69_6:                               ;   in Loop: Header=BB69_7 Depth=1
	s_or_b64 exec, exec, s[4:5]
	v_add_u32_e32 v96, s29, v96
	v_cmp_le_u32_e32 vcc, s14, v96
	s_or_b64 s[22:23], vcc, s[22:23]
	v_add_u32_e32 v102, s13, v102
	s_andn2_b64 exec, exec, s[22:23]
	s_cbranch_execz .LBB69_46
.LBB69_7:                               ; =>This Loop Header: Depth=1
                                        ;     Child Loop BB69_11 Depth 2
	v_or_b32_e32 v104, 1, v96
	s_and_b64 vcc, exec, s[2:3]
	v_cmp_gt_u32_e64 s[4:5], s14, v104
	s_cbranch_vccnz .LBB69_40
; %bb.8:                                ;   in Loop: Header=BB69_7 Depth=1
	v_mov_b32_e32 v0, 0
	s_mov_b32 s31, 0
	s_waitcnt lgkmcnt(0)
	v_mov_b32_e32 v1, v0
	v_mov_b32_e32 v2, v0
	;; [unrolled: 1-line block ×63, first 2 shown]
	s_branch .LBB69_11
.LBB69_9:                               ;   in Loop: Header=BB69_11 Depth=2
	s_or_b64 exec, exec, s[8:9]
.LBB69_10:                              ;   in Loop: Header=BB69_11 Depth=2
	s_or_b64 exec, exec, s[6:7]
	s_addk_i32 s31, 0x800
	s_cmp_ge_u32 s31, s12
	s_cbranch_scc1 .LBB69_41
.LBB69_11:                              ;   Parent Loop BB69_7 Depth=1
                                        ; =>  This Inner Loop Header: Depth=2
	v_add_u32_e32 v97, s31, v100
	v_cmp_gt_u32_e32 vcc, s12, v97
	s_and_saveexec_b64 s[24:25], vcc
	s_cbranch_execz .LBB69_37
; %bb.12:                               ;   in Loop: Header=BB69_11 Depth=2
	v_add_u32_e32 v98, s31, v102
	s_waitcnt lgkmcnt(0)
	global_load_dwordx4 v[72:75], v98, s[16:17] nt
	s_and_saveexec_b64 s[6:7], s[4:5]
	s_cbranch_execz .LBB69_14
; %bb.13:                               ;   in Loop: Header=BB69_11 Depth=2
	s_waitcnt vmcnt(1)
	v_lshl_add_u64 v[76:77], s[16:17], 0, v[98:99]
	v_lshl_add_u64 v[76:77], v[76:77], 0, s[20:21]
	global_load_dwordx4 v[76:79], v[76:77], off nt
.LBB69_14:                              ;   in Loop: Header=BB69_11 Depth=2
	s_or_b64 exec, exec, s[6:7]
	v_add_u32_e32 v105, 0x400, v97
	v_cmp_gt_u32_e64 s[6:7], s12, v105
	s_and_saveexec_b64 s[8:9], s[6:7]
	s_cbranch_execz .LBB69_18
; %bb.15:                               ;   in Loop: Header=BB69_11 Depth=2
	v_add_u32_e32 v98, 0x400, v98
	global_load_dwordx4 v[64:67], v98, s[16:17] nt
	s_and_saveexec_b64 s[26:27], s[4:5]
	s_cbranch_execz .LBB69_17
; %bb.16:                               ;   in Loop: Header=BB69_11 Depth=2
	s_waitcnt vmcnt(2)
	v_lshl_add_u64 v[68:69], s[16:17], 0, v[98:99]
	v_lshl_add_u64 v[68:69], v[68:69], 0, s[20:21]
	global_load_dwordx4 v[68:71], v[68:69], off nt
.LBB69_17:                              ;   in Loop: Header=BB69_11 Depth=2
	s_or_b64 exec, exec, s[26:27]
.LBB69_18:                              ;   in Loop: Header=BB69_11 Depth=2
	s_or_b64 exec, exec, s[8:9]
	v_cmp_lt_u32_e64 s[8:9], s30, v97
                                        ; implicit-def: $vgpr84_vgpr85
	s_and_saveexec_b64 s[26:27], s[8:9]
	s_xor_b64 s[8:9], exec, s[26:27]
	s_cbranch_execz .LBB69_20
; %bb.19:                               ;   in Loop: Header=BB69_11 Depth=2
	global_load_dwordx4 v[84:87], v97, s[10:11]
.LBB69_20:                              ;   in Loop: Header=BB69_11 Depth=2
	s_andn2_saveexec_b64 s[8:9], s[8:9]
	s_cbranch_execz .LBB69_22
; %bb.21:                               ;   in Loop: Header=BB69_11 Depth=2
	s_waitcnt vmcnt(0)
	ds_read_b128 v[84:87], v97
.LBB69_22:                              ;   in Loop: Header=BB69_11 Depth=2
	s_or_b64 exec, exec, s[8:9]
	v_add_u32_e32 v98, s31, v101
	v_cmp_lt_u32_e64 s[8:9], s30, v98
                                        ; implicit-def: $vgpr92_vgpr93
	s_and_saveexec_b64 s[26:27], s[8:9]
	s_xor_b64 s[8:9], exec, s[26:27]
	s_cbranch_execnz .LBB69_25
; %bb.23:                               ;   in Loop: Header=BB69_11 Depth=2
	s_andn2_saveexec_b64 s[8:9], s[8:9]
	s_cbranch_execnz .LBB69_26
.LBB69_24:                              ;   in Loop: Header=BB69_11 Depth=2
	s_or_b64 exec, exec, s[8:9]
	s_and_saveexec_b64 s[8:9], s[6:7]
	s_cbranch_execnz .LBB69_27
	s_branch .LBB69_36
.LBB69_25:                              ;   in Loop: Header=BB69_11 Depth=2
	global_load_dwordx4 v[92:95], v98, s[10:11]
	s_andn2_saveexec_b64 s[8:9], s[8:9]
	s_cbranch_execz .LBB69_24
.LBB69_26:                              ;   in Loop: Header=BB69_11 Depth=2
	s_waitcnt vmcnt(0)
	ds_read_b128 v[92:95], v98
	s_or_b64 exec, exec, s[8:9]
	s_and_saveexec_b64 s[8:9], s[6:7]
	s_cbranch_execz .LBB69_36
.LBB69_27:                              ;   in Loop: Header=BB69_11 Depth=2
	v_cmp_lt_u32_e64 s[6:7], s30, v105
                                        ; implicit-def: $vgpr80_vgpr81
	s_and_saveexec_b64 s[26:27], s[6:7]
	s_xor_b64 s[6:7], exec, s[26:27]
	s_cbranch_execz .LBB69_29
; %bb.28:                               ;   in Loop: Header=BB69_11 Depth=2
	global_load_dwordx4 v[80:83], v105, s[10:11]
.LBB69_29:                              ;   in Loop: Header=BB69_11 Depth=2
	s_andn2_saveexec_b64 s[6:7], s[6:7]
	s_cbranch_execz .LBB69_31
; %bb.30:                               ;   in Loop: Header=BB69_11 Depth=2
	s_waitcnt vmcnt(0)
	ds_read_b128 v[80:83], v97 offset:1024
.LBB69_31:                              ;   in Loop: Header=BB69_11 Depth=2
	s_or_b64 exec, exec, s[6:7]
	s_waitcnt vmcnt(1)
	v_add_u32_e32 v90, 0x400, v98
	v_cmp_lt_u32_e64 s[6:7], s30, v90
                                        ; implicit-def: $vgpr88_vgpr89
	s_and_saveexec_b64 s[26:27], s[6:7]
	s_xor_b64 s[6:7], exec, s[26:27]
	s_cbranch_execz .LBB69_33
; %bb.32:                               ;   in Loop: Header=BB69_11 Depth=2
	global_load_dwordx4 v[88:91], v90, s[10:11]
                                        ; implicit-def: $vgpr98
.LBB69_33:                              ;   in Loop: Header=BB69_11 Depth=2
	s_andn2_saveexec_b64 s[6:7], s[6:7]
	s_cbranch_execz .LBB69_35
; %bb.34:                               ;   in Loop: Header=BB69_11 Depth=2
	s_waitcnt vmcnt(0)
	ds_read_b128 v[88:91], v98 offset:1024
.LBB69_35:                              ;   in Loop: Header=BB69_11 Depth=2
	s_or_b64 exec, exec, s[6:7]
.LBB69_36:                              ;   in Loop: Header=BB69_11 Depth=2
	s_or_b64 exec, exec, s[8:9]
.LBB69_37:                              ;   in Loop: Header=BB69_11 Depth=2
	s_or_b64 exec, exec, s[24:25]
	s_and_saveexec_b64 s[6:7], vcc
	s_cbranch_execz .LBB69_10
; %bb.38:                               ;   in Loop: Header=BB69_11 Depth=2
	s_waitcnt vmcnt(0) lgkmcnt(0)
	v_mfma_f32_32x32x16_fp8_fp8 v[48:63], v[84:85], v[72:73], v[48:63]
	v_add_u32_e32 v97, 0x400, v97
	v_cmp_gt_u32_e32 vcc, s12, v97
	v_mfma_f32_32x32x16_fp8_fp8 v[32:47], v[84:85], v[76:77], v[32:47]
	v_mfma_f32_32x32x16_fp8_fp8 v[16:31], v[92:93], v[72:73], v[16:31]
	;; [unrolled: 1-line block ×7, first 2 shown]
	s_and_saveexec_b64 s[8:9], vcc
	s_cbranch_execz .LBB69_9
; %bb.39:                               ;   in Loop: Header=BB69_11 Depth=2
	v_mfma_f32_32x32x16_fp8_fp8 v[48:63], v[80:81], v[64:65], v[48:63]
	v_mfma_f32_32x32x16_fp8_fp8 v[32:47], v[80:81], v[68:69], v[32:47]
	;; [unrolled: 1-line block ×8, first 2 shown]
	s_branch .LBB69_9
.LBB69_40:                              ;   in Loop: Header=BB69_7 Depth=1
	v_mov_b32_e32 v63, v99
	v_mov_b32_e32 v62, v99
	;; [unrolled: 1-line block ×13, first 2 shown]
	s_waitcnt lgkmcnt(0)
	v_mov_b32_e32 v50, v99
	v_mov_b32_e32 v49, v99
	;; [unrolled: 1-line block ×51, first 2 shown]
.LBB69_41:                              ;   in Loop: Header=BB69_7 Depth=1
	;;#ASMSTART
	v_add_f32 v56, v57, v56 row_shl:1 bound_ctrl:0 
	;;#ASMEND
	;;#ASMSTART
	v_add_f32 v40, v41, v40 row_shl:1 bound_ctrl:0 
	;;#ASMEND
	;;#ASMSTART
	v_add_f32 v24, v25, v24 row_shl:1 bound_ctrl:0 
	;;#ASMEND
	;;#ASMSTART
	v_add_f32 v8, v9, v8 row_shl:1 bound_ctrl:0 
	;;#ASMEND
	;;#ASMSTART
	v_add_f32 v48, v49, v48 row_shl:1 bound_ctrl:0 
	;;#ASMEND
	;;#ASMSTART
	v_add_f32 v32, v33, v32 row_shl:1 bound_ctrl:0 
	;;#ASMEND
	s_nop 0
	;;#ASMSTART
	v_add_f32 v56, v58, v56 row_shl:2 bound_ctrl:0 
	;;#ASMEND
	;;#ASMSTART
	v_add_f32 v40, v42, v40 row_shl:2 bound_ctrl:0 
	;;#ASMEND
	;;#ASMSTART
	v_add_f32 v24, v26, v24 row_shl:2 bound_ctrl:0 
	;;#ASMEND
	;;#ASMSTART
	v_add_f32 v8, v10, v8 row_shl:2 bound_ctrl:0 
	;;#ASMEND
	;;#ASMSTART
	v_add_f32 v16, v17, v16 row_shl:1 bound_ctrl:0 
	;;#ASMEND
	;;#ASMSTART
	v_add_f32 v0, v1, v0 row_shl:1 bound_ctrl:0 
	;;#ASMEND
	s_nop 0
	;; [unrolled: 19-line block ×6, first 2 shown]
	;;#ASMSTART
	v_add_f32 v56, v63, v56 row_shl:11 bound_ctrl:0 
	;;#ASMEND
	ds_bpermute_b32 v50, v103, v56 offset:208
	;;#ASMSTART
	v_add_f32 v40, v47, v40 row_shl:11 bound_ctrl:0 
	;;#ASMEND
	ds_bpermute_b32 v34, v103, v40 offset:208
	;;#ASMSTART
	v_add_f32 v24, v31, v24 row_shl:11 bound_ctrl:0 
	;;#ASMEND
	ds_bpermute_b32 v18, v103, v24 offset:208
	;;#ASMSTART
	v_add_f32 v8, v15, v8 row_shl:11 bound_ctrl:0 
	;;#ASMEND
	ds_bpermute_b32 v2, v103, v8 offset:208
	;;#ASMSTART
	v_add_f32 v48, v52, v48 row_shl:8 bound_ctrl:0 
	;;#ASMEND
	;;#ASMSTART
	v_add_f32 v32, v36, v32 row_shl:8 bound_ctrl:0 
	;;#ASMEND
	;; [unrolled: 3-line block ×4, first 2 shown]
	s_waitcnt lgkmcnt(0)
	v_add_f32_e32 v50, v56, v50
	;;#ASMSTART
	v_add_f32 v48, v53, v48 row_shl:9 bound_ctrl:0 
	;;#ASMEND
	;;#ASMSTART
	v_add_f32 v32, v37, v32 row_shl:9 bound_ctrl:0 
	;;#ASMEND
	;; [unrolled: 3-line block ×4, first 2 shown]
	v_add_f32_e32 v34, v40, v34
	;;#ASMSTART
	v_add_f32 v48, v54, v48 row_shl:10 bound_ctrl:0 
	;;#ASMEND
	;;#ASMSTART
	v_add_f32 v32, v38, v32 row_shl:10 bound_ctrl:0 
	;;#ASMEND
	;; [unrolled: 3-line block ×3, first 2 shown]
	v_add_f32_e32 v18, v24, v18
	;;#ASMSTART
	v_add_f32 v0, v6, v0 row_shl:10 bound_ctrl:0 
	;;#ASMEND
	v_add_f32_e32 v2, v8, v2
	;;#ASMSTART
	v_add_f32 v48, v55, v48 row_shl:11 bound_ctrl:0 
	;;#ASMEND
	ds_bpermute_b32 v49, v103, v48 offset:144
	ds_bpermute_b32 v50, v103, v50 offset:64
	;;#ASMSTART
	v_add_f32 v32, v39, v32 row_shl:11 bound_ctrl:0 
	;;#ASMEND
	ds_bpermute_b32 v33, v103, v32 offset:144
	ds_bpermute_b32 v34, v103, v34 offset:64
	;; [unrolled: 5-line block ×4, first 2 shown]
	s_and_saveexec_b64 s[4:5], s[0:1]
	s_cbranch_execz .LBB69_6
; %bb.42:                               ;   in Loop: Header=BB69_7 Depth=1
	s_waitcnt lgkmcnt(7)
	v_add_f32_e32 v2, v48, v49
	s_waitcnt lgkmcnt(6)
	v_add_f32_e32 v2, v2, v50
	v_mul_f32_e32 v2, s15, v2
	v_mov_b32_e32 v97, v99
	v_fma_mixlo_f16 v5, s28, v2, 0
	v_lshl_add_u64 v[2:3], v[96:97], 1, s[18:19]
	v_cmp_gt_u32_e32 vcc, s14, v104
	global_store_short v[2:3], v5, off
	s_and_saveexec_b64 s[6:7], vcc
	s_cbranch_execz .LBB69_44
; %bb.43:                               ;   in Loop: Header=BB69_7 Depth=1
	s_waitcnt lgkmcnt(5)
	v_add_f32_e32 v5, v32, v33
	s_waitcnt lgkmcnt(4)
	v_add_f32_e32 v5, v5, v34
	v_mul_f32_e32 v5, s15, v5
	v_fma_mixlo_f16 v5, s28, v5, 0
	global_store_short v[2:3], v5, off offset:2
.LBB69_44:                              ;   in Loop: Header=BB69_7 Depth=1
	s_or_b64 exec, exec, s[6:7]
	s_waitcnt lgkmcnt(3)
	v_add_f32_e32 v2, v16, v17
	s_waitcnt lgkmcnt(2)
	v_add_f32_e32 v2, v2, v18
	v_mul_f32_e32 v2, s15, v2
	v_add_u32_e32 v98, s14, v96
	v_fma_mixlo_f16 v5, s28, v2, 0
	v_lshl_add_u64 v[2:3], v[98:99], 1, s[18:19]
	global_store_short v[2:3], v5, off
	s_and_b64 exec, exec, vcc
	s_cbranch_execz .LBB69_6
; %bb.45:                               ;   in Loop: Header=BB69_7 Depth=1
	s_waitcnt lgkmcnt(1)
	v_add_f32_e32 v0, v0, v1
	s_waitcnt lgkmcnt(0)
	v_add_f32_e32 v0, v0, v4
	v_mul_f32_e32 v0, s15, v0
	v_add_u32_e32 v98, s14, v104
	v_fma_mixlo_f16 v2, s28, v0, 0
	v_lshl_add_u64 v[0:1], v[98:99], 1, s[18:19]
	global_store_short v[0:1], v2, off
	s_branch .LBB69_6
.LBB69_46:
	s_endpgm
	.section	.rodata,"a",@progbits
	.p2align	6, 0x0
	.amdhsa_kernel _ZN5aiter13wvSplitKQ_hf_I6__halfhLi64ELi2ELi16ELi16ELi2ELi2EEEviiiPKT0_S4_PT_PKfS8_ii
		.amdhsa_group_segment_fixed_size 65536
		.amdhsa_private_segment_fixed_size 0
		.amdhsa_kernarg_size 64
		.amdhsa_user_sgpr_count 2
		.amdhsa_user_sgpr_dispatch_ptr 0
		.amdhsa_user_sgpr_queue_ptr 0
		.amdhsa_user_sgpr_kernarg_segment_ptr 1
		.amdhsa_user_sgpr_dispatch_id 0
		.amdhsa_user_sgpr_kernarg_preload_length 0
		.amdhsa_user_sgpr_kernarg_preload_offset 0
		.amdhsa_user_sgpr_private_segment_size 0
		.amdhsa_uses_dynamic_stack 0
		.amdhsa_enable_private_segment 0
		.amdhsa_system_sgpr_workgroup_id_x 1
		.amdhsa_system_sgpr_workgroup_id_y 0
		.amdhsa_system_sgpr_workgroup_id_z 0
		.amdhsa_system_sgpr_workgroup_info 0
		.amdhsa_system_vgpr_workitem_id 1
		.amdhsa_next_free_vgpr 106
		.amdhsa_next_free_sgpr 32
		.amdhsa_accum_offset 108
		.amdhsa_reserve_vcc 1
		.amdhsa_float_round_mode_32 0
		.amdhsa_float_round_mode_16_64 0
		.amdhsa_float_denorm_mode_32 3
		.amdhsa_float_denorm_mode_16_64 3
		.amdhsa_dx10_clamp 1
		.amdhsa_ieee_mode 1
		.amdhsa_fp16_overflow 0
		.amdhsa_tg_split 0
		.amdhsa_exception_fp_ieee_invalid_op 0
		.amdhsa_exception_fp_denorm_src 0
		.amdhsa_exception_fp_ieee_div_zero 0
		.amdhsa_exception_fp_ieee_overflow 0
		.amdhsa_exception_fp_ieee_underflow 0
		.amdhsa_exception_fp_ieee_inexact 0
		.amdhsa_exception_int_div_zero 0
	.end_amdhsa_kernel
	.section	.text._ZN5aiter13wvSplitKQ_hf_I6__halfhLi64ELi2ELi16ELi16ELi2ELi2EEEviiiPKT0_S4_PT_PKfS8_ii,"axG",@progbits,_ZN5aiter13wvSplitKQ_hf_I6__halfhLi64ELi2ELi16ELi16ELi2ELi2EEEviiiPKT0_S4_PT_PKfS8_ii,comdat
.Lfunc_end69:
	.size	_ZN5aiter13wvSplitKQ_hf_I6__halfhLi64ELi2ELi16ELi16ELi2ELi2EEEviiiPKT0_S4_PT_PKfS8_ii, .Lfunc_end69-_ZN5aiter13wvSplitKQ_hf_I6__halfhLi64ELi2ELi16ELi16ELi2ELi2EEEviiiPKT0_S4_PT_PKfS8_ii
                                        ; -- End function
	.section	.AMDGPU.csdata,"",@progbits
; Kernel info:
; codeLenInByte = 2328
; NumSgprs: 38
; NumVgprs: 106
; NumAgprs: 0
; TotalNumVgprs: 106
; ScratchSize: 0
; MemoryBound: 1
; FloatMode: 240
; IeeeMode: 1
; LDSByteSize: 65536 bytes/workgroup (compile time only)
; SGPRBlocks: 4
; VGPRBlocks: 13
; NumSGPRsForWavesPerEU: 38
; NumVGPRsForWavesPerEU: 106
; AccumOffset: 108
; Occupancy: 4
; WaveLimiterHint : 0
; COMPUTE_PGM_RSRC2:SCRATCH_EN: 0
; COMPUTE_PGM_RSRC2:USER_SGPR: 2
; COMPUTE_PGM_RSRC2:TRAP_HANDLER: 0
; COMPUTE_PGM_RSRC2:TGID_X_EN: 1
; COMPUTE_PGM_RSRC2:TGID_Y_EN: 0
; COMPUTE_PGM_RSRC2:TGID_Z_EN: 0
; COMPUTE_PGM_RSRC2:TIDIG_COMP_CNT: 1
; COMPUTE_PGM_RSRC3_GFX90A:ACCUM_OFFSET: 26
; COMPUTE_PGM_RSRC3_GFX90A:TG_SPLIT: 0
	.section	.text._ZN5aiter17wvSplitKQ_hf_sml_I6__halfhLi64ELi4ELi16ELi16ELi1ELi3EEEviiiPKT0_S4_PT_PKfS8_ii,"axG",@progbits,_ZN5aiter17wvSplitKQ_hf_sml_I6__halfhLi64ELi4ELi16ELi16ELi1ELi3EEEviiiPKT0_S4_PT_PKfS8_ii,comdat
	.protected	_ZN5aiter17wvSplitKQ_hf_sml_I6__halfhLi64ELi4ELi16ELi16ELi1ELi3EEEviiiPKT0_S4_PT_PKfS8_ii ; -- Begin function _ZN5aiter17wvSplitKQ_hf_sml_I6__halfhLi64ELi4ELi16ELi16ELi1ELi3EEEviiiPKT0_S4_PT_PKfS8_ii
	.globl	_ZN5aiter17wvSplitKQ_hf_sml_I6__halfhLi64ELi4ELi16ELi16ELi1ELi3EEEviiiPKT0_S4_PT_PKfS8_ii
	.p2align	8
	.type	_ZN5aiter17wvSplitKQ_hf_sml_I6__halfhLi64ELi4ELi16ELi16ELi1ELi3EEEviiiPKT0_S4_PT_PKfS8_ii,@function
_ZN5aiter17wvSplitKQ_hf_sml_I6__halfhLi64ELi4ELi16ELi16ELi1ELi3EEEviiiPKT0_S4_PT_PKfS8_ii: ; @_ZN5aiter17wvSplitKQ_hf_sml_I6__halfhLi64ELi4ELi16ELi16ELi1ELi3EEEviiiPKT0_S4_PT_PKfS8_ii
; %bb.0:
	s_load_dwordx4 s[4:7], s[0:1], 0x0
	s_load_dwordx4 s[8:11], s[0:1], 0x28
	v_bfe_u32 v1, v0, 10, 10
	v_and_b32_e32 v0, 0x3ff, v0
	v_lshlrev_b32_e32 v2, 4, v0
	s_waitcnt lgkmcnt(0)
	s_mul_i32 s3, s4, 3
	scratch_store_dword off, v2, off offset:640 ; 4-byte Folded Spill
	v_lshl_add_u32 v2, v1, 10, v2
	s_min_i32 s3, s3, 0x10000
	v_cmp_gt_u32_e32 vcc, s3, v2
	s_and_saveexec_b64 s[12:13], vcc
	s_cbranch_execz .LBB70_3
; %bb.1:
	s_load_dwordx2 s[14:15], s[0:1], 0x18
	s_mov_b64 s[16:17], 0
.LBB70_2:                               ; =>This Inner Loop Header: Depth=1
	s_waitcnt lgkmcnt(0)
	global_load_dwordx4 v[4:7], v2, s[14:15]
	s_waitcnt vmcnt(0)
	ds_write_b128 v2, v[4:7]
	v_add_u32_e32 v2, 0x4000, v2
	v_cmp_le_u32_e32 vcc, s3, v2
	s_or_b64 s[16:17], vcc, s[16:17]
	s_andn2_b64 exec, exec, s[16:17]
	s_cbranch_execnz .LBB70_2
.LBB70_3:
	s_or_b64 exec, exec, s[12:13]
	s_load_dwordx2 s[16:17], s[0:1], 0x38
	s_waitcnt lgkmcnt(0)
	s_barrier
	v_cmp_gt_u32_e32 vcc, s16, v1
	s_and_saveexec_b64 s[12:13], vcc
	s_cbranch_execz .LBB70_16
; %bb.4:
	s_mul_i32 s2, s2, s16
	v_add_u32_e32 v1, s2, v1
	v_lshlrev_b32_e32 v18, 2, v1
	v_cmp_gt_u32_e32 vcc, s6, v18
	s_and_b64 exec, exec, vcc
	s_cbranch_execz .LBB70_16
; %bb.5:
	s_load_dword s7, s[8:9], 0x0
	s_load_dword s22, s[10:11], 0x0
	s_load_dwordx2 s[12:13], s[0:1], 0x10
	s_load_dwordx2 s[14:15], s[0:1], 0x20
	scratch_load_dword v2, off, off offset:640 ; 4-byte Folded Reload
	v_cmp_eq_u32_e64 s[0:1], 0, v0
	s_cmp_lg_u32 s4, 0
	s_cselect_b64 s[2:3], -1, 0
	s_mul_i32 s18, s16, s17
	s_mov_b32 s9, 0
	s_lshl_b32 s23, s18, 2
	s_mul_i32 s18, s18, s5
	s_mov_b32 s8, s5
	s_lshl_b32 s10, s5, 1
	s_mov_b32 s11, s9
	s_mul_i32 s16, s5, 3
	s_mov_b32 s17, s9
	v_mov_b32_e32 v127, 0
	s_waitcnt vmcnt(0)
	v_lshl_add_u32 v0, s4, 1, v2
	scratch_store_dword off, v0, off offset:648 ; 4-byte Folded Spill
	v_add_u32_e32 v0, s4, v2
	scratch_store_dword off, v0, off offset:652 ; 4-byte Folded Spill
	v_mul_lo_u32 v0, s5, v1
	v_lshl_add_u32 v0, v0, 2, v2
	scratch_store_dword off, v0, off offset:644 ; 4-byte Folded Spill
	v_cndmask_b32_e64 v0, 0, 1, s[2:3]
	v_cmp_ne_u32_e64 s[2:3], 1, v0
	v_mbcnt_lo_u32_b32 v0, -1, 0
	v_mbcnt_hi_u32_b32 v0, -1, v0
	v_lshlrev_b32_e32 v0, 2, v0
	s_lshl_b32 s5, s18, 2
	s_mov_b64 s[18:19], 0
	v_and_b32_e32 v0, 0x100, v0
	scratch_store_dword off, v0, off offset:664 ; 4-byte Folded Spill
	s_branch .LBB70_7
.LBB70_6:                               ;   in Loop: Header=BB70_7 Depth=1
	s_or_b64 exec, exec, s[20:21]
	scratch_load_dword v0, off, off offset:644 ; 4-byte Folded Reload
	s_waitcnt vmcnt(1)
	v_add_u32_e32 v18, s23, v18
	v_cmp_le_u32_e32 vcc, s6, v18
	s_or_b64 s[18:19], vcc, s[18:19]
	s_waitcnt vmcnt(0)
	v_add_u32_e32 v0, s5, v0
	scratch_store_dword off, v0, off offset:644 ; 4-byte Folded Spill
	s_andn2_b64 exec, exec, s[18:19]
	s_cbranch_execz .LBB70_16
.LBB70_7:                               ; =>This Loop Header: Depth=1
                                        ;     Child Loop BB70_9 Depth 2
	v_mov_b32_e32 v15, v127
	s_waitcnt lgkmcnt(0)
	v_mov_b32_e32 v14, v127
	v_mov_b32_e32 v13, v127
	;; [unrolled: 1-line block ×15, first 2 shown]
	scratch_store_dwordx2 off, v[18:19], off offset:656 ; 8-byte Folded Spill
	scratch_store_dwordx4 off, v[0:3], off  ; 16-byte Folded Spill
	s_nop 0
	scratch_store_dwordx4 off, v[4:7], off offset:16 ; 16-byte Folded Spill
	scratch_store_dwordx4 off, v[8:11], off offset:32 ; 16-byte Folded Spill
	;; [unrolled: 1-line block ×4, first 2 shown]
	s_nop 0
	scratch_store_dwordx4 off, v[4:7], off offset:80 ; 16-byte Folded Spill
	scratch_store_dwordx4 off, v[8:11], off offset:96 ; 16-byte Folded Spill
	;; [unrolled: 1-line block ×4, first 2 shown]
	s_nop 0
	scratch_store_dwordx4 off, v[4:7], off offset:144 ; 16-byte Folded Spill
	scratch_store_dwordx4 off, v[8:11], off offset:160 ; 16-byte Folded Spill
	;; [unrolled: 1-line block ×3, first 2 shown]
	s_and_b64 vcc, exec, s[2:3]
	v_mov_b32_e32 v87, v127
	v_mov_b32_e32 v86, v127
	;; [unrolled: 1-line block ×80, first 2 shown]
	scratch_store_dwordx4 off, v[0:3], off offset:192 ; 16-byte Folded Spill
	s_nop 0
	scratch_store_dwordx4 off, v[4:7], off offset:208 ; 16-byte Folded Spill
	scratch_store_dwordx4 off, v[8:11], off offset:224 ; 16-byte Folded Spill
	scratch_store_dwordx4 off, v[12:15], off offset:240 ; 16-byte Folded Spill
	scratch_store_dwordx4 off, v[0:3], off offset:256 ; 16-byte Folded Spill
	s_nop 0
	scratch_store_dwordx4 off, v[4:7], off offset:272 ; 16-byte Folded Spill
	scratch_store_dwordx4 off, v[8:11], off offset:288 ; 16-byte Folded Spill
	scratch_store_dwordx4 off, v[12:15], off offset:304 ; 16-byte Folded Spill
	;; [unrolled: 5-line block ×3, first 2 shown]
	s_cbranch_vccnz .LBB70_14
; %bb.8:                                ;   in Loop: Header=BB70_7 Depth=1
	v_mov_b32_e32 v16, 0
	v_mov_b32_e32 v0, v16
	;; [unrolled: 1-line block ×17, first 2 shown]
	scratch_store_dwordx4 off, v[0:3], off offset:320 ; 16-byte Folded Spill
	s_nop 0
	scratch_store_dwordx4 off, v[4:7], off offset:336 ; 16-byte Folded Spill
	scratch_store_dwordx4 off, v[8:11], off offset:352 ; 16-byte Folded Spill
	scratch_store_dwordx4 off, v[12:15], off offset:368 ; 16-byte Folded Spill
	s_mov_b32 s24, 0
	v_mov_b32_e32 v17, v16
	v_mov_b32_e32 v18, v16
	;; [unrolled: 1-line block ×60, first 2 shown]
	scratch_store_dwordx4 off, v[0:3], off offset:256 ; 16-byte Folded Spill
	s_nop 0
	scratch_store_dwordx4 off, v[4:7], off offset:272 ; 16-byte Folded Spill
	scratch_store_dwordx4 off, v[8:11], off offset:288 ; 16-byte Folded Spill
	scratch_store_dwordx4 off, v[12:15], off offset:304 ; 16-byte Folded Spill
	scratch_store_dwordx4 off, v[0:3], off offset:192 ; 16-byte Folded Spill
	s_nop 0
	scratch_store_dwordx4 off, v[4:7], off offset:208 ; 16-byte Folded Spill
	scratch_store_dwordx4 off, v[8:11], off offset:224 ; 16-byte Folded Spill
	;; [unrolled: 1-line block ×3, first 2 shown]
	v_mov_b32_e32 v107, v16
	v_mov_b32_e32 v108, v16
	;; [unrolled: 1-line block ×35, first 2 shown]
	scratch_store_dwordx4 off, v[0:3], off offset:128 ; 16-byte Folded Spill
	s_nop 0
	scratch_store_dwordx4 off, v[4:7], off offset:144 ; 16-byte Folded Spill
	scratch_store_dwordx4 off, v[8:11], off offset:160 ; 16-byte Folded Spill
	;; [unrolled: 1-line block ×4, first 2 shown]
	s_nop 0
	scratch_store_dwordx4 off, v[68:71], off offset:80 ; 16-byte Folded Spill
	scratch_store_dwordx4 off, v[72:75], off offset:96 ; 16-byte Folded Spill
	;; [unrolled: 1-line block ×3, first 2 shown]
	scratch_store_dwordx4 off, v[64:67], off ; 16-byte Folded Spill
	s_nop 0
	scratch_store_dwordx4 off, v[68:71], off offset:16 ; 16-byte Folded Spill
	scratch_store_dwordx4 off, v[72:75], off offset:32 ; 16-byte Folded Spill
	;; [unrolled: 1-line block ×4, first 2 shown]
	s_nop 0
	scratch_store_dwordx4 off, v[68:71], off offset:464 ; 16-byte Folded Spill
	scratch_store_dwordx4 off, v[72:75], off offset:480 ; 16-byte Folded Spill
	scratch_store_dwordx4 off, v[76:79], off offset:496 ; 16-byte Folded Spill
.LBB70_9:                               ;   Parent Loop BB70_7 Depth=1
                                        ; =>  This Inner Loop Header: Depth=2
	scratch_store_dwordx4 off, v[94:97], off offset:576 ; 16-byte Folded Spill
	s_nop 0
	scratch_store_dwordx4 off, v[98:101], off offset:592 ; 16-byte Folded Spill
	scratch_store_dwordx4 off, v[102:105], off offset:608 ; 16-byte Folded Spill
	;; [unrolled: 1-line block ×4, first 2 shown]
	s_nop 0
	scratch_store_dwordx4 off, v[36:39], off offset:528 ; 16-byte Folded Spill
	scratch_store_dwordx4 off, v[40:43], off offset:544 ; 16-byte Folded Spill
	scratch_store_dwordx4 off, v[44:47], off offset:560 ; 16-byte Folded Spill
	scratch_load_dword v64, off, off offset:640 ; 4-byte Folded Reload
	v_mov_b64_e32 v[88:89], 0
	v_mov_b64_e32 v[90:91], v[88:89]
	;; [unrolled: 1-line block ×13, first 2 shown]
	s_waitcnt vmcnt(0)
	v_add_u32_e32 v93, s24, v64
	v_cmp_gt_u32_e32 vcc, s4, v93
	v_mov_b64_e32 v[64:65], v[88:89]
	s_and_saveexec_b64 s[20:21], vcc
	s_cbranch_execz .LBB70_11
; %bb.10:                               ;   in Loop: Header=BB70_9 Depth=2
	scratch_load_dword v64, off, off offset:644 ; 4-byte Folded Reload
	s_waitcnt vmcnt(0)
	v_add_u32_e32 v126, s24, v64
	s_waitcnt lgkmcnt(0)
	v_lshl_add_u64 v[64:65], s[12:13], 0, v[126:127]
	v_lshl_add_u64 v[66:67], v[64:65], 0, s[8:9]
	;; [unrolled: 1-line block ×3, first 2 shown]
	global_load_dwordx4 v[76:79], v126, s[12:13] nt
	global_load_dwordx4 v[80:83], v[66:67], off nt
	global_load_dwordx4 v[72:75], v[68:69], off nt
	v_lshl_add_u64 v[64:65], v[64:65], 0, s[16:17]
	scratch_load_dword v68, off, off offset:652 ; 4-byte Folded Reload
	scratch_load_dword v69, off, off offset:648 ; 4-byte Folded Reload
	ds_read_b128 v[84:87], v93
	global_load_dwordx4 v[64:67], v[64:65], off nt
	s_waitcnt vmcnt(2)
	v_add_u32_e32 v68, s24, v68
	s_waitcnt vmcnt(1)
	v_add_u32_e32 v88, s24, v69
	ds_read_b128 v[68:71], v68
	ds_read_b128 v[88:91], v88
.LBB70_11:                              ;   in Loop: Header=BB70_9 Depth=2
	s_or_b64 exec, exec, s[20:21]
	scratch_load_dwordx4 v[0:3], off, off offset:320 ; 16-byte Folded Reload
	scratch_load_dwordx4 v[4:7], off, off offset:336 ; 16-byte Folded Reload
	;; [unrolled: 1-line block ×4, first 2 shown]
	s_waitcnt lgkmcnt(0)
	v_mfma_f32_32x32x16_fp8_fp8 v[110:125], v[88:89], v[76:77], v[110:125]
	s_addk_i32 s24, 0x400
	s_cmp_ge_u32 s24, s4
	v_mfma_f32_32x32x16_fp8_fp8 v[110:125], v[90:91], v[78:79], v[110:125]
	s_nop 7
	s_nop 2
	scratch_store_dwordx4 off, v[110:113], off offset:384 ; 16-byte Folded Spill
	s_nop 0
	scratch_store_dwordx4 off, v[114:117], off offset:400 ; 16-byte Folded Spill
	scratch_store_dwordx4 off, v[118:121], off offset:416 ; 16-byte Folded Spill
	scratch_store_dwordx4 off, v[122:125], off offset:432 ; 16-byte Folded Spill
	v_mfma_f32_32x32x16_fp8_fp8 v[48:63], v[88:89], v[72:73], v[48:63]
	s_waitcnt vmcnt(8)
	v_mfma_f32_32x32x16_fp8_fp8 v[16:31], v[88:89], v[64:65], v[16:31]
	v_mfma_f32_32x32x16_fp8_fp8 v[48:63], v[90:91], v[74:75], v[48:63]
	;; [unrolled: 1-line block ×3, first 2 shown]
	s_waitcnt vmcnt(4)
	v_mfma_f32_32x32x16_fp8_fp8 v[0:15], v[88:89], v[80:81], v[0:15]
	v_mfma_f32_32x32x16_fp8_fp8 v[0:15], v[90:91], v[82:83], v[0:15]
	s_nop 7
	s_nop 2
	scratch_store_dwordx4 off, v[0:3], off offset:320 ; 16-byte Folded Spill
	s_nop 0
	scratch_store_dwordx4 off, v[4:7], off offset:336 ; 16-byte Folded Spill
	scratch_store_dwordx4 off, v[8:11], off offset:352 ; 16-byte Folded Spill
	;; [unrolled: 1-line block ×3, first 2 shown]
	scratch_load_dwordx4 v[88:91], off, off offset:448 ; 16-byte Folded Reload
	scratch_load_dwordx4 v[92:95], off, off offset:464 ; 16-byte Folded Reload
	;; [unrolled: 1-line block ×4, first 2 shown]
	scratch_load_dwordx4 v[104:107], off, off ; 16-byte Folded Reload
	scratch_load_dwordx4 v[108:111], off, off offset:16 ; 16-byte Folded Reload
	scratch_load_dwordx4 v[112:115], off, off offset:32 ; 16-byte Folded Reload
	;; [unrolled: 1-line block ×11, first 2 shown]
	s_waitcnt vmcnt(12)
	v_mfma_f32_32x32x16_fp8_fp8 v[88:103], v[84:85], v[76:77], v[88:103]
	s_waitcnt vmcnt(8)
	v_mfma_f32_32x32x16_fp8_fp8 v[104:119], v[84:85], v[80:81], v[104:119]
	;; [unrolled: 2-line block ×4, first 2 shown]
	v_mfma_f32_32x32x16_fp8_fp8 v[88:103], v[86:87], v[78:79], v[88:103]
	s_nop 7
	s_nop 2
	scratch_store_dwordx4 off, v[88:91], off offset:448 ; 16-byte Folded Spill
	s_nop 0
	scratch_store_dwordx4 off, v[92:95], off offset:464 ; 16-byte Folded Spill
	scratch_store_dwordx4 off, v[96:99], off offset:480 ; 16-byte Folded Spill
	;; [unrolled: 1-line block ×3, first 2 shown]
	v_mfma_f32_32x32x16_fp8_fp8 v[104:119], v[86:87], v[82:83], v[104:119]
	s_nop 7
	s_nop 2
	scratch_store_dwordx4 off, v[104:107], off ; 16-byte Folded Spill
	s_nop 0
	scratch_store_dwordx4 off, v[108:111], off offset:16 ; 16-byte Folded Spill
	scratch_store_dwordx4 off, v[112:115], off offset:32 ; 16-byte Folded Spill
	;; [unrolled: 1-line block ×3, first 2 shown]
	v_mfma_f32_32x32x16_fp8_fp8 v[0:15], v[86:87], v[74:75], v[0:15]
	s_nop 7
	s_nop 2
	scratch_store_dwordx4 off, v[0:3], off offset:64 ; 16-byte Folded Spill
	s_nop 0
	scratch_store_dwordx4 off, v[4:7], off offset:80 ; 16-byte Folded Spill
	scratch_store_dwordx4 off, v[8:11], off offset:96 ; 16-byte Folded Spill
	scratch_store_dwordx4 off, v[12:15], off offset:112 ; 16-byte Folded Spill
	v_mfma_f32_32x32x16_fp8_fp8 v[32:47], v[86:87], v[66:67], v[32:47]
	s_nop 7
	s_nop 2
	scratch_store_dwordx4 off, v[32:35], off offset:128 ; 16-byte Folded Spill
	s_nop 0
	scratch_store_dwordx4 off, v[36:39], off offset:144 ; 16-byte Folded Spill
	scratch_store_dwordx4 off, v[40:43], off offset:160 ; 16-byte Folded Spill
	;; [unrolled: 1-line block ×3, first 2 shown]
	scratch_load_dwordx4 v[32:35], off, off offset:512 ; 16-byte Folded Reload
	s_nop 0
	scratch_load_dwordx4 v[36:39], off, off offset:528 ; 16-byte Folded Reload
	scratch_load_dwordx4 v[40:43], off, off offset:544 ; 16-byte Folded Reload
	;; [unrolled: 1-line block ×15, first 2 shown]
	s_waitcnt vmcnt(12)
	v_mfma_f32_32x32x16_fp8_fp8 v[32:47], v[68:69], v[76:77], v[32:47]
	s_waitcnt vmcnt(8)
	v_mfma_f32_32x32x16_fp8_fp8 v[94:109], v[68:69], v[80:81], v[94:109]
	s_waitcnt vmcnt(4)
	v_mfma_f32_32x32x16_fp8_fp8 v[0:15], v[68:69], v[72:73], v[0:15]
	s_waitcnt vmcnt(0)
	v_mfma_f32_32x32x16_fp8_fp8 v[110:125], v[68:69], v[64:65], v[110:125]
	v_mfma_f32_32x32x16_fp8_fp8 v[32:47], v[70:71], v[78:79], v[32:47]
	v_mfma_f32_32x32x16_fp8_fp8 v[94:109], v[70:71], v[82:83], v[94:109]
	;; [unrolled: 1-line block ×3, first 2 shown]
	s_nop 7
	s_nop 2
	scratch_store_dwordx4 off, v[0:3], off offset:192 ; 16-byte Folded Spill
	s_nop 0
	scratch_store_dwordx4 off, v[4:7], off offset:208 ; 16-byte Folded Spill
	scratch_store_dwordx4 off, v[8:11], off offset:224 ; 16-byte Folded Spill
	;; [unrolled: 1-line block ×3, first 2 shown]
	v_mfma_f32_32x32x16_fp8_fp8 v[110:125], v[70:71], v[66:67], v[110:125]
	s_nop 7
	s_nop 2
	scratch_store_dwordx4 off, v[110:113], off offset:256 ; 16-byte Folded Spill
	s_nop 0
	scratch_store_dwordx4 off, v[114:117], off offset:272 ; 16-byte Folded Spill
	scratch_store_dwordx4 off, v[118:121], off offset:288 ; 16-byte Folded Spill
	;; [unrolled: 1-line block ×3, first 2 shown]
	s_cbranch_scc1 .LBB70_13
; %bb.12:                               ;   in Loop: Header=BB70_9 Depth=2
	scratch_load_dwordx4 v[110:113], off, off offset:384 ; 16-byte Folded Reload
	scratch_load_dwordx4 v[114:117], off, off offset:400 ; 16-byte Folded Reload
	;; [unrolled: 1-line block ×4, first 2 shown]
	s_branch .LBB70_9
.LBB70_13:                              ;   in Loop: Header=BB70_7 Depth=1
	scratch_load_dwordx4 v[72:75], off, off offset:448 ; 16-byte Folded Reload
	scratch_load_dwordx4 v[76:79], off, off offset:464 ; 16-byte Folded Reload
	;; [unrolled: 1-line block ×8, first 2 shown]
.LBB70_14:                              ;   in Loop: Header=BB70_7 Depth=1
	s_waitcnt vmcnt(0)
	scratch_store_dwordx4 off, v[0:3], off offset:384 ; 16-byte Folded Spill
	s_nop 0
	scratch_store_dwordx4 off, v[4:7], off offset:400 ; 16-byte Folded Spill
	scratch_store_dwordx4 off, v[8:11], off offset:416 ; 16-byte Folded Spill
	;; [unrolled: 1-line block ×3, first 2 shown]
	scratch_load_dword v0, off, off offset:664 ; 4-byte Folded Reload
	;;#ASMSTART
	v_add_f32 v80, v81, v80 row_shl:1 bound_ctrl:0 
	;;#ASMEND
	;;#ASMSTART
	v_add_f32 v72, v73, v72 row_shl:1 bound_ctrl:0 
	;;#ASMEND
	;;#ASMSTART
	v_add_f32 v102, v103, v102 row_shl:1 bound_ctrl:0 
	;;#ASMEND
	;;#ASMSTART
	v_add_f32 v94, v95, v94 row_shl:1 bound_ctrl:0 
	;;#ASMEND
	;;#ASMSTART
	v_add_f32 v40, v41, v40 row_shl:1 bound_ctrl:0 
	;;#ASMEND
	;;#ASMSTART
	v_add_f32 v56, v57, v56 row_shl:1 bound_ctrl:0 
	;;#ASMEND
	s_nop 0
	;;#ASMSTART
	v_add_f32 v80, v82, v80 row_shl:2 bound_ctrl:0 
	;;#ASMEND
	;;#ASMSTART
	v_add_f32 v72, v74, v72 row_shl:2 bound_ctrl:0 
	;;#ASMEND
	;;#ASMSTART
	v_add_f32 v102, v104, v102 row_shl:2 bound_ctrl:0 
	;;#ASMEND
	;;#ASMSTART
	v_add_f32 v94, v96, v94 row_shl:2 bound_ctrl:0 
	;;#ASMEND
	;;#ASMSTART
	v_add_f32 v24, v25, v24 row_shl:1 bound_ctrl:0 
	;;#ASMEND
	;;#ASMSTART
	v_add_f32 v40, v42, v40 row_shl:2 bound_ctrl:0 
	;;#ASMEND
	s_nop 0
	;; [unrolled: 19-line block ×6, first 2 shown]
	;;#ASMSTART
	v_add_f32 v80, v87, v80 row_shl:11 bound_ctrl:0 
	;;#ASMEND
	;;#ASMSTART
	v_add_f32 v72, v79, v72 row_shl:11 bound_ctrl:0 
	;;#ASMEND
	;;#ASMSTART
	v_add_f32 v102, v109, v102 row_shl:11 bound_ctrl:0 
	;;#ASMEND
	;;#ASMSTART
	v_add_f32 v94, v101, v94 row_shl:11 bound_ctrl:0 
	;;#ASMEND
	;;#ASMSTART
	v_add_f32 v40, v45, v40 row_shl:9 bound_ctrl:0 
	;;#ASMEND
	;;#ASMSTART
	v_add_f32 v56, v61, v56 row_shl:9 bound_ctrl:0 
	;;#ASMEND
	;;#ASMSTART
	v_add_f32 v24, v29, v24 row_shl:9 bound_ctrl:0 
	;;#ASMEND
	;;#ASMSTART
	v_add_f32 v32, v33, v32 row_shl:1 bound_ctrl:0 
	;;#ASMEND
	;;#ASMSTART
	v_add_f32 v48, v49, v48 row_shl:1 bound_ctrl:0 
	;;#ASMEND
	;;#ASMSTART
	v_add_f32 v16, v17, v16 row_shl:1 bound_ctrl:0 
	;;#ASMEND
	s_nop 0
	;;#ASMSTART
	v_add_f32 v40, v46, v40 row_shl:10 bound_ctrl:0 
	;;#ASMEND
	;;#ASMSTART
	v_add_f32 v56, v62, v56 row_shl:10 bound_ctrl:0 
	;;#ASMEND
	;; [unrolled: 3-line block ×6, first 2 shown]
	s_nop 0
	;;#ASMSTART
	v_add_f32 v40, v47, v40 row_shl:11 bound_ctrl:0 
	;;#ASMEND
	;;#ASMSTART
	v_add_f32 v56, v63, v56 row_shl:11 bound_ctrl:0 
	;;#ASMEND
	;; [unrolled: 3-line block ×6, first 2 shown]
	s_waitcnt vmcnt(0)
	ds_bpermute_b32 v64, v0, v80 offset:208
	ds_bpermute_b32 v69, v0, v102 offset:208
	;; [unrolled: 1-line block ×5, first 2 shown]
	s_waitcnt lgkmcnt(0)
	v_add_f32_e32 v64, v80, v64
	scratch_load_dwordx4 v[74:77], off, off ; 16-byte Folded Reload
	scratch_load_dwordx4 v[78:81], off, off offset:16 ; 16-byte Folded Reload
	scratch_load_dwordx4 v[82:85], off, off offset:32 ; 16-byte Folded Reload
	;; [unrolled: 1-line block ×3, first 2 shown]
	v_add_f32_e32 v69, v102, v69
	;;#ASMSTART
	v_add_f32 v32, v36, v32 row_shl:8 bound_ctrl:0 
	;;#ASMEND
	;;#ASMSTART
	v_add_f32 v48, v52, v48 row_shl:8 bound_ctrl:0 
	;;#ASMEND
	;;#ASMSTART
	v_add_f32 v16, v20, v16 row_shl:8 bound_ctrl:0 
	;;#ASMEND
	v_add_f32_e32 v68, v40, v68
	;;#ASMSTART
	v_add_f32 v32, v37, v32 row_shl:9 bound_ctrl:0 
	;;#ASMEND
	;;#ASMSTART
	v_add_f32 v48, v53, v48 row_shl:9 bound_ctrl:0 
	;;#ASMEND
	;;#ASMSTART
	v_add_f32 v16, v21, v16 row_shl:9 bound_ctrl:0 
	;;#ASMEND
	;; [unrolled: 10-line block ×3, first 2 shown]
	v_add_f32_e32 v4, v24, v4
	ds_bpermute_b32 v64, v0, v64 offset:64
	;;#ASMSTART
	v_add_f32 v32, v39, v32 row_shl:11 bound_ctrl:0 
	;;#ASMEND
	ds_bpermute_b32 v68, v0, v68 offset:64
	ds_bpermute_b32 v69, v0, v69 offset:64
	;;#ASMSTART
	v_add_f32 v48, v55, v48 row_shl:11 bound_ctrl:0 
	;;#ASMEND
	ds_bpermute_b32 v3, v0, v3 offset:64
	;;#ASMSTART
	v_add_f32 v16, v23, v16 row_shl:11 bound_ctrl:0 
	;;#ASMEND
	ds_bpermute_b32 v10, v0, v4 offset:64
	ds_bpermute_b32 v4, v0, v72 offset:144
	;; [unrolled: 1-line block ×6, first 2 shown]
	s_waitcnt vmcnt(1)
	;;#ASMSTART
	v_add_f32 v82, v83, v82 row_shl:1 bound_ctrl:0 
	;;#ASMEND
	s_nop 0
	;;#ASMSTART
	v_add_f32 v82, v84, v82 row_shl:2 bound_ctrl:0 
	;;#ASMEND
	;;#ASMSTART
	v_add_f32 v74, v75, v74 row_shl:1 bound_ctrl:0 
	;;#ASMEND
	s_nop 0
	;;#ASMSTART
	v_add_f32 v82, v85, v82 row_shl:3 bound_ctrl:0 
	;;#ASMEND
	;;#ASMSTART
	v_add_f32 v74, v76, v74 row_shl:2 bound_ctrl:0 
	;;#ASMEND
	s_waitcnt vmcnt(0)
	;;#ASMSTART
	v_add_f32 v82, v86, v82 row_shl:8 bound_ctrl:0 
	;;#ASMEND
	;;#ASMSTART
	v_add_f32 v74, v77, v74 row_shl:3 bound_ctrl:0 
	;;#ASMEND
	s_nop 0
	;;#ASMSTART
	v_add_f32 v82, v87, v82 row_shl:9 bound_ctrl:0 
	;;#ASMEND
	;;#ASMSTART
	v_add_f32 v74, v78, v74 row_shl:8 bound_ctrl:0 
	;;#ASMEND
	s_nop 0
	;;#ASMSTART
	v_add_f32 v82, v88, v82 row_shl:10 bound_ctrl:0 
	;;#ASMEND
	;;#ASMSTART
	v_add_f32 v74, v79, v74 row_shl:9 bound_ctrl:0 
	;;#ASMEND
	s_nop 0
	;;#ASMSTART
	v_add_f32 v82, v89, v82 row_shl:11 bound_ctrl:0 
	;;#ASMEND
	ds_bpermute_b32 v65, v0, v82 offset:208
	;;#ASMSTART
	v_add_f32 v74, v80, v74 row_shl:10 bound_ctrl:0 
	;;#ASMEND
	s_waitcnt lgkmcnt(0)
	v_add_f32_e32 v65, v82, v65
	;;#ASMSTART
	v_add_f32 v74, v81, v74 row_shl:11 bound_ctrl:0 
	;;#ASMEND
	scratch_load_dwordx4 v[76:79], off, off offset:64 ; 16-byte Folded Reload
	scratch_load_dwordx4 v[80:83], off, off offset:80 ; 16-byte Folded Reload
	;; [unrolled: 1-line block ×4, first 2 shown]
	ds_bpermute_b32 v65, v0, v65 offset:64
	ds_bpermute_b32 v5, v0, v74 offset:144
	s_waitcnt vmcnt(1)
	;;#ASMSTART
	v_add_f32 v84, v85, v84 row_shl:1 bound_ctrl:0 
	;;#ASMEND
	s_nop 0
	;;#ASMSTART
	v_add_f32 v84, v86, v84 row_shl:2 bound_ctrl:0 
	;;#ASMEND
	;;#ASMSTART
	v_add_f32 v76, v77, v76 row_shl:1 bound_ctrl:0 
	;;#ASMEND
	s_nop 0
	;;#ASMSTART
	v_add_f32 v84, v87, v84 row_shl:3 bound_ctrl:0 
	;;#ASMEND
	;;#ASMSTART
	v_add_f32 v76, v78, v76 row_shl:2 bound_ctrl:0 
	;;#ASMEND
	s_waitcnt vmcnt(0)
	;;#ASMSTART
	v_add_f32 v84, v88, v84 row_shl:8 bound_ctrl:0 
	;;#ASMEND
	;;#ASMSTART
	v_add_f32 v76, v79, v76 row_shl:3 bound_ctrl:0 
	;;#ASMEND
	s_nop 0
	;;#ASMSTART
	v_add_f32 v84, v89, v84 row_shl:9 bound_ctrl:0 
	;;#ASMEND
	;;#ASMSTART
	v_add_f32 v76, v80, v76 row_shl:8 bound_ctrl:0 
	;;#ASMEND
	s_nop 0
	;; [unrolled: 7-line block ×3, first 2 shown]
	;;#ASMSTART
	v_add_f32 v84, v91, v84 row_shl:11 bound_ctrl:0 
	;;#ASMEND
	ds_bpermute_b32 v66, v0, v84 offset:208
	;;#ASMSTART
	v_add_f32 v76, v82, v76 row_shl:10 bound_ctrl:0 
	;;#ASMEND
	s_waitcnt lgkmcnt(0)
	v_add_f32_e32 v66, v84, v66
	;;#ASMSTART
	v_add_f32 v76, v83, v76 row_shl:11 bound_ctrl:0 
	;;#ASMEND
	scratch_load_dwordx4 v[78:81], off, off offset:128 ; 16-byte Folded Reload
	scratch_load_dwordx4 v[82:85], off, off offset:144 ; 16-byte Folded Reload
	scratch_load_dwordx4 v[86:89], off, off offset:160 ; 16-byte Folded Reload
	scratch_load_dwordx4 v[90:93], off, off offset:176 ; 16-byte Folded Reload
	scratch_load_dwordx4 v[96:99], off, off offset:192 ; 16-byte Folded Reload
	scratch_load_dwordx4 v[100:103], off, off offset:208 ; 16-byte Folded Reload
	scratch_load_dwordx4 v[104:107], off, off offset:224 ; 16-byte Folded Reload
	scratch_load_dwordx4 v[108:111], off, off offset:240 ; 16-byte Folded Reload
	ds_bpermute_b32 v66, v0, v66 offset:64
	ds_bpermute_b32 v6, v0, v76 offset:144
	s_waitcnt vmcnt(1)
	;;#ASMSTART
	v_add_f32 v104, v105, v104 row_shl:1 bound_ctrl:0 
	;;#ASMEND
	s_nop 0
	;;#ASMSTART
	v_add_f32 v104, v106, v104 row_shl:2 bound_ctrl:0 
	;;#ASMEND
	;;#ASMSTART
	v_add_f32 v96, v97, v96 row_shl:1 bound_ctrl:0 
	;;#ASMEND
	;; [unrolled: 3-line block ×4, first 2 shown]
	s_nop 0
	;;#ASMSTART
	v_add_f32 v104, v107, v104 row_shl:3 bound_ctrl:0 
	;;#ASMEND
	;;#ASMSTART
	v_add_f32 v96, v98, v96 row_shl:2 bound_ctrl:0 
	;;#ASMEND
	;; [unrolled: 3-line block ×4, first 2 shown]
	s_waitcnt vmcnt(0)
	;;#ASMSTART
	v_add_f32 v104, v108, v104 row_shl:8 bound_ctrl:0 
	;;#ASMEND
	;;#ASMSTART
	v_add_f32 v96, v99, v96 row_shl:3 bound_ctrl:0 
	;;#ASMEND
	;;#ASMSTART
	v_add_f32 v86, v89, v86 row_shl:3 bound_ctrl:0 
	;;#ASMEND
	;;#ASMSTART
	v_add_f32 v78, v81, v78 row_shl:3 bound_ctrl:0 
	;;#ASMEND
	s_nop 0
	;;#ASMSTART
	v_add_f32 v104, v109, v104 row_shl:9 bound_ctrl:0 
	;;#ASMEND
	;;#ASMSTART
	v_add_f32 v96, v100, v96 row_shl:8 bound_ctrl:0 
	;;#ASMEND
	;;#ASMSTART
	v_add_f32 v86, v90, v86 row_shl:8 bound_ctrl:0 
	;;#ASMEND
	;;#ASMSTART
	v_add_f32 v78, v82, v78 row_shl:8 bound_ctrl:0 
	;;#ASMEND
	s_nop 0
	;; [unrolled: 13-line block ×3, first 2 shown]
	;;#ASMSTART
	v_add_f32 v104, v111, v104 row_shl:11 bound_ctrl:0 
	;;#ASMEND
	ds_bpermute_b32 v70, v0, v104 offset:208
	;;#ASMSTART
	v_add_f32 v96, v102, v96 row_shl:10 bound_ctrl:0 
	;;#ASMEND
	;;#ASMSTART
	v_add_f32 v86, v92, v86 row_shl:10 bound_ctrl:0 
	;;#ASMEND
	;; [unrolled: 3-line block ×3, first 2 shown]
	s_waitcnt lgkmcnt(0)
	v_add_f32_e32 v70, v104, v70
	;;#ASMSTART
	v_add_f32 v96, v103, v96 row_shl:11 bound_ctrl:0 
	;;#ASMEND
	scratch_load_dwordx4 v[98:101], off, off offset:256 ; 16-byte Folded Reload
	scratch_load_dwordx4 v[102:105], off, off offset:272 ; 16-byte Folded Reload
	;; [unrolled: 1-line block ×4, first 2 shown]
	;;#ASMSTART
	v_add_f32 v86, v93, v86 row_shl:11 bound_ctrl:0 
	;;#ASMEND
	ds_bpermute_b32 v67, v0, v86 offset:208
	;;#ASMSTART
	v_add_f32 v78, v85, v78 row_shl:11 bound_ctrl:0 
	;;#ASMEND
	ds_bpermute_b32 v70, v0, v70 offset:64
	ds_bpermute_b32 v7, v0, v78 offset:144
	;; [unrolled: 1-line block ×3, first 2 shown]
	s_waitcnt lgkmcnt(3)
	v_add_f32_e32 v67, v86, v67
	ds_bpermute_b32 v67, v0, v67 offset:64
	s_waitcnt vmcnt(1)
	;;#ASMSTART
	v_add_f32 v106, v107, v106 row_shl:1 bound_ctrl:0 
	;;#ASMEND
	s_nop 0
	;;#ASMSTART
	v_add_f32 v106, v108, v106 row_shl:2 bound_ctrl:0 
	;;#ASMEND
	;;#ASMSTART
	v_add_f32 v98, v99, v98 row_shl:1 bound_ctrl:0 
	;;#ASMEND
	s_nop 0
	;;#ASMSTART
	v_add_f32 v106, v109, v106 row_shl:3 bound_ctrl:0 
	;;#ASMEND
	;;#ASMSTART
	v_add_f32 v98, v100, v98 row_shl:2 bound_ctrl:0 
	;;#ASMEND
	s_waitcnt vmcnt(0)
	;;#ASMSTART
	v_add_f32 v106, v110, v106 row_shl:8 bound_ctrl:0 
	;;#ASMEND
	;;#ASMSTART
	v_add_f32 v98, v101, v98 row_shl:3 bound_ctrl:0 
	;;#ASMEND
	s_nop 0
	;;#ASMSTART
	v_add_f32 v106, v111, v106 row_shl:9 bound_ctrl:0 
	;;#ASMEND
	;;#ASMSTART
	v_add_f32 v98, v102, v98 row_shl:8 bound_ctrl:0 
	;;#ASMEND
	s_nop 0
	;; [unrolled: 7-line block ×3, first 2 shown]
	;;#ASMSTART
	v_add_f32 v106, v113, v106 row_shl:11 bound_ctrl:0 
	;;#ASMEND
	ds_bpermute_b32 v71, v0, v106 offset:208
	;;#ASMSTART
	v_add_f32 v98, v104, v98 row_shl:10 bound_ctrl:0 
	;;#ASMEND
	s_waitcnt lgkmcnt(0)
	v_add_f32_e32 v71, v106, v71
	;;#ASMSTART
	v_add_f32 v98, v105, v98 row_shl:11 bound_ctrl:0 
	;;#ASMEND
	scratch_load_dwordx4 v[100:103], off, off offset:384 ; 16-byte Folded Reload
	scratch_load_dwordx4 v[104:107], off, off offset:400 ; 16-byte Folded Reload
	scratch_load_dwordx4 v[108:111], off, off offset:416 ; 16-byte Folded Reload
	scratch_load_dwordx4 v[112:115], off, off offset:432 ; 16-byte Folded Reload
	ds_bpermute_b32 v71, v0, v71 offset:64
	ds_bpermute_b32 v12, v0, v98 offset:144
	s_waitcnt vmcnt(1)
	;;#ASMSTART
	v_add_f32 v108, v109, v108 row_shl:1 bound_ctrl:0 
	;;#ASMEND
	s_nop 0
	;;#ASMSTART
	v_add_f32 v108, v110, v108 row_shl:2 bound_ctrl:0 
	;;#ASMEND
	;;#ASMSTART
	v_add_f32 v100, v101, v100 row_shl:1 bound_ctrl:0 
	;;#ASMEND
	s_nop 0
	;;#ASMSTART
	v_add_f32 v108, v111, v108 row_shl:3 bound_ctrl:0 
	;;#ASMEND
	;;#ASMSTART
	v_add_f32 v100, v102, v100 row_shl:2 bound_ctrl:0 
	;;#ASMEND
	s_waitcnt vmcnt(0)
	;;#ASMSTART
	v_add_f32 v108, v112, v108 row_shl:8 bound_ctrl:0 
	;;#ASMEND
	;;#ASMSTART
	v_add_f32 v100, v103, v100 row_shl:3 bound_ctrl:0 
	;;#ASMEND
	s_nop 0
	;;#ASMSTART
	v_add_f32 v108, v113, v108 row_shl:9 bound_ctrl:0 
	;;#ASMEND
	;;#ASMSTART
	v_add_f32 v100, v104, v100 row_shl:8 bound_ctrl:0 
	;;#ASMEND
	s_nop 0
	;; [unrolled: 7-line block ×3, first 2 shown]
	;;#ASMSTART
	v_add_f32 v108, v115, v108 row_shl:11 bound_ctrl:0 
	;;#ASMEND
	ds_bpermute_b32 v1, v0, v108 offset:208
	;;#ASMSTART
	v_add_f32 v100, v106, v100 row_shl:10 bound_ctrl:0 
	;;#ASMEND
	s_waitcnt lgkmcnt(0)
	v_add_f32_e32 v1, v108, v1
	;;#ASMSTART
	v_add_f32 v100, v107, v100 row_shl:11 bound_ctrl:0 
	;;#ASMEND
	scratch_load_dwordx4 v[102:105], off, off offset:320 ; 16-byte Folded Reload
	scratch_load_dwordx4 v[106:109], off, off offset:336 ; 16-byte Folded Reload
	;; [unrolled: 1-line block ×4, first 2 shown]
	ds_bpermute_b32 v1, v0, v1 offset:64
	ds_bpermute_b32 v13, v0, v100 offset:144
	s_waitcnt vmcnt(1)
	;;#ASMSTART
	v_add_f32 v110, v111, v110 row_shl:1 bound_ctrl:0 
	;;#ASMEND
	s_nop 0
	;;#ASMSTART
	v_add_f32 v110, v112, v110 row_shl:2 bound_ctrl:0 
	;;#ASMEND
	;;#ASMSTART
	v_add_f32 v102, v103, v102 row_shl:1 bound_ctrl:0 
	;;#ASMEND
	s_nop 0
	;;#ASMSTART
	v_add_f32 v110, v113, v110 row_shl:3 bound_ctrl:0 
	;;#ASMEND
	;;#ASMSTART
	v_add_f32 v102, v104, v102 row_shl:2 bound_ctrl:0 
	;;#ASMEND
	s_waitcnt vmcnt(0)
	;;#ASMSTART
	v_add_f32 v110, v114, v110 row_shl:8 bound_ctrl:0 
	;;#ASMEND
	;;#ASMSTART
	v_add_f32 v102, v105, v102 row_shl:3 bound_ctrl:0 
	;;#ASMEND
	s_nop 0
	;;#ASMSTART
	v_add_f32 v110, v115, v110 row_shl:9 bound_ctrl:0 
	;;#ASMEND
	;;#ASMSTART
	v_add_f32 v102, v106, v102 row_shl:8 bound_ctrl:0 
	;;#ASMEND
	s_nop 0
	;; [unrolled: 7-line block ×3, first 2 shown]
	;;#ASMSTART
	v_add_f32 v110, v117, v110 row_shl:11 bound_ctrl:0 
	;;#ASMEND
	ds_bpermute_b32 v2, v0, v110 offset:208
	;;#ASMSTART
	v_add_f32 v102, v108, v102 row_shl:10 bound_ctrl:0 
	;;#ASMEND
	s_waitcnt lgkmcnt(0)
	v_add_f32_e32 v2, v110, v2
	;;#ASMSTART
	v_add_f32 v102, v109, v102 row_shl:11 bound_ctrl:0 
	;;#ASMEND
	ds_bpermute_b32 v2, v0, v2 offset:64
	ds_bpermute_b32 v14, v0, v102 offset:144
	s_mov_b64 s[20:21], exec
	scratch_load_dwordx2 v[18:19], off, off offset:656 ; 8-byte Folded Reload
	s_and_b64 s[24:25], s[20:21], s[0:1]
	s_mov_b64 exec, s[24:25]
	s_cbranch_execz .LBB70_6
; %bb.15:                               ;   in Loop: Header=BB70_7 Depth=1
	v_add_f32_e32 v15, v48, v15
	v_add_f32_e32 v0, v100, v13
	;; [unrolled: 1-line block ×16, first 2 shown]
	v_mul_f32_e32 v0, s7, v0
	v_mul_f32_e32 v1, s7, v1
	s_waitcnt lgkmcnt(0)
	v_add_f32_e32 v14, v102, v14
	v_fma_mixlo_f16 v0, s22, v0, 0
	s_waitcnt vmcnt(0)
	v_mov_b32_e32 v19, v127
	v_mul_f32_e32 v4, s7, v5
	v_fma_mixlo_f16 v1, s22, v1, 0
	v_mul_f32_e32 v5, s7, v7
	v_add_f32_e32 v14, v14, v2
	v_lshl_add_u64 v[2:3], v[18:19], 1, s[14:15]
	v_fma_mixhi_f16 v1, s22, v5, 0
	v_fma_mixhi_f16 v0, s22, v4, 0
	global_store_dwordx2 v[2:3], v[0:1], off
	v_add_u32_e32 v126, s6, v18
	v_mul_f32_e32 v0, s7, v8
	v_fma_mixlo_f16 v2, s22, v0, 0
	v_lshl_add_u64 v[0:1], v[126:127], 1, s[14:15]
	global_store_short v[0:1], v2, off
	v_mul_f32_e32 v0, s7, v9
	v_add_f32_e32 v11, v96, v11
	v_fma_mixlo_f16 v2, s22, v0, 0
	v_add_u32_e32 v0, 1, v126
	v_mov_b32_e32 v1, v127
	v_add_f32_e32 v11, v11, v70
	v_lshl_add_u64 v[0:1], v[0:1], 1, s[14:15]
	global_store_short v[0:1], v2, off
	v_mul_f32_e32 v0, s7, v11
	v_add_f32_e32 v12, v98, v12
	v_fma_mixlo_f16 v2, s22, v0, 0
	v_add_u32_e32 v0, 2, v126
	v_mov_b32_e32 v1, v127
	v_add_f32_e32 v12, v12, v71
	v_lshl_add_u64 v[0:1], v[0:1], 1, s[14:15]
	global_store_short v[0:1], v2, off
	v_mul_f32_e32 v0, s7, v12
	v_fma_mixlo_f16 v2, s22, v0, 0
	v_add_u32_e32 v0, 3, v126
	v_mov_b32_e32 v1, v127
	v_lshl_add_u64 v[0:1], v[0:1], 1, s[14:15]
	global_store_short v[0:1], v2, off
	v_mul_f32_e32 v0, s7, v15
	v_add_u32_e32 v126, s6, v126
	v_fma_mixlo_f16 v2, s22, v0, 0
	v_mul_f32_e32 v3, s7, v14
	v_lshl_add_u64 v[0:1], v[126:127], 1, s[14:15]
	v_fma_mixhi_f16 v2, s22, v3, 0
	global_store_dword v[0:1], v2, off
	v_mul_f32_e32 v0, s7, v13
	v_add_f32_e32 v16, v16, v17
	v_fma_mixlo_f16 v2, s22, v0, 0
	v_add_u32_e32 v0, 2, v126
	v_mov_b32_e32 v1, v127
	v_add_f32_e32 v10, v16, v10
	v_lshl_add_u64 v[0:1], v[0:1], 1, s[14:15]
	global_store_short v[0:1], v2, off
	v_mul_f32_e32 v0, s7, v10
	v_add_u32_e32 v126, 3, v126
	v_fma_mixlo_f16 v2, s22, v0, 0
	v_lshl_add_u64 v[0:1], v[126:127], 1, s[14:15]
	global_store_short v[0:1], v2, off
	s_branch .LBB70_6
.LBB70_16:
	s_endpgm
	.section	.rodata,"a",@progbits
	.p2align	6, 0x0
	.amdhsa_kernel _ZN5aiter17wvSplitKQ_hf_sml_I6__halfhLi64ELi4ELi16ELi16ELi1ELi3EEEviiiPKT0_S4_PT_PKfS8_ii
		.amdhsa_group_segment_fixed_size 65536
		.amdhsa_private_segment_fixed_size 672
		.amdhsa_kernarg_size 64
		.amdhsa_user_sgpr_count 2
		.amdhsa_user_sgpr_dispatch_ptr 0
		.amdhsa_user_sgpr_queue_ptr 0
		.amdhsa_user_sgpr_kernarg_segment_ptr 1
		.amdhsa_user_sgpr_dispatch_id 0
		.amdhsa_user_sgpr_kernarg_preload_length 0
		.amdhsa_user_sgpr_kernarg_preload_offset 0
		.amdhsa_user_sgpr_private_segment_size 0
		.amdhsa_uses_dynamic_stack 0
		.amdhsa_enable_private_segment 1
		.amdhsa_system_sgpr_workgroup_id_x 1
		.amdhsa_system_sgpr_workgroup_id_y 0
		.amdhsa_system_sgpr_workgroup_id_z 0
		.amdhsa_system_sgpr_workgroup_info 0
		.amdhsa_system_vgpr_workitem_id 1
		.amdhsa_next_free_vgpr 128
		.amdhsa_next_free_sgpr 26
		.amdhsa_accum_offset 128
		.amdhsa_reserve_vcc 1
		.amdhsa_float_round_mode_32 0
		.amdhsa_float_round_mode_16_64 0
		.amdhsa_float_denorm_mode_32 3
		.amdhsa_float_denorm_mode_16_64 3
		.amdhsa_dx10_clamp 1
		.amdhsa_ieee_mode 1
		.amdhsa_fp16_overflow 0
		.amdhsa_tg_split 0
		.amdhsa_exception_fp_ieee_invalid_op 0
		.amdhsa_exception_fp_denorm_src 0
		.amdhsa_exception_fp_ieee_div_zero 0
		.amdhsa_exception_fp_ieee_overflow 0
		.amdhsa_exception_fp_ieee_underflow 0
		.amdhsa_exception_fp_ieee_inexact 0
		.amdhsa_exception_int_div_zero 0
	.end_amdhsa_kernel
	.section	.text._ZN5aiter17wvSplitKQ_hf_sml_I6__halfhLi64ELi4ELi16ELi16ELi1ELi3EEEviiiPKT0_S4_PT_PKfS8_ii,"axG",@progbits,_ZN5aiter17wvSplitKQ_hf_sml_I6__halfhLi64ELi4ELi16ELi16ELi1ELi3EEEviiiPKT0_S4_PT_PKfS8_ii,comdat
.Lfunc_end70:
	.size	_ZN5aiter17wvSplitKQ_hf_sml_I6__halfhLi64ELi4ELi16ELi16ELi1ELi3EEEviiiPKT0_S4_PT_PKfS8_ii, .Lfunc_end70-_ZN5aiter17wvSplitKQ_hf_sml_I6__halfhLi64ELi4ELi16ELi16ELi1ELi3EEEviiiPKT0_S4_PT_PKfS8_ii
                                        ; -- End function
	.section	.AMDGPU.csdata,"",@progbits
; Kernel info:
; codeLenInByte = 5724
; NumSgprs: 32
; NumVgprs: 128
; NumAgprs: 0
; TotalNumVgprs: 128
; ScratchSize: 672
; MemoryBound: 1
; FloatMode: 240
; IeeeMode: 1
; LDSByteSize: 65536 bytes/workgroup (compile time only)
; SGPRBlocks: 3
; VGPRBlocks: 15
; NumSGPRsForWavesPerEU: 32
; NumVGPRsForWavesPerEU: 128
; AccumOffset: 128
; Occupancy: 4
; WaveLimiterHint : 0
; COMPUTE_PGM_RSRC2:SCRATCH_EN: 1
; COMPUTE_PGM_RSRC2:USER_SGPR: 2
; COMPUTE_PGM_RSRC2:TRAP_HANDLER: 0
; COMPUTE_PGM_RSRC2:TGID_X_EN: 1
; COMPUTE_PGM_RSRC2:TGID_Y_EN: 0
; COMPUTE_PGM_RSRC2:TGID_Z_EN: 0
; COMPUTE_PGM_RSRC2:TIDIG_COMP_CNT: 1
; COMPUTE_PGM_RSRC3_GFX90A:ACCUM_OFFSET: 31
; COMPUTE_PGM_RSRC3_GFX90A:TG_SPLIT: 0
	.section	.text._ZN5aiter13wvSplitKQ_hf_I6__halfhLi64ELi7ELi16ELi16ELi1ELi3EEEviiiPKT0_S4_PT_PKfS8_ii,"axG",@progbits,_ZN5aiter13wvSplitKQ_hf_I6__halfhLi64ELi7ELi16ELi16ELi1ELi3EEEviiiPKT0_S4_PT_PKfS8_ii,comdat
	.protected	_ZN5aiter13wvSplitKQ_hf_I6__halfhLi64ELi7ELi16ELi16ELi1ELi3EEEviiiPKT0_S4_PT_PKfS8_ii ; -- Begin function _ZN5aiter13wvSplitKQ_hf_I6__halfhLi64ELi7ELi16ELi16ELi1ELi3EEEviiiPKT0_S4_PT_PKfS8_ii
	.globl	_ZN5aiter13wvSplitKQ_hf_I6__halfhLi64ELi7ELi16ELi16ELi1ELi3EEEviiiPKT0_S4_PT_PKfS8_ii
	.p2align	8
	.type	_ZN5aiter13wvSplitKQ_hf_I6__halfhLi64ELi7ELi16ELi16ELi1ELi3EEEviiiPKT0_S4_PT_PKfS8_ii,@function
_ZN5aiter13wvSplitKQ_hf_I6__halfhLi64ELi7ELi16ELi16ELi1ELi3EEEviiiPKT0_S4_PT_PKfS8_ii: ; @_ZN5aiter13wvSplitKQ_hf_I6__halfhLi64ELi7ELi16ELi16ELi1ELi3EEEviiiPKT0_S4_PT_PKfS8_ii
; %bb.0:
	s_load_dwordx4 s[20:23], s[0:1], 0x0
	s_load_dwordx2 s[24:25], s[0:1], 0x18
	s_load_dwordx4 s[4:7], s[0:1], 0x28
	v_bfe_u32 v1, v0, 10, 10
	v_and_b32_e32 v0, 0x3ff, v0
	v_lshlrev_b32_e32 v4, 4, v0
	v_mov_b32_e32 v2, v4
	s_waitcnt lgkmcnt(0)
	s_mul_i32 s3, s20, 3
	scratch_store_dwordx2 off, v[2:3], off offset:2824 ; 8-byte Folded Spill
	v_lshl_add_u32 v2, v1, 10, v4
	s_min_i32 s3, s3, 0x10000
	v_cmp_gt_u32_e32 vcc, s3, v2
	s_and_saveexec_b64 s[8:9], vcc
	s_cbranch_execz .LBB71_3
; %bb.1:
	s_mov_b64 s[10:11], 0
.LBB71_2:                               ; =>This Inner Loop Header: Depth=1
	global_load_dwordx4 v[4:7], v2, s[24:25]
	s_waitcnt vmcnt(0)
	ds_write_b128 v2, v[4:7]
	v_add_u32_e32 v2, 0x4000, v2
	v_cmp_le_u32_e32 vcc, s3, v2
	s_or_b64 s[10:11], vcc, s[10:11]
	s_andn2_b64 exec, exec, s[10:11]
	s_cbranch_execnz .LBB71_2
.LBB71_3:
	s_or_b64 exec, exec, s[8:9]
	s_load_dwordx2 s[8:9], s[0:1], 0x38
	s_waitcnt lgkmcnt(0)
	s_barrier
	v_cmp_gt_u32_e32 vcc, s8, v1
	s_and_saveexec_b64 s[10:11], vcc
	s_cbranch_execz .LBB71_56
; %bb.4:
	s_mul_i32 s2, s2, s8
	v_add_u32_e32 v1, s2, v1
	v_mul_lo_u32 v10, v1, 7
	v_cmp_gt_u32_e32 vcc, s22, v10
	s_and_b64 exec, exec, vcc
	s_cbranch_execz .LBB71_56
; %bb.5:
	s_load_dword s23, s[4:5], 0x0
	s_load_dword s33, s[6:7], 0x0
	s_load_dwordx2 s[26:27], s[0:1], 0x10
	s_load_dwordx2 s[28:29], s[0:1], 0x20
	scratch_load_dwordx2 v[2:3], off, off offset:2824 ; 8-byte Folded Reload
	s_mov_b32 s4, 0
	v_cmp_eq_u32_e64 s[0:1], 0, v0
	v_mul_lo_u32 v0, s21, v1
	s_mov_b32 s5, s4
	s_mov_b32 s6, s4
	;; [unrolled: 1-line block ×3, first 2 shown]
	s_mul_i32 s38, s8, s9
	s_cmp_lg_u32 s20, 0
	s_mul_i32 s38, s38, 7
	s_cselect_b64 s[30:31], -1, 0
	s_lshl_b32 s39, s22, 1
	s_mul_i32 s40, s38, s21
	s_ashr_i32 s35, s21, 31
	s_mov_b32 s34, s21
	s_mov_b64 s[36:37], 0
	v_mov_b32_e32 v21, 0
	s_mov_b32 s21, 0xffff
	s_waitcnt vmcnt(0)
	v_mad_u64_u32 v[0:1], s[2:3], v0, 7, v[2:3]
	scratch_store_dwordx2 off, v[0:1], off offset:2968 ; 8-byte Folded Spill
	v_mov_b64_e32 v[0:1], s[4:5]
	v_mov_b64_e32 v[2:3], s[6:7]
	scratch_store_dwordx4 off, v[0:3], off offset:2976 ; 16-byte Folded Spill
	s_nop 1
	v_mbcnt_lo_u32_b32 v0, -1, 0
	v_mbcnt_hi_u32_b32 v0, -1, v0
	v_lshlrev_b32_e32 v0, 2, v0
	v_and_b32_e32 v20, 0x100, v0
	scratch_store_dword off, v20, off offset:2992 ; 4-byte Folded Spill
	s_branch .LBB71_7
.LBB71_6:                               ;   in Loop: Header=BB71_7 Depth=1
	s_or_b64 exec, exec, s[6:7]
	scratch_load_dwordx2 v[0:1], off, off offset:2968 ; 8-byte Folded Reload
	s_waitcnt vmcnt(1)
	v_add_u32_e32 v10, s38, v10
	v_cmp_le_u32_e32 vcc, s22, v10
	s_or_b64 s[36:37], vcc, s[36:37]
	s_waitcnt vmcnt(0)
	v_add_u32_e32 v0, s40, v0
	scratch_store_dwordx2 off, v[0:1], off offset:2968 ; 8-byte Folded Spill
	s_andn2_b64 exec, exec, s[36:37]
	s_cbranch_execz .LBB71_56
.LBB71_7:                               ; =>This Loop Header: Depth=1
                                        ;     Child Loop BB71_9 Depth 2
                                        ;       Child Loop BB71_11 Depth 3
                                        ;     Child Loop BB71_29 Depth 2
                                        ;     Child Loop BB71_31 Depth 2
	;; [unrolled: 1-line block ×3, first 2 shown]
	scratch_load_dwordx4 v[0:3], off, off offset:2976 ; 16-byte Folded Reload
	s_and_b64 vcc, exec, s[30:31]
	scratch_store_dwordx2 off, v[10:11], off offset:2960 ; 8-byte Folded Spill
	s_waitcnt vmcnt(1)
	scratch_store_dwordx4 off, v[0:3], off offset:48
	scratch_store_dwordx4 off, v[0:3], off offset:32
	;; [unrolled: 1-line block ×3, first 2 shown]
	scratch_store_dwordx4 off, v[0:3], off
	scratch_store_dwordx4 off, v[0:3], off offset:496
	scratch_store_dwordx4 off, v[0:3], off offset:480
	scratch_store_dwordx4 off, v[0:3], off offset:464
	scratch_store_dwordx4 off, v[0:3], off offset:448
	scratch_store_dwordx4 off, v[0:3], off offset:944
	scratch_store_dwordx4 off, v[0:3], off offset:928
	scratch_store_dwordx4 off, v[0:3], off offset:912
	scratch_store_dwordx4 off, v[0:3], off offset:896
	scratch_store_dwordx4 off, v[0:3], off offset:112
	scratch_store_dwordx4 off, v[0:3], off offset:96
	scratch_store_dwordx4 off, v[0:3], off offset:80
	scratch_store_dwordx4 off, v[0:3], off offset:64
	scratch_store_dwordx4 off, v[0:3], off offset:560
	scratch_store_dwordx4 off, v[0:3], off offset:544
	scratch_store_dwordx4 off, v[0:3], off offset:528
	scratch_store_dwordx4 off, v[0:3], off offset:512
	scratch_store_dwordx4 off, v[0:3], off offset:1008
	scratch_store_dwordx4 off, v[0:3], off offset:992
	scratch_store_dwordx4 off, v[0:3], off offset:976
	scratch_store_dwordx4 off, v[0:3], off offset:960
	scratch_store_dwordx4 off, v[0:3], off offset:176
	scratch_store_dwordx4 off, v[0:3], off offset:160
	scratch_store_dwordx4 off, v[0:3], off offset:144
	scratch_store_dwordx4 off, v[0:3], off offset:128
	scratch_store_dwordx4 off, v[0:3], off offset:624
	scratch_store_dwordx4 off, v[0:3], off offset:608
	scratch_store_dwordx4 off, v[0:3], off offset:592
	scratch_store_dwordx4 off, v[0:3], off offset:576
	scratch_store_dwordx4 off, v[0:3], off offset:1072
	scratch_store_dwordx4 off, v[0:3], off offset:1056
	scratch_store_dwordx4 off, v[0:3], off offset:1040
	scratch_store_dwordx4 off, v[0:3], off offset:1024
	scratch_store_dwordx4 off, v[0:3], off offset:240
	scratch_store_dwordx4 off, v[0:3], off offset:224
	scratch_store_dwordx4 off, v[0:3], off offset:208
	scratch_store_dwordx4 off, v[0:3], off offset:192
	scratch_store_dwordx4 off, v[0:3], off offset:688
	scratch_store_dwordx4 off, v[0:3], off offset:672
	scratch_store_dwordx4 off, v[0:3], off offset:656
	scratch_store_dwordx4 off, v[0:3], off offset:640
	scratch_store_dwordx4 off, v[0:3], off offset:1136
	scratch_store_dwordx4 off, v[0:3], off offset:1120
	scratch_store_dwordx4 off, v[0:3], off offset:1104
	scratch_store_dwordx4 off, v[0:3], off offset:1088
	scratch_store_dwordx4 off, v[0:3], off offset:304
	scratch_store_dwordx4 off, v[0:3], off offset:288
	scratch_store_dwordx4 off, v[0:3], off offset:272
	scratch_store_dwordx4 off, v[0:3], off offset:256
	scratch_store_dwordx4 off, v[0:3], off offset:752
	scratch_store_dwordx4 off, v[0:3], off offset:736
	scratch_store_dwordx4 off, v[0:3], off offset:720
	scratch_store_dwordx4 off, v[0:3], off offset:704
	scratch_store_dwordx4 off, v[0:3], off offset:1200
	scratch_store_dwordx4 off, v[0:3], off offset:1184
	scratch_store_dwordx4 off, v[0:3], off offset:1168
	scratch_store_dwordx4 off, v[0:3], off offset:1152
	scratch_store_dwordx4 off, v[0:3], off offset:368
	scratch_store_dwordx4 off, v[0:3], off offset:352
	scratch_store_dwordx4 off, v[0:3], off offset:336
	scratch_store_dwordx4 off, v[0:3], off offset:320
	scratch_store_dwordx4 off, v[0:3], off offset:816
	scratch_store_dwordx4 off, v[0:3], off offset:800
	scratch_store_dwordx4 off, v[0:3], off offset:784
	scratch_store_dwordx4 off, v[0:3], off offset:768
	scratch_store_dwordx4 off, v[0:3], off offset:1264
	scratch_store_dwordx4 off, v[0:3], off offset:1248
	scratch_store_dwordx4 off, v[0:3], off offset:1232
	scratch_store_dwordx4 off, v[0:3], off offset:1216
	scratch_store_dwordx4 off, v[0:3], off offset:432
	scratch_store_dwordx4 off, v[0:3], off offset:416
	scratch_store_dwordx4 off, v[0:3], off offset:400
	scratch_store_dwordx4 off, v[0:3], off offset:384
	scratch_store_dwordx4 off, v[0:3], off offset:880
	scratch_store_dwordx4 off, v[0:3], off offset:864
	scratch_store_dwordx4 off, v[0:3], off offset:848
	scratch_store_dwordx4 off, v[0:3], off offset:832
	scratch_store_dwordx4 off, v[0:3], off offset:1328
	scratch_store_dwordx4 off, v[0:3], off offset:1312
	scratch_store_dwordx4 off, v[0:3], off offset:1296
	scratch_store_dwordx4 off, v[0:3], off offset:1280
	s_cbranch_vccz .LBB71_28
; %bb.8:                                ;   in Loop: Header=BB71_7 Depth=1
	scratch_load_dwordx2 v[0:1], off, off offset:2968 ; 8-byte Folded Reload
	s_mov_b32 s18, s4
	s_mov_b32 s19, s4
	;; [unrolled: 1-line block ×15, first 2 shown]
	v_mov_b64_e32 v[78:79], s[18:19]
	v_mov_b64_e32 v[76:77], s[16:17]
	;; [unrolled: 1-line block ×8, first 2 shown]
	s_mov_b32 s41, 0
	s_waitcnt vmcnt(0)
	v_mov_b32_e32 v20, v0
	scratch_store_dwordx2 off, v[20:21], off offset:1648 ; 8-byte Folded Spill
	scratch_store_dwordx4 off, v[64:67], off offset:2248 ; 16-byte Folded Spill
	s_nop 0
	scratch_store_dwordx4 off, v[68:71], off offset:2264 ; 16-byte Folded Spill
	scratch_store_dwordx4 off, v[72:75], off offset:2280 ; 16-byte Folded Spill
	scratch_store_dwordx4 off, v[76:79], off offset:2296 ; 16-byte Folded Spill
	scratch_store_dwordx4 off, v[64:67], off offset:2312 ; 16-byte Folded Spill
	s_nop 0
	scratch_store_dwordx4 off, v[68:71], off offset:2328 ; 16-byte Folded Spill
	scratch_store_dwordx4 off, v[72:75], off offset:2344 ; 16-byte Folded Spill
	scratch_store_dwordx4 off, v[76:79], off offset:2360 ; 16-byte Folded Spill
	;; [unrolled: 5-line block ×4, first 2 shown]
	v_mov_b64_e32 v[116:117], v[78:79]
	v_mov_b64_e32 v[22:23], v[64:65]
	;; [unrolled: 1-line block ×24, first 2 shown]
	scratch_store_dwordx4 off, v[64:67], off offset:2504 ; 16-byte Folded Spill
	s_nop 0
	scratch_store_dwordx4 off, v[68:71], off offset:2520 ; 16-byte Folded Spill
	scratch_store_dwordx4 off, v[72:75], off offset:2536 ; 16-byte Folded Spill
	scratch_store_dwordx4 off, v[76:79], off offset:2552 ; 16-byte Folded Spill
	scratch_store_dwordx4 off, v[64:67], off offset:2568 ; 16-byte Folded Spill
	s_nop 0
	scratch_store_dwordx4 off, v[68:71], off offset:2584 ; 16-byte Folded Spill
	scratch_store_dwordx4 off, v[72:75], off offset:2600 ; 16-byte Folded Spill
	scratch_store_dwordx4 off, v[76:79], off offset:2616 ; 16-byte Folded Spill
	;; [unrolled: 5-line block ×14, first 2 shown]
.LBB71_9:                               ;   Parent Loop BB71_7 Depth=1
                                        ; =>  This Loop Header: Depth=2
                                        ;       Child Loop BB71_11 Depth 3
	scratch_load_dwordx2 v[0:1], off, off offset:2824 ; 8-byte Folded Reload
	s_waitcnt vmcnt(0)
	v_add_u32_e32 v84, s41, v0
	v_cmp_gt_u32_e32 vcc, s20, v84
	s_and_saveexec_b64 s[2:3], vcc
	s_cbranch_execz .LBB71_25
; %bb.10:                               ;   in Loop: Header=BB71_9 Depth=2
	scratch_load_dwordx2 v[0:1], off, off offset:1648 ; 8-byte Folded Reload
	v_mov_b32_e32 v82, 0x540
	s_mov_b32 s5, 0
	s_mov_b64 s[6:7], 0
	s_waitcnt vmcnt(0) lgkmcnt(0)
	v_lshl_add_u64 v[80:81], s[26:27], 0, v[0:1]
	scratch_load_dwordx2 v[0:1], off, off offset:2960 ; 8-byte Folded Reload
.LBB71_11:                              ;   Parent Loop BB71_7 Depth=1
                                        ;     Parent Loop BB71_9 Depth=2
                                        ; =>    This Inner Loop Header: Depth=3
	global_load_dwordx4 v[86:89], v[80:81], off nt
	s_add_i32 s10, s5, 1
	s_cmp_gt_u32 s5, 5
	s_waitcnt vmcnt(1)
	v_add_u32_e32 v83, s10, v0
	s_cselect_b64 s[8:9], -1, 0
	v_cmp_le_u32_e32 vcc, s22, v83
	s_or_b64 s[8:9], s[8:9], vcc
	s_and_b64 s[8:9], exec, s[8:9]
	v_lshl_add_u64 v[80:81], v[80:81], 0, s[34:35]
	s_or_b64 s[6:7], s[8:9], s[6:7]
	s_mov_b32 s5, s10
	s_waitcnt vmcnt(0)
	scratch_store_dwordx4 v82, v[86:89], off
	v_add_u32_e32 v82, 16, v82
	s_andn2_b64 exec, exec, s[6:7]
	s_cbranch_execnz .LBB71_11
; %bb.12:                               ;   in Loop: Header=BB71_9 Depth=2
	s_or_b64 exec, exec, s[6:7]
	v_cmp_lt_u32_e32 vcc, s21, v84
                                        ; implicit-def: $vgpr120_vgpr121
	s_and_saveexec_b64 s[6:7], vcc
	s_xor_b64 s[6:7], exec, s[6:7]
	s_cbranch_execz .LBB71_14
; %bb.13:                               ;   in Loop: Header=BB71_9 Depth=2
	global_load_dwordx4 v[120:123], v84, s[24:25]
.LBB71_14:                              ;   in Loop: Header=BB71_9 Depth=2
	s_andn2_saveexec_b64 s[6:7], s[6:7]
	s_cbranch_execz .LBB71_16
; %bb.15:                               ;   in Loop: Header=BB71_9 Depth=2
	s_waitcnt vmcnt(0)
	ds_read_b128 v[120:123], v84
.LBB71_16:                              ;   in Loop: Header=BB71_9 Depth=2
	s_or_b64 exec, exec, s[6:7]
	v_add_u32_e32 v84, s20, v84
	v_cmp_lt_u32_e32 vcc, s21, v84
                                        ; implicit-def: $vgpr0_vgpr1
	scratch_store_dwordx4 off, v[0:3], off offset:2072 ; 16-byte Folded Spill
	s_and_saveexec_b64 s[6:7], vcc
	s_xor_b64 s[6:7], exec, s[6:7]
	s_cbranch_execz .LBB71_18
; %bb.17:                               ;   in Loop: Header=BB71_9 Depth=2
	global_load_dwordx4 v[54:57], v84, s[24:25]
	s_waitcnt vmcnt(0)
	scratch_store_dwordx4 off, v[54:57], off offset:2072 ; 16-byte Folded Spill
.LBB71_18:                              ;   in Loop: Header=BB71_9 Depth=2
	s_andn2_saveexec_b64 s[6:7], s[6:7]
	s_cbranch_execz .LBB71_20
; %bb.19:                               ;   in Loop: Header=BB71_9 Depth=2
	ds_read_b128 v[54:57], v84
	s_waitcnt lgkmcnt(0)
	scratch_store_dwordx4 off, v[54:57], off offset:2072 ; 16-byte Folded Spill
.LBB71_20:                              ;   in Loop: Header=BB71_9 Depth=2
	s_or_b64 exec, exec, s[6:7]
	v_add_u32_e32 v88, s20, v84
	v_cmp_lt_u32_e32 vcc, s21, v88
                                        ; implicit-def: $vgpr0_vgpr1
	scratch_store_dwordx4 off, v[0:3], off offset:2056 ; 16-byte Folded Spill
	s_and_saveexec_b64 s[6:7], vcc
	s_xor_b64 s[6:7], exec, s[6:7]
	s_cbranch_execz .LBB71_22
; %bb.21:                               ;   in Loop: Header=BB71_9 Depth=2
	global_load_dwordx4 v[54:57], v88, s[24:25]
                                        ; implicit-def: $vgpr88
	s_waitcnt vmcnt(0)
	scratch_store_dwordx4 off, v[54:57], off offset:2056 ; 16-byte Folded Spill
.LBB71_22:                              ;   in Loop: Header=BB71_9 Depth=2
	s_or_saveexec_b64 s[6:7], s[6:7]
	scratch_store_dwordx4 off, v[2:5], off offset:1784 ; 16-byte Folded Spill
	s_nop 0
	scratch_store_dwordx4 off, v[6:9], off offset:1800 ; 16-byte Folded Spill
	scratch_store_dwordx4 off, v[10:13], off offset:1816 ; 16-byte Folded Spill
	scratch_store_dwordx4 off, v[14:17], off offset:1832 ; 16-byte Folded Spill
	scratch_store_dwordx4 off, v[22:25], off offset:1720 ; 16-byte Folded Spill
	s_nop 0
	scratch_store_dwordx4 off, v[26:29], off offset:1736 ; 16-byte Folded Spill
	scratch_store_dwordx4 off, v[30:33], off offset:1752 ; 16-byte Folded Spill
	scratch_store_dwordx4 off, v[34:37], off offset:1768 ; 16-byte Folded Spill
	;; [unrolled: 5-line block ×3, first 2 shown]
	s_xor_b64 exec, exec, s[6:7]
	s_cbranch_execz .LBB71_24
; %bb.23:                               ;   in Loop: Header=BB71_9 Depth=2
	ds_read_b128 v[0:3], v88
	s_waitcnt lgkmcnt(0)
	scratch_store_dwordx4 off, v[0:3], off offset:2056 ; 16-byte Folded Spill
.LBB71_24:                              ;   in Loop: Header=BB71_9 Depth=2
	s_or_b64 exec, exec, s[6:7]
	scratch_load_dwordx4 v[0:3], off, off offset:1344
	scratch_load_dwordx4 v[4:7], off, off offset:1360
	s_waitcnt vmcnt(1)
	scratch_store_dwordx4 off, v[0:3], off offset:2912 ; 16-byte Folded Spill
	s_waitcnt vmcnt(1)
	scratch_store_dwordx4 off, v[4:7], off offset:2928 ; 16-byte Folded Spill
	scratch_load_dwordx4 v[80:83], off, off offset:2184 ; 16-byte Folded Reload
	scratch_load_dwordx4 v[84:87], off, off offset:2200 ; 16-byte Folded Reload
	scratch_load_dwordx4 v[88:91], off, off offset:2216 ; 16-byte Folded Reload
	scratch_load_dwordx4 v[92:95], off, off offset:2232 ; 16-byte Folded Reload
	s_waitcnt vmcnt(0) lgkmcnt(0)
	v_mfma_f32_32x32x16_fp8_fp8 v[80:95], v[120:121], v[0:1], v[80:95]
	scratch_load_dwordx4 v[0:3], off, off offset:1376
	s_waitcnt vmcnt(0)
	scratch_store_dwordx4 off, v[0:3], off offset:1848 ; 16-byte Folded Spill
	scratch_load_dwordx4 v[48:51], off, off offset:2120 ; 16-byte Folded Reload
	scratch_load_dwordx4 v[52:55], off, off offset:2136 ; 16-byte Folded Reload
	;; [unrolled: 1-line block ×4, first 2 shown]
	scratch_load_dwordx4 v[22:25], off, off offset:1392
	s_waitcnt vmcnt(1)
	v_mfma_f32_32x32x16_fp8_fp8 v[48:63], v[120:121], v[4:5], v[48:63]
	s_waitcnt vmcnt(0)
	scratch_store_dwordx4 off, v[22:25], off offset:2944 ; 16-byte Folded Spill
	scratch_load_dwordx4 v[32:35], off, off offset:2440 ; 16-byte Folded Reload
	scratch_load_dwordx4 v[36:39], off, off offset:2456 ; 16-byte Folded Reload
	;; [unrolled: 1-line block ×4, first 2 shown]
	s_waitcnt vmcnt(0)
	v_mfma_f32_32x32x16_fp8_fp8 v[32:47], v[120:121], v[0:1], v[32:47]
	scratch_load_dwordx4 v[116:119], off, off offset:1408
	scratch_load_dwordx4 v[0:3], off, off offset:2376 ; 16-byte Folded Reload
	scratch_load_dwordx4 v[4:7], off, off offset:2392 ; 16-byte Folded Reload
	;; [unrolled: 1-line block ×4, first 2 shown]
	scratch_load_dwordx4 v[124:127], off, off offset:1424
	scratch_load_dwordx4 v[64:67], off, off offset:2312 ; 16-byte Folded Reload
	scratch_load_dwordx4 v[68:71], off, off offset:2328 ; 16-byte Folded Reload
	;; [unrolled: 1-line block ×4, first 2 shown]
	s_waitcnt vmcnt(5)
	v_mfma_f32_32x32x16_fp8_fp8 v[0:15], v[120:121], v[22:23], v[0:15]
	scratch_load_dwordx4 v[16:19], off, off offset:2248 ; 16-byte Folded Reload
	scratch_load_dwordx4 v[20:23], off, off offset:2264 ; 16-byte Folded Reload
	;; [unrolled: 1-line block ×4, first 2 shown]
	scratch_load_dwordx4 v[96:99], off, off offset:1440
	scratch_load_dwordx4 v[100:103], off, off offset:1656 ; 16-byte Folded Reload
	scratch_load_dwordx4 v[104:107], off, off offset:1672 ; 16-byte Folded Reload
	;; [unrolled: 1-line block ×4, first 2 shown]
	s_waitcnt vmcnt(9)
	v_mfma_f32_32x32x16_fp8_fp8 v[64:79], v[120:121], v[116:117], v[64:79]
	v_mfma_f32_32x32x16_fp8_fp8 v[64:79], v[122:123], v[118:119], v[64:79]
	s_waitcnt vmcnt(0)
	v_mfma_f32_32x32x16_fp8_fp8 v[100:115], v[120:121], v[96:97], v[100:115]
	s_nop 7
	s_nop 2
	scratch_store_dwordx4 off, v[100:103], off offset:1656 ; 16-byte Folded Spill
	s_nop 0
	scratch_store_dwordx4 off, v[104:107], off offset:1672 ; 16-byte Folded Spill
	scratch_store_dwordx4 off, v[108:111], off offset:1688 ; 16-byte Folded Spill
	;; [unrolled: 1-line block ×3, first 2 shown]
	scratch_load_dwordx4 v[106:109], off, off offset:2912 ; 16-byte Folded Reload
	v_mfma_f32_32x32x16_fp8_fp8 v[16:31], v[120:121], v[124:125], v[16:31]
	scratch_store_dwordx4 off, v[120:123], off offset:2896 ; 16-byte Folded Spill
	v_mov_b64_e32 v[100:101], v[98:99]
	v_mov_b64_e32 v[98:99], v[96:97]
	v_mfma_f32_32x32x16_fp8_fp8 v[16:31], v[122:123], v[126:127], v[16:31]
	s_waitcnt vmcnt(1)
	v_mfma_f32_32x32x16_fp8_fp8 v[80:95], v[122:123], v[108:109], v[80:95]
	s_nop 7
	s_nop 2
	scratch_store_dwordx4 off, v[80:83], off offset:2184 ; 16-byte Folded Spill
	s_nop 0
	scratch_store_dwordx4 off, v[84:87], off offset:2200 ; 16-byte Folded Spill
	scratch_store_dwordx4 off, v[88:91], off offset:2216 ; 16-byte Folded Spill
	scratch_store_dwordx4 off, v[92:95], off offset:2232 ; 16-byte Folded Spill
	scratch_load_dwordx4 v[102:105], off, off offset:2928 ; 16-byte Folded Reload
	s_waitcnt vmcnt(0)
	v_mfma_f32_32x32x16_fp8_fp8 v[48:63], v[122:123], v[104:105], v[48:63]
	s_nop 7
	s_nop 2
	scratch_store_dwordx4 off, v[48:51], off offset:2120 ; 16-byte Folded Spill
	s_nop 0
	scratch_store_dwordx4 off, v[52:55], off offset:2136 ; 16-byte Folded Spill
	scratch_store_dwordx4 off, v[56:59], off offset:2152 ; 16-byte Folded Spill
	scratch_store_dwordx4 off, v[60:63], off offset:2168 ; 16-byte Folded Spill
	scratch_load_dwordx4 v[52:55], off, off offset:1848 ; 16-byte Folded Reload
	;; [unrolled: 10-line block ×3, first 2 shown]
	s_waitcnt vmcnt(0)
	v_mfma_f32_32x32x16_fp8_fp8 v[0:15], v[122:123], v[50:51], v[0:15]
	s_nop 7
	s_nop 2
	scratch_store_dwordx4 off, v[0:3], off offset:2376 ; 16-byte Folded Spill
	s_nop 0
	scratch_store_dwordx4 off, v[4:7], off offset:2392 ; 16-byte Folded Spill
	scratch_store_dwordx4 off, v[8:11], off offset:2408 ; 16-byte Folded Spill
	scratch_store_dwordx4 off, v[12:15], off offset:2424 ; 16-byte Folded Spill
	scratch_store_dwordx4 off, v[64:67], off offset:2312 ; 16-byte Folded Spill
	s_nop 0
	scratch_store_dwordx4 off, v[68:71], off offset:2328 ; 16-byte Folded Spill
	scratch_store_dwordx4 off, v[72:75], off offset:2344 ; 16-byte Folded Spill
	scratch_store_dwordx4 off, v[76:79], off offset:2360 ; 16-byte Folded Spill
	;; [unrolled: 5-line block ×3, first 2 shown]
	scratch_load_dwordx4 v[32:35], off, off offset:2632 ; 16-byte Folded Reload
	scratch_load_dwordx4 v[36:39], off, off offset:2648 ; 16-byte Folded Reload
	;; [unrolled: 1-line block ×9, first 2 shown]
	v_mov_b64_e32 v[0:1], v[116:117]
	v_mov_b64_e32 v[2:3], v[118:119]
	;; [unrolled: 1-line block ×4, first 2 shown]
	s_waitcnt vmcnt(0)
	v_mfma_f32_32x32x16_fp8_fp8 v[12:27], v[4:5], v[102:103], v[12:27]
	s_nop 7
	s_nop 2
	v_mov_b64_e32 v[86:87], v[26:27]
	v_mov_b64_e32 v[84:85], v[24:25]
	;; [unrolled: 1-line block ×8, first 2 shown]
	scratch_load_dwordx4 v[12:15], off, off offset:1456 ; 16-byte Folded Reload
	scratch_load_dwordx4 v[16:19], off, off offset:1472 ; 16-byte Folded Reload
	;; [unrolled: 1-line block ×4, first 2 shown]
	v_mfma_f32_32x32x16_fp8_fp8 v[72:87], v[6:7], v[104:105], v[72:87]
	v_mfma_f32_32x32x16_fp8_fp8 v[32:47], v[4:5], v[28:29], v[32:47]
	;; [unrolled: 1-line block ×3, first 2 shown]
	s_waitcnt vmcnt(0)
	v_mfma_f32_32x32x16_fp8_fp8 v[12:27], v[4:5], v[52:53], v[12:27]
	s_nop 7
	s_nop 2
	scratch_store_dwordx4 off, v[12:15], off offset:1456 ; 16-byte Folded Spill
	s_nop 0
	scratch_store_dwordx4 off, v[16:19], off offset:1472 ; 16-byte Folded Spill
	scratch_store_dwordx4 off, v[20:23], off offset:1488 ; 16-byte Folded Spill
	;; [unrolled: 1-line block ×3, first 2 shown]
	scratch_load_dwordx4 v[56:59], off, off offset:1864 ; 16-byte Folded Reload
	scratch_load_dwordx4 v[60:63], off, off offset:1880 ; 16-byte Folded Reload
	;; [unrolled: 1-line block ×4, first 2 shown]
	s_nop 0
	scratch_load_dwordx4 v[12:15], off, off offset:1584 ; 16-byte Folded Reload
	scratch_load_dwordx4 v[16:19], off, off offset:1600 ; 16-byte Folded Reload
	;; [unrolled: 1-line block ×4, first 2 shown]
	s_waitcnt vmcnt(0)
	v_mfma_f32_32x32x16_fp8_fp8 v[12:27], v[4:5], v[116:117], v[12:27]
	s_nop 7
	s_nop 2
	scratch_store_dwordx4 off, v[12:15], off offset:1584 ; 16-byte Folded Spill
	s_nop 0
	scratch_store_dwordx4 off, v[16:19], off offset:1600 ; 16-byte Folded Spill
	scratch_store_dwordx4 off, v[20:23], off offset:1616 ; 16-byte Folded Spill
	;; [unrolled: 1-line block ×4, first 2 shown]
	scratch_load_dwordx4 v[12:15], off, off offset:1520 ; 16-byte Folded Reload
	s_nop 0
	scratch_load_dwordx4 v[16:19], off, off offset:1536 ; 16-byte Folded Reload
	scratch_load_dwordx4 v[20:23], off, off offset:1552 ; 16-byte Folded Reload
	scratch_load_dwordx4 v[24:27], off, off offset:1568 ; 16-byte Folded Reload
	v_mfma_f32_32x32x16_fp8_fp8 v[56:71], v[4:5], v[48:49], v[56:71]
	s_waitcnt vmcnt(0)
	v_mfma_f32_32x32x16_fp8_fp8 v[12:27], v[4:5], v[124:125], v[12:27]
	s_nop 7
	s_nop 2
	scratch_store_dwordx4 off, v[12:15], off offset:1520 ; 16-byte Folded Spill
	s_nop 0
	scratch_store_dwordx4 off, v[16:19], off offset:1536 ; 16-byte Folded Spill
	scratch_store_dwordx4 off, v[20:23], off offset:1552 ; 16-byte Folded Spill
	scratch_store_dwordx4 off, v[24:27], off offset:1568 ; 16-byte Folded Spill
	scratch_store_dwordx4 off, v[124:127], off offset:2104 ; 16-byte Folded Spill
	scratch_load_dwordx4 v[12:15], off, off offset:1992 ; 16-byte Folded Reload
	s_nop 0
	scratch_load_dwordx4 v[16:19], off, off offset:2008 ; 16-byte Folded Reload
	scratch_load_dwordx4 v[20:23], off, off offset:2024 ; 16-byte Folded Reload
	;; [unrolled: 1-line block ×3, first 2 shown]
	s_nop 0
	scratch_store_dwordx4 off, v[72:75], off offset:1928 ; 16-byte Folded Spill
	s_nop 0
	scratch_store_dwordx4 off, v[76:79], off offset:1944 ; 16-byte Folded Spill
	scratch_store_dwordx4 off, v[80:83], off offset:1960 ; 16-byte Folded Spill
	;; [unrolled: 1-line block ×3, first 2 shown]
	v_mov_b64_e32 v[72:73], v[102:103]
	v_mov_b64_e32 v[74:75], v[104:105]
	scratch_load_dwordx4 v[102:105], off, off offset:1456 ; 16-byte Folded Reload
	scratch_load_dwordx4 v[106:109], off, off offset:1472 ; 16-byte Folded Reload
	scratch_load_dwordx4 v[110:113], off, off offset:1488 ; 16-byte Folded Reload
	scratch_load_dwordx4 v[114:117], off, off offset:1504 ; 16-byte Folded Reload
	s_waitcnt vmcnt(8)
	v_mfma_f32_32x32x16_fp8_fp8 v[12:27], v[4:5], v[98:99], v[12:27]
	s_waitcnt vmcnt(0)
	v_mfma_f32_32x32x16_fp8_fp8 v[102:117], v[6:7], v[54:55], v[102:117]
	s_nop 7
	s_nop 2
	scratch_store_dwordx4 off, v[102:105], off offset:1456 ; 16-byte Folded Spill
	s_nop 0
	scratch_store_dwordx4 off, v[106:109], off offset:1472 ; 16-byte Folded Spill
	scratch_store_dwordx4 off, v[110:113], off offset:1488 ; 16-byte Folded Spill
	scratch_store_dwordx4 off, v[114:117], off offset:1504 ; 16-byte Folded Spill
	v_mov_b64_e32 v[104:105], v[50:51]
	v_mov_b64_e32 v[102:103], v[48:49]
	v_mfma_f32_32x32x16_fp8_fp8 v[12:27], v[6:7], v[100:101], v[12:27]
	v_mfma_f32_32x32x16_fp8_fp8 v[56:71], v[6:7], v[104:105], v[56:71]
	s_nop 7
	s_nop 2
	scratch_store_dwordx4 off, v[56:59], off offset:1864 ; 16-byte Folded Spill
	s_nop 0
	scratch_store_dwordx4 off, v[60:63], off offset:1880 ; 16-byte Folded Spill
	scratch_store_dwordx4 off, v[64:67], off offset:1896 ; 16-byte Folded Spill
	;; [unrolled: 1-line block ×3, first 2 shown]
	scratch_load_dwordx4 v[106:109], off, off offset:1584 ; 16-byte Folded Reload
	scratch_load_dwordx4 v[110:113], off, off offset:1600 ; 16-byte Folded Reload
	;; [unrolled: 1-line block ×4, first 2 shown]
	s_waitcnt vmcnt(0)
	v_mfma_f32_32x32x16_fp8_fp8 v[106:121], v[6:7], v[2:3], v[106:121]
	s_nop 7
	s_nop 2
	scratch_store_dwordx4 off, v[106:109], off offset:1584 ; 16-byte Folded Spill
	s_nop 0
	scratch_store_dwordx4 off, v[110:113], off offset:1600 ; 16-byte Folded Spill
	scratch_store_dwordx4 off, v[114:117], off offset:1616 ; 16-byte Folded Spill
	scratch_store_dwordx4 off, v[118:121], off offset:1632 ; 16-byte Folded Spill
	scratch_load_dwordx4 v[48:51], off, off offset:1520 ; 16-byte Folded Reload
	scratch_load_dwordx4 v[52:55], off, off offset:1536 ; 16-byte Folded Reload
	;; [unrolled: 1-line block ×4, first 2 shown]
	s_waitcnt vmcnt(0)
	v_mfma_f32_32x32x16_fp8_fp8 v[48:63], v[6:7], v[126:127], v[48:63]
	s_nop 7
	s_nop 2
	scratch_store_dwordx4 off, v[48:51], off offset:1520 ; 16-byte Folded Spill
	s_nop 0
	scratch_store_dwordx4 off, v[52:55], off offset:1536 ; 16-byte Folded Spill
	scratch_store_dwordx4 off, v[56:59], off offset:1552 ; 16-byte Folded Spill
	;; [unrolled: 1-line block ×4, first 2 shown]
	s_nop 0
	scratch_store_dwordx4 off, v[16:19], off offset:2008 ; 16-byte Folded Spill
	scratch_store_dwordx4 off, v[20:23], off offset:2024 ; 16-byte Folded Spill
	;; [unrolled: 1-line block ×3, first 2 shown]
	scratch_load_dwordx4 v[0:3], off, off offset:2760 ; 16-byte Folded Reload
	s_nop 0
	scratch_load_dwordx4 v[4:7], off, off offset:2776 ; 16-byte Folded Reload
	scratch_load_dwordx4 v[8:11], off, off offset:2792 ; 16-byte Folded Reload
	;; [unrolled: 1-line block ×8, first 2 shown]
	v_mov_b64_e32 v[20:21], v[74:75]
	s_waitcnt vmcnt(0)
	v_mfma_f32_32x32x16_fp8_fp8 v[48:63], v[122:123], v[72:73], v[48:63]
	scratch_load_dwordx4 v[66:69], off, off offset:2568 ; 16-byte Folded Reload
	scratch_load_dwordx4 v[70:73], off, off offset:2584 ; 16-byte Folded Reload
	;; [unrolled: 1-line block ×9, first 2 shown]
	v_mfma_f32_32x32x16_fp8_fp8 v[0:15], v[122:123], v[28:29], v[0:15]
	v_mfma_f32_32x32x16_fp8_fp8 v[0:15], v[124:125], v[30:31], v[0:15]
	;; [unrolled: 1-line block ×3, first 2 shown]
	s_waitcnt vmcnt(4)
	v_mfma_f32_32x32x16_fp8_fp8 v[66:81], v[122:123], v[16:17], v[66:81]
	v_mov_b64_e32 v[16:17], v[104:105]
	s_waitcnt vmcnt(0)
	v_mfma_f32_32x32x16_fp8_fp8 v[82:97], v[122:123], v[102:103], v[82:97]
	scratch_load_dwordx4 v[118:121], off, off offset:2088 ; 16-byte Folded Reload
	scratch_load_dwordx4 v[102:105], off, off offset:1784 ; 16-byte Folded Reload
	;; [unrolled: 1-line block ×5, first 2 shown]
	v_mfma_f32_32x32x16_fp8_fp8 v[82:97], v[124:125], v[16:17], v[82:97]
	s_waitcnt vmcnt(0)
	v_mfma_f32_32x32x16_fp8_fp8 v[102:117], v[122:123], v[118:119], v[102:117]
	s_nop 7
	s_nop 2
	scratch_store_dwordx4 off, v[102:105], off offset:1784 ; 16-byte Folded Spill
	s_nop 0
	scratch_store_dwordx4 off, v[106:109], off offset:1800 ; 16-byte Folded Spill
	scratch_store_dwordx4 off, v[110:113], off offset:1816 ; 16-byte Folded Spill
	;; [unrolled: 1-line block ×3, first 2 shown]
	scratch_load_dwordx4 v[118:121], off, off offset:2104 ; 16-byte Folded Reload
	s_nop 0
	scratch_load_dwordx4 v[102:105], off, off offset:1720 ; 16-byte Folded Reload
	scratch_load_dwordx4 v[106:109], off, off offset:1736 ; 16-byte Folded Reload
	;; [unrolled: 1-line block ×4, first 2 shown]
	s_waitcnt vmcnt(0)
	v_mfma_f32_32x32x16_fp8_fp8 v[102:117], v[122:123], v[118:119], v[102:117]
	s_nop 7
	s_nop 2
	scratch_store_dwordx4 off, v[102:105], off offset:1720 ; 16-byte Folded Spill
	s_nop 0
	scratch_store_dwordx4 off, v[106:109], off offset:1736 ; 16-byte Folded Spill
	scratch_store_dwordx4 off, v[110:113], off offset:1752 ; 16-byte Folded Spill
	;; [unrolled: 1-line block ×3, first 2 shown]
	scratch_load_dwordx4 v[102:105], off, off offset:2832 ; 16-byte Folded Reload
	s_nop 0
	scratch_load_dwordx4 v[106:109], off, off offset:2848 ; 16-byte Folded Reload
	scratch_load_dwordx4 v[110:113], off, off offset:2864 ; 16-byte Folded Reload
	;; [unrolled: 1-line block ×3, first 2 shown]
	s_nop 0
	scratch_store_dwordx4 off, v[44:47], off offset:496
	scratch_store_dwordx4 off, v[40:43], off offset:480
	;; [unrolled: 1-line block ×3, first 2 shown]
	scratch_store_dwordx4 off, v[32:35], off offset:2632 ; 16-byte Folded Spill
	s_nop 0
	scratch_store_dwordx4 off, v[36:39], off offset:2648 ; 16-byte Folded Spill
	scratch_store_dwordx4 off, v[40:43], off offset:2664 ; 16-byte Folded Spill
	;; [unrolled: 1-line block ×3, first 2 shown]
	scratch_store_dwordx4 off, v[32:35], off offset:448
	scratch_load_dwordx4 v[32:35], off, off offset:1928 ; 16-byte Folded Reload
	s_nop 0
	scratch_load_dwordx4 v[36:39], off, off offset:1944 ; 16-byte Folded Reload
	scratch_load_dwordx4 v[40:43], off, off offset:1960 ; 16-byte Folded Reload
	;; [unrolled: 1-line block ×3, first 2 shown]
	s_waitcnt vmcnt(12)
	v_mfma_f32_32x32x16_fp8_fp8 v[102:117], v[122:123], v[98:99], v[102:117]
	s_waitcnt vmcnt(0)
	scratch_store_dwordx4 off, v[44:47], off offset:560
	scratch_store_dwordx4 off, v[40:43], off offset:544
	scratch_store_dwordx4 off, v[36:39], off offset:528
	scratch_store_dwordx4 off, v[32:35], off offset:512
	scratch_load_dwordx4 v[32:35], off, off offset:1456 ; 16-byte Folded Reload
	s_nop 0
	scratch_load_dwordx4 v[36:39], off, off offset:1472 ; 16-byte Folded Reload
	scratch_load_dwordx4 v[40:43], off, off offset:1488 ; 16-byte Folded Reload
	scratch_load_dwordx4 v[44:47], off, off offset:1504 ; 16-byte Folded Reload
	s_waitcnt vmcnt(0)
	scratch_store_dwordx4 off, v[44:47], off offset:624
	scratch_store_dwordx4 off, v[40:43], off offset:608
	scratch_store_dwordx4 off, v[36:39], off offset:592
	scratch_store_dwordx4 off, v[32:35], off offset:576
	scratch_load_dwordx4 v[32:35], off, off offset:1864 ; 16-byte Folded Reload
	s_nop 0
	scratch_load_dwordx4 v[36:39], off, off offset:1880 ; 16-byte Folded Reload
	scratch_load_dwordx4 v[40:43], off, off offset:1896 ; 16-byte Folded Reload
	scratch_load_dwordx4 v[44:47], off, off offset:1912 ; 16-byte Folded Reload
	;; [unrolled: 10-line block ×4, first 2 shown]
	scratch_load_dwordx4 v[18:21], off, off offset:1848 ; 16-byte Folded Reload
	s_waitcnt vmcnt(0)
	v_mfma_f32_32x32x16_fp8_fp8 v[66:81], v[124:125], v[20:21], v[66:81]
	scratch_store_dwordx4 off, v[34:37], off offset:816
	scratch_store_dwordx4 off, v[30:33], off offset:800
	;; [unrolled: 1-line block ×4, first 2 shown]
	scratch_load_dwordx4 v[18:21], off, off offset:1992 ; 16-byte Folded Reload
	s_nop 0
	scratch_load_dwordx4 v[22:25], off, off offset:2008 ; 16-byte Folded Reload
	scratch_load_dwordx4 v[26:29], off, off offset:2024 ; 16-byte Folded Reload
	;; [unrolled: 1-line block ×3, first 2 shown]
	s_waitcnt vmcnt(0)
	scratch_store_dwordx4 off, v[30:33], off offset:880
	scratch_store_dwordx4 off, v[26:29], off offset:864
	scratch_store_dwordx4 off, v[22:25], off offset:848
	scratch_store_dwordx4 off, v[18:21], off offset:832
	scratch_store_dwordx4 off, v[12:15], off offset:944
	scratch_store_dwordx4 off, v[8:11], off offset:928
	scratch_store_dwordx4 off, v[4:7], off offset:912
	scratch_store_dwordx4 off, v[0:3], off offset:2760 ; 16-byte Folded Spill
	s_nop 0
	scratch_store_dwordx4 off, v[4:7], off offset:2776 ; 16-byte Folded Spill
	scratch_store_dwordx4 off, v[8:11], off offset:2792 ; 16-byte Folded Spill
	;; [unrolled: 1-line block ×3, first 2 shown]
	scratch_store_dwordx4 off, v[0:3], off offset:896
	scratch_store_dwordx4 off, v[60:63], off offset:1008
	;; [unrolled: 1-line block ×4, first 2 shown]
	scratch_load_dwordx4 v[0:3], off, off offset:2088 ; 16-byte Folded Reload
	s_nop 0
	scratch_load_dwordx4 v[4:7], off, off offset:1784 ; 16-byte Folded Reload
	scratch_load_dwordx4 v[8:11], off, off offset:1800 ; 16-byte Folded Reload
	;; [unrolled: 1-line block ×4, first 2 shown]
	s_nop 0
	scratch_store_dwordx4 off, v[48:51], off offset:2696 ; 16-byte Folded Spill
	s_nop 0
	scratch_store_dwordx4 off, v[52:55], off offset:2712 ; 16-byte Folded Spill
	scratch_store_dwordx4 off, v[56:59], off offset:2728 ; 16-byte Folded Spill
	;; [unrolled: 1-line block ×3, first 2 shown]
	scratch_load_dwordx4 v[22:25], off, off offset:1720 ; 16-byte Folded Reload
	scratch_load_dwordx4 v[26:29], off, off offset:1736 ; 16-byte Folded Reload
	scratch_load_dwordx4 v[30:33], off, off offset:1752 ; 16-byte Folded Reload
	scratch_load_dwordx4 v[34:37], off, off offset:1768 ; 16-byte Folded Reload
	s_waitcnt vmcnt(8)
	v_mfma_f32_32x32x16_fp8_fp8 v[4:19], v[124:125], v[2:3], v[4:19]
	scratch_store_dwordx4 off, v[48:51], off offset:960
	scratch_store_dwordx4 off, v[78:81], off offset:1072
	;; [unrolled: 1-line block ×4, first 2 shown]
	scratch_store_dwordx4 off, v[66:69], off offset:2568 ; 16-byte Folded Spill
	s_nop 0
	scratch_store_dwordx4 off, v[70:73], off offset:2584 ; 16-byte Folded Spill
	scratch_store_dwordx4 off, v[74:77], off offset:2600 ; 16-byte Folded Spill
	;; [unrolled: 1-line block ×3, first 2 shown]
	scratch_store_dwordx4 off, v[66:69], off offset:1024
	scratch_store_dwordx4 off, v[94:97], off offset:1136
	;; [unrolled: 1-line block ×3, first 2 shown]
	v_mov_b64_e32 v[70:71], v[100:101]
	v_mov_b64_e32 v[2:3], v[4:5]
	;; [unrolled: 1-line block ×9, first 2 shown]
	scratch_load_dwordx4 v[18:21], off, off offset:2104 ; 16-byte Folded Reload
	v_mfma_f32_32x32x16_fp8_fp8 v[102:117], v[124:125], v[70:71], v[102:117]
	s_waitcnt vmcnt(0)
	v_mfma_f32_32x32x16_fp8_fp8 v[22:37], v[124:125], v[20:21], v[22:37]
	scratch_store_dwordx4 off, v[86:89], off offset:1104
	scratch_store_dwordx4 off, v[82:85], off offset:2504 ; 16-byte Folded Spill
	s_nop 0
	scratch_store_dwordx4 off, v[86:89], off offset:2520 ; 16-byte Folded Spill
	scratch_store_dwordx4 off, v[90:93], off offset:2536 ; 16-byte Folded Spill
	;; [unrolled: 1-line block ×3, first 2 shown]
	scratch_store_dwordx4 off, v[82:85], off offset:1088
	scratch_store_dwordx4 off, v[14:17], off offset:1200
	;; [unrolled: 1-line block ×13, first 2 shown]
	scratch_load_dwordx4 v[54:57], off, off offset:1656 ; 16-byte Folded Reload
	scratch_load_dwordx4 v[58:61], off, off offset:1672 ; 16-byte Folded Reload
	;; [unrolled: 1-line block ×5, first 2 shown]
	s_waitcnt vmcnt(0)
	v_mfma_f32_32x32x16_fp8_fp8 v[54:69], v[20:21], v[70:71], v[54:69]
	s_nop 7
	s_nop 2
	scratch_store_dwordx4 off, v[54:57], off offset:1656 ; 16-byte Folded Spill
	s_nop 0
	scratch_store_dwordx4 off, v[58:61], off offset:1672 ; 16-byte Folded Spill
	scratch_store_dwordx4 off, v[62:65], off offset:1688 ; 16-byte Folded Spill
	;; [unrolled: 1-line block ×3, first 2 shown]
.LBB71_25:                              ;   in Loop: Header=BB71_9 Depth=2
	s_or_b64 exec, exec, s[2:3]
	scratch_load_dwordx2 v[20:21], off, off offset:1648 ; 8-byte Folded Reload
	s_addk_i32 s41, 0x400
	s_cmp_ge_u32 s41, s20
	s_waitcnt vmcnt(0)
	v_add_u32_e32 v20, 0x400, v20
	s_cbranch_scc1 .LBB71_27
; %bb.26:                               ;   in Loop: Header=BB71_9 Depth=2
	scratch_store_dwordx2 off, v[20:21], off offset:1648 ; 8-byte Folded Spill
	s_branch .LBB71_9
.LBB71_27:                              ;   in Loop: Header=BB71_7 Depth=1
	scratch_load_dwordx4 v[0:3], off, off offset:2440 ; 16-byte Folded Reload
	scratch_load_dwordx4 v[4:7], off, off offset:2456 ; 16-byte Folded Reload
	;; [unrolled: 1-line block ×4, first 2 shown]
	s_waitcnt vmcnt(0)
	scratch_store_dwordx4 off, v[12:15], off offset:176
	scratch_store_dwordx4 off, v[8:11], off offset:160
	scratch_store_dwordx4 off, v[4:7], off offset:144
	scratch_store_dwordx4 off, v[0:3], off offset:128
	scratch_load_dwordx4 v[0:3], off, off offset:2376 ; 16-byte Folded Reload
	s_nop 0
	scratch_load_dwordx4 v[4:7], off, off offset:2392 ; 16-byte Folded Reload
	scratch_load_dwordx4 v[8:11], off, off offset:2408 ; 16-byte Folded Reload
	scratch_load_dwordx4 v[12:15], off, off offset:2424 ; 16-byte Folded Reload
	s_waitcnt vmcnt(0)
	scratch_store_dwordx4 off, v[12:15], off offset:240
	scratch_store_dwordx4 off, v[8:11], off offset:224
	scratch_store_dwordx4 off, v[4:7], off offset:208
	scratch_store_dwordx4 off, v[0:3], off offset:192
	scratch_load_dwordx4 v[0:3], off, off offset:2312 ; 16-byte Folded Reload
	s_nop 0
	scratch_load_dwordx4 v[4:7], off, off offset:2328 ; 16-byte Folded Reload
	scratch_load_dwordx4 v[8:11], off, off offset:2344 ; 16-byte Folded Reload
	scratch_load_dwordx4 v[12:15], off, off offset:2360 ; 16-byte Folded Reload
	s_waitcnt vmcnt(0)
	scratch_store_dwordx4 off, v[12:15], off offset:304
	scratch_store_dwordx4 off, v[8:11], off offset:288
	scratch_store_dwordx4 off, v[4:7], off offset:272
	scratch_store_dwordx4 off, v[0:3], off offset:256
	scratch_load_dwordx4 v[0:3], off, off offset:2248 ; 16-byte Folded Reload
	s_nop 0
	scratch_load_dwordx4 v[4:7], off, off offset:2264 ; 16-byte Folded Reload
	scratch_load_dwordx4 v[8:11], off, off offset:2280 ; 16-byte Folded Reload
	scratch_load_dwordx4 v[12:15], off, off offset:2296 ; 16-byte Folded Reload
	s_waitcnt vmcnt(0)
	scratch_store_dwordx4 off, v[12:15], off offset:368
	scratch_store_dwordx4 off, v[8:11], off offset:352
	scratch_store_dwordx4 off, v[4:7], off offset:336
	scratch_store_dwordx4 off, v[0:3], off offset:320
	scratch_load_dwordx4 v[0:3], off, off offset:1656 ; 16-byte Folded Reload
	s_nop 0
	scratch_load_dwordx4 v[4:7], off, off offset:1672 ; 16-byte Folded Reload
	scratch_load_dwordx4 v[8:11], off, off offset:1688 ; 16-byte Folded Reload
	scratch_load_dwordx4 v[12:15], off, off offset:1704 ; 16-byte Folded Reload
	s_waitcnt vmcnt(0)
	scratch_store_dwordx4 off, v[12:15], off offset:432
	scratch_store_dwordx4 off, v[8:11], off offset:416
	scratch_store_dwordx4 off, v[4:7], off offset:400
	scratch_store_dwordx4 off, v[0:3], off offset:384
	scratch_load_dwordx4 v[0:3], off, off offset:2184 ; 16-byte Folded Reload
	s_nop 0
	scratch_load_dwordx4 v[4:7], off, off offset:2200 ; 16-byte Folded Reload
	scratch_load_dwordx4 v[8:11], off, off offset:2216 ; 16-byte Folded Reload
	scratch_load_dwordx4 v[12:15], off, off offset:2232 ; 16-byte Folded Reload
	s_waitcnt vmcnt(0)
	scratch_store_dwordx4 off, v[12:15], off offset:48
	scratch_store_dwordx4 off, v[8:11], off offset:32
	;; [unrolled: 1-line block ×3, first 2 shown]
	scratch_store_dwordx4 off, v[0:3], off
	scratch_load_dwordx4 v[0:3], off, off offset:2120 ; 16-byte Folded Reload
	s_nop 0
	scratch_load_dwordx4 v[4:7], off, off offset:2136 ; 16-byte Folded Reload
	scratch_load_dwordx4 v[8:11], off, off offset:2152 ; 16-byte Folded Reload
	;; [unrolled: 1-line block ×3, first 2 shown]
	s_waitcnt vmcnt(0)
	scratch_store_dwordx4 off, v[12:15], off offset:112
	scratch_store_dwordx4 off, v[8:11], off offset:96
	;; [unrolled: 1-line block ×4, first 2 shown]
	scratch_load_dword v20, off, off offset:2992 ; 4-byte Folded Reload
.LBB71_28:                              ;   in Loop: Header=BB71_7 Depth=1
	s_mov_b32 s2, 0
.LBB71_29:                              ;   Parent Loop BB71_7 Depth=1
                                        ; =>  This Inner Loop Header: Depth=2
	s_add_i32 s3, s2, 0
	scratch_load_dwordx4 v[0:3], off, s3 offset:48
	scratch_load_dwordx4 v[4:7], off, s3 offset:32
	scratch_load_dwordx4 v[8:11], off, s3
	scratch_load_dwordx4 v[12:15], off, s3 offset:16
	s_add_i32 s2, s2, 64
	s_cmpk_lg_i32 s2, 0x1c0
	s_waitcnt vmcnt(2)
	;;#ASMSTART
	v_add_f32 v4, v5, v4 row_shl:1 bound_ctrl:0 
	;;#ASMEND
	s_nop 0
	;;#ASMSTART
	v_add_f32 v4, v6, v4 row_shl:2 bound_ctrl:0 
	;;#ASMEND
	s_waitcnt vmcnt(1)
	;;#ASMSTART
	v_add_f32 v8, v9, v8 row_shl:1 bound_ctrl:0 
	;;#ASMEND
	;;#ASMSTART
	v_add_f32 v4, v7, v4 row_shl:3 bound_ctrl:0 
	;;#ASMEND
	s_nop 0
	;;#ASMSTART
	v_add_f32 v8, v10, v8 row_shl:2 bound_ctrl:0 
	;;#ASMEND
	;;#ASMSTART
	v_add_f32 v4, v0, v4 row_shl:8 bound_ctrl:0 
	;;#ASMEND
	s_nop 0
	;;#ASMSTART
	v_add_f32 v8, v11, v8 row_shl:3 bound_ctrl:0 
	;;#ASMEND
	;;#ASMSTART
	v_add_f32 v4, v1, v4 row_shl:9 bound_ctrl:0 
	;;#ASMEND
	s_waitcnt vmcnt(0)
	;;#ASMSTART
	v_add_f32 v8, v12, v8 row_shl:8 bound_ctrl:0 
	;;#ASMEND
	;;#ASMSTART
	v_add_f32 v4, v2, v4 row_shl:10 bound_ctrl:0 
	;;#ASMEND
	s_nop 0
	;;#ASMSTART
	v_add_f32 v8, v13, v8 row_shl:9 bound_ctrl:0 
	;;#ASMEND
	;;#ASMSTART
	v_add_f32 v4, v3, v4 row_shl:11 bound_ctrl:0 
	;;#ASMEND
	ds_bpermute_b32 v0, v20, v4 offset:208
	;;#ASMSTART
	v_add_f32 v8, v14, v8 row_shl:10 bound_ctrl:0 
	;;#ASMEND
	s_waitcnt lgkmcnt(0)
	v_add_f32_e32 v0, v4, v0
	;;#ASMSTART
	v_add_f32 v8, v15, v8 row_shl:11 bound_ctrl:0 
	;;#ASMEND
	ds_bpermute_b32 v1, v20, v8 offset:144
	ds_bpermute_b32 v0, v20, v0 offset:64
	s_waitcnt lgkmcnt(1)
	v_add_f32_e32 v1, v8, v1
	s_waitcnt lgkmcnt(0)
	v_add_f32_e32 v0, v1, v0
	scratch_store_dword off, v0, s3
	s_cbranch_scc1 .LBB71_29
; %bb.30:                               ;   in Loop: Header=BB71_7 Depth=1
	v_or_b32_e32 v0, 0x90, v20
	v_or_b32_e32 v1, 0xd0, v20
	;; [unrolled: 1-line block ×3, first 2 shown]
	s_movk_i32 s2, 0x1c0
.LBB71_31:                              ;   Parent Loop BB71_7 Depth=1
                                        ; =>  This Inner Loop Header: Depth=2
	s_add_i32 s3, s2, 0
	scratch_load_dwordx4 v[4:7], off, s3 offset:48
	scratch_load_dwordx4 v[8:11], off, s3 offset:32
	scratch_load_dwordx4 v[12:15], off, s3
	scratch_load_dwordx4 v[16:19], off, s3 offset:16
	s_add_i32 s2, s2, 64
	s_cmpk_lg_i32 s2, 0x380
	s_waitcnt vmcnt(2)
	;;#ASMSTART
	v_add_f32 v8, v9, v8 row_shl:1 bound_ctrl:0 
	;;#ASMEND
	s_nop 0
	;;#ASMSTART
	v_add_f32 v8, v10, v8 row_shl:2 bound_ctrl:0 
	;;#ASMEND
	s_waitcnt vmcnt(1)
	;;#ASMSTART
	v_add_f32 v12, v13, v12 row_shl:1 bound_ctrl:0 
	;;#ASMEND
	;;#ASMSTART
	v_add_f32 v8, v11, v8 row_shl:3 bound_ctrl:0 
	;;#ASMEND
	s_nop 0
	;;#ASMSTART
	v_add_f32 v12, v14, v12 row_shl:2 bound_ctrl:0 
	;;#ASMEND
	;;#ASMSTART
	v_add_f32 v8, v4, v8 row_shl:8 bound_ctrl:0 
	;;#ASMEND
	s_nop 0
	;;#ASMSTART
	v_add_f32 v12, v15, v12 row_shl:3 bound_ctrl:0 
	;;#ASMEND
	;;#ASMSTART
	v_add_f32 v8, v5, v8 row_shl:9 bound_ctrl:0 
	;;#ASMEND
	s_waitcnt vmcnt(0)
	;;#ASMSTART
	v_add_f32 v12, v16, v12 row_shl:8 bound_ctrl:0 
	;;#ASMEND
	;;#ASMSTART
	v_add_f32 v8, v6, v8 row_shl:10 bound_ctrl:0 
	;;#ASMEND
	s_nop 0
	;;#ASMSTART
	v_add_f32 v12, v17, v12 row_shl:9 bound_ctrl:0 
	;;#ASMEND
	;;#ASMSTART
	v_add_f32 v8, v7, v8 row_shl:11 bound_ctrl:0 
	;;#ASMEND
	ds_bpermute_b32 v3, v1, v8
	;;#ASMSTART
	v_add_f32 v12, v18, v12 row_shl:10 bound_ctrl:0 
	;;#ASMEND
	s_waitcnt lgkmcnt(0)
	v_add_f32_e32 v3, v8, v3
	;;#ASMSTART
	v_add_f32 v12, v19, v12 row_shl:11 bound_ctrl:0 
	;;#ASMEND
	ds_bpermute_b32 v4, v0, v12
	ds_bpermute_b32 v3, v2, v3
	s_waitcnt lgkmcnt(1)
	v_add_f32_e32 v4, v12, v4
	s_waitcnt lgkmcnt(0)
	v_add_f32_e32 v3, v4, v3
	scratch_store_dword off, v3, s3
	s_cbranch_scc1 .LBB71_31
; %bb.32:                               ;   in Loop: Header=BB71_7 Depth=1
	s_movk_i32 s2, 0x380
.LBB71_33:                              ;   Parent Loop BB71_7 Depth=1
                                        ; =>  This Inner Loop Header: Depth=2
	s_add_i32 s3, s2, 0
	scratch_load_dwordx4 v[4:7], off, s3 offset:48
	scratch_load_dwordx4 v[8:11], off, s3 offset:32
	scratch_load_dwordx4 v[12:15], off, s3
	scratch_load_dwordx4 v[16:19], off, s3 offset:16
	s_add_i32 s2, s2, 64
	s_cmpk_lg_i32 s2, 0x540
	s_waitcnt vmcnt(2)
	;;#ASMSTART
	v_add_f32 v8, v9, v8 row_shl:1 bound_ctrl:0 
	;;#ASMEND
	s_nop 0
	;;#ASMSTART
	v_add_f32 v8, v10, v8 row_shl:2 bound_ctrl:0 
	;;#ASMEND
	s_waitcnt vmcnt(1)
	;;#ASMSTART
	v_add_f32 v12, v13, v12 row_shl:1 bound_ctrl:0 
	;;#ASMEND
	;;#ASMSTART
	v_add_f32 v8, v11, v8 row_shl:3 bound_ctrl:0 
	;;#ASMEND
	s_nop 0
	;;#ASMSTART
	v_add_f32 v12, v14, v12 row_shl:2 bound_ctrl:0 
	;;#ASMEND
	;;#ASMSTART
	v_add_f32 v8, v4, v8 row_shl:8 bound_ctrl:0 
	;;#ASMEND
	s_nop 0
	;;#ASMSTART
	v_add_f32 v12, v15, v12 row_shl:3 bound_ctrl:0 
	;;#ASMEND
	;;#ASMSTART
	v_add_f32 v8, v5, v8 row_shl:9 bound_ctrl:0 
	;;#ASMEND
	s_waitcnt vmcnt(0)
	;;#ASMSTART
	v_add_f32 v12, v16, v12 row_shl:8 bound_ctrl:0 
	;;#ASMEND
	;;#ASMSTART
	v_add_f32 v8, v6, v8 row_shl:10 bound_ctrl:0 
	;;#ASMEND
	s_nop 0
	;;#ASMSTART
	v_add_f32 v12, v17, v12 row_shl:9 bound_ctrl:0 
	;;#ASMEND
	;;#ASMSTART
	v_add_f32 v8, v7, v8 row_shl:11 bound_ctrl:0 
	;;#ASMEND
	ds_bpermute_b32 v3, v1, v8
	;;#ASMSTART
	v_add_f32 v12, v18, v12 row_shl:10 bound_ctrl:0 
	;;#ASMEND
	s_waitcnt lgkmcnt(0)
	v_add_f32_e32 v3, v8, v3
	;;#ASMSTART
	v_add_f32 v12, v19, v12 row_shl:11 bound_ctrl:0 
	;;#ASMEND
	ds_bpermute_b32 v4, v0, v12
	ds_bpermute_b32 v3, v2, v3
	s_waitcnt lgkmcnt(1)
	v_add_f32_e32 v4, v12, v4
	s_waitcnt lgkmcnt(0)
	v_add_f32_e32 v3, v4, v3
	scratch_store_dword off, v3, s3
	s_cbranch_scc1 .LBB71_33
; %bb.34:                               ;   in Loop: Header=BB71_7 Depth=1
	s_mov_b64 s[6:7], exec
	scratch_load_dwordx2 v[10:11], off, off offset:2960 ; 8-byte Folded Reload
	s_and_b64 s[2:3], s[6:7], s[0:1]
	s_mov_b64 exec, s[2:3]
	s_cbranch_execz .LBB71_6
; %bb.35:                               ;   in Loop: Header=BB71_7 Depth=1
	scratch_load_dwordx4 v[4:7], off, off
	s_waitcnt vmcnt(1)
	v_mov_b32_e32 v11, v21
	v_add_u32_e32 v2, 1, v10
	v_mov_b32_e32 v8, v20
	v_lshl_add_u64 v[0:1], v[10:11], 1, s[28:29]
	v_cmp_gt_u32_e32 vcc, s22, v2
	s_waitcnt vmcnt(0)
	v_mul_f32_e32 v3, s23, v4
	v_fma_mixlo_f16 v3, s33, v3, 0
	global_store_short v[0:1], v3, off
	s_and_saveexec_b64 s[8:9], vcc
	s_cbranch_execz .LBB71_42
; %bb.36:                               ;   in Loop: Header=BB71_7 Depth=1
	scratch_load_dwordx4 v[4:7], off, off offset:64
	v_add_u32_e32 v3, 2, v10
	v_cmp_gt_u32_e64 s[2:3], s22, v3
	s_waitcnt vmcnt(0)
	v_mul_f32_e32 v4, s23, v4
	v_fma_mixlo_f16 v4, s33, v4, 0
	global_store_short v[0:1], v4, off offset:2
	s_and_b64 exec, exec, s[2:3]
	s_cbranch_execz .LBB71_42
; %bb.37:                               ;   in Loop: Header=BB71_7 Depth=1
	scratch_load_dwordx4 v[4:7], off, off offset:128
	v_add_u32_e32 v3, 3, v10
	v_cmp_gt_u32_e64 s[2:3], s22, v3
	s_waitcnt vmcnt(0)
	v_mul_f32_e32 v4, s23, v4
	v_fma_mixlo_f16 v4, s33, v4, 0
	global_store_short v[0:1], v4, off offset:4
	s_and_b64 exec, exec, s[2:3]
	;; [unrolled: 10-line block ×5, first 2 shown]
	s_cbranch_execz .LBB71_42
; %bb.41:                               ;   in Loop: Header=BB71_7 Depth=1
	scratch_load_dwordx4 v[4:7], off, off offset:384
	s_waitcnt vmcnt(0)
	v_mul_f32_e32 v3, s23, v4
	v_fma_mixlo_f16 v3, s33, v3, 0
	global_store_short v[0:1], v3, off offset:12
.LBB71_42:                              ;   in Loop: Header=BB71_7 Depth=1
	s_or_b64 exec, exec, s[8:9]
	scratch_load_dwordx4 v[4:7], off, off offset:448
	v_add_u32_e32 v20, s22, v10
	s_waitcnt vmcnt(0)
	v_mul_f32_e32 v0, s23, v4
	v_fma_mixlo_f16 v3, s33, v0, 0
	v_lshl_add_u64 v[0:1], v[20:21], 1, s[28:29]
	global_store_short v[0:1], v3, off
	s_and_saveexec_b64 s[8:9], vcc
	s_cbranch_execz .LBB71_49
; %bb.43:                               ;   in Loop: Header=BB71_7 Depth=1
	scratch_load_dwordx4 v[4:7], off, off offset:512
	s_waitcnt vmcnt(0)
	v_add_u32_e32 v6, s22, v2
	v_mov_b32_e32 v7, v21
	v_add_u32_e32 v0, 2, v10
	v_lshl_add_u64 v[6:7], v[6:7], 1, s[28:29]
	v_cmp_gt_u32_e64 s[2:3], s22, v0
	v_mul_f32_e32 v1, s23, v4
	v_fma_mixlo_f16 v1, s33, v1, 0
	global_store_short v[6:7], v1, off
	s_and_b64 exec, exec, s[2:3]
	s_cbranch_execz .LBB71_49
; %bb.44:                               ;   in Loop: Header=BB71_7 Depth=1
	scratch_load_dwordx4 v[4:7], off, off offset:576
	s_waitcnt vmcnt(0)
	v_add_u32_e32 v6, s22, v0
	v_mov_b32_e32 v7, v21
	v_add_u32_e32 v0, 3, v10
	v_lshl_add_u64 v[6:7], v[6:7], 1, s[28:29]
	v_cmp_gt_u32_e64 s[2:3], s22, v0
	v_mul_f32_e32 v1, s23, v4
	v_fma_mixlo_f16 v1, s33, v1, 0
	global_store_short v[6:7], v1, off
	s_and_b64 exec, exec, s[2:3]
	;; [unrolled: 13-line block ×5, first 2 shown]
	s_cbranch_execz .LBB71_49
; %bb.48:                               ;   in Loop: Header=BB71_7 Depth=1
	scratch_load_dwordx4 v[4:7], off, off offset:832
	v_add_u32_e32 v0, s22, v0
	v_mov_b32_e32 v1, v21
	v_lshl_add_u64 v[0:1], v[0:1], 1, s[28:29]
	s_waitcnt vmcnt(0)
	v_mul_f32_e32 v3, s23, v4
	v_fma_mixlo_f16 v3, s33, v3, 0
	global_store_short v[0:1], v3, off
.LBB71_49:                              ;   in Loop: Header=BB71_7 Depth=1
	s_or_b64 exec, exec, s[8:9]
	scratch_load_dwordx4 v[4:7], off, off offset:896
	v_add_u32_e32 v20, s22, v20
	s_and_b64 s[2:3], exec, vcc
	s_waitcnt vmcnt(0)
	v_mul_f32_e32 v0, s23, v4
	v_fma_mixlo_f16 v3, s33, v0, 0
	v_lshl_add_u64 v[0:1], v[20:21], 1, s[28:29]
	v_mov_b32_e32 v20, v8
	global_store_short v[0:1], v3, off
	s_mov_b64 exec, s[2:3]
	s_cbranch_execz .LBB71_6
; %bb.50:                               ;   in Loop: Header=BB71_7 Depth=1
	scratch_load_dwordx4 v[4:7], off, off offset:960
	s_waitcnt vmcnt(0)
	v_mov_b32_e32 v6, v20
	v_add_u32_e32 v20, s39, v2
	v_add_u32_e32 v0, 2, v10
	v_lshl_add_u64 v[2:3], v[20:21], 1, s[28:29]
	v_mov_b32_e32 v20, v6
	v_cmp_gt_u32_e32 vcc, s22, v0
	v_mul_f32_e32 v1, s23, v4
	v_fma_mixlo_f16 v1, s33, v1, 0
	global_store_short v[2:3], v1, off
	s_and_b64 exec, exec, vcc
	s_cbranch_execz .LBB71_6
; %bb.51:                               ;   in Loop: Header=BB71_7 Depth=1
	scratch_load_dwordx4 v[2:5], off, off offset:1024
	v_add_u32_e32 v20, s39, v0
	v_add_u32_e32 v0, 3, v10
	s_waitcnt vmcnt(0)
	v_lshl_add_u64 v[4:5], v[20:21], 1, s[28:29]
	v_mov_b32_e32 v20, v6
	v_cmp_gt_u32_e32 vcc, s22, v0
	v_mul_f32_e32 v1, s23, v2
	v_fma_mixlo_f16 v1, s33, v1, 0
	global_store_short v[4:5], v1, off
	s_and_b64 exec, exec, vcc
	s_cbranch_execz .LBB71_6
; %bb.52:                               ;   in Loop: Header=BB71_7 Depth=1
	scratch_load_dwordx4 v[2:5], off, off offset:1088
	v_add_u32_e32 v20, s39, v0
	v_add_u32_e32 v0, 4, v10
	s_waitcnt vmcnt(0)
	;; [unrolled: 13-line block ×4, first 2 shown]
	v_lshl_add_u64 v[4:5], v[20:21], 1, s[28:29]
	v_mov_b32_e32 v20, v6
	v_cmp_gt_u32_e32 vcc, s22, v0
	v_mul_f32_e32 v1, s23, v2
	v_fma_mixlo_f16 v1, s33, v1, 0
	global_store_short v[4:5], v1, off
	s_and_b64 exec, exec, vcc
	s_cbranch_execz .LBB71_6
; %bb.55:                               ;   in Loop: Header=BB71_7 Depth=1
	scratch_load_dwordx4 v[2:5], off, off offset:1280
	v_add_u32_e32 v20, s39, v0
	s_waitcnt vmcnt(0)
	v_mul_f32_e32 v0, s23, v2
	v_fma_mixlo_f16 v2, s33, v0, 0
	v_lshl_add_u64 v[0:1], v[20:21], 1, s[28:29]
	v_mov_b32_e32 v20, v6
	global_store_short v[0:1], v2, off
	s_branch .LBB71_6
.LBB71_56:
	s_endpgm
	.section	.rodata,"a",@progbits
	.p2align	6, 0x0
	.amdhsa_kernel _ZN5aiter13wvSplitKQ_hf_I6__halfhLi64ELi7ELi16ELi16ELi1ELi3EEEviiiPKT0_S4_PT_PKfS8_ii
		.amdhsa_group_segment_fixed_size 65536
		.amdhsa_private_segment_fixed_size 3008
		.amdhsa_kernarg_size 64
		.amdhsa_user_sgpr_count 2
		.amdhsa_user_sgpr_dispatch_ptr 0
		.amdhsa_user_sgpr_queue_ptr 0
		.amdhsa_user_sgpr_kernarg_segment_ptr 1
		.amdhsa_user_sgpr_dispatch_id 0
		.amdhsa_user_sgpr_kernarg_preload_length 0
		.amdhsa_user_sgpr_kernarg_preload_offset 0
		.amdhsa_user_sgpr_private_segment_size 0
		.amdhsa_uses_dynamic_stack 0
		.amdhsa_enable_private_segment 1
		.amdhsa_system_sgpr_workgroup_id_x 1
		.amdhsa_system_sgpr_workgroup_id_y 0
		.amdhsa_system_sgpr_workgroup_id_z 0
		.amdhsa_system_sgpr_workgroup_info 0
		.amdhsa_system_vgpr_workitem_id 1
		.amdhsa_next_free_vgpr 128
		.amdhsa_next_free_sgpr 42
		.amdhsa_accum_offset 128
		.amdhsa_reserve_vcc 1
		.amdhsa_float_round_mode_32 0
		.amdhsa_float_round_mode_16_64 0
		.amdhsa_float_denorm_mode_32 3
		.amdhsa_float_denorm_mode_16_64 3
		.amdhsa_dx10_clamp 1
		.amdhsa_ieee_mode 1
		.amdhsa_fp16_overflow 0
		.amdhsa_tg_split 0
		.amdhsa_exception_fp_ieee_invalid_op 0
		.amdhsa_exception_fp_denorm_src 0
		.amdhsa_exception_fp_ieee_div_zero 0
		.amdhsa_exception_fp_ieee_overflow 0
		.amdhsa_exception_fp_ieee_underflow 0
		.amdhsa_exception_fp_ieee_inexact 0
		.amdhsa_exception_int_div_zero 0
	.end_amdhsa_kernel
	.section	.text._ZN5aiter13wvSplitKQ_hf_I6__halfhLi64ELi7ELi16ELi16ELi1ELi3EEEviiiPKT0_S4_PT_PKfS8_ii,"axG",@progbits,_ZN5aiter13wvSplitKQ_hf_I6__halfhLi64ELi7ELi16ELi16ELi1ELi3EEEviiiPKT0_S4_PT_PKfS8_ii,comdat
.Lfunc_end71:
	.size	_ZN5aiter13wvSplitKQ_hf_I6__halfhLi64ELi7ELi16ELi16ELi1ELi3EEEviiiPKT0_S4_PT_PKfS8_ii, .Lfunc_end71-_ZN5aiter13wvSplitKQ_hf_I6__halfhLi64ELi7ELi16ELi16ELi1ELi3EEEviiiPKT0_S4_PT_PKfS8_ii
                                        ; -- End function
	.section	.AMDGPU.csdata,"",@progbits
; Kernel info:
; codeLenInByte = 8460
; NumSgprs: 48
; NumVgprs: 128
; NumAgprs: 0
; TotalNumVgprs: 128
; ScratchSize: 3008
; MemoryBound: 1
; FloatMode: 240
; IeeeMode: 1
; LDSByteSize: 65536 bytes/workgroup (compile time only)
; SGPRBlocks: 5
; VGPRBlocks: 15
; NumSGPRsForWavesPerEU: 48
; NumVGPRsForWavesPerEU: 128
; AccumOffset: 128
; Occupancy: 4
; WaveLimiterHint : 1
; COMPUTE_PGM_RSRC2:SCRATCH_EN: 1
; COMPUTE_PGM_RSRC2:USER_SGPR: 2
; COMPUTE_PGM_RSRC2:TRAP_HANDLER: 0
; COMPUTE_PGM_RSRC2:TGID_X_EN: 1
; COMPUTE_PGM_RSRC2:TGID_Y_EN: 0
; COMPUTE_PGM_RSRC2:TGID_Z_EN: 0
; COMPUTE_PGM_RSRC2:TIDIG_COMP_CNT: 1
; COMPUTE_PGM_RSRC3_GFX90A:ACCUM_OFFSET: 31
; COMPUTE_PGM_RSRC3_GFX90A:TG_SPLIT: 0
	.section	.text._ZN5aiter17wvSplitKQ_hf_sml_I6__halfhLi64ELi4ELi16ELi16ELi1ELi4EEEviiiPKT0_S4_PT_PKfS8_ii,"axG",@progbits,_ZN5aiter17wvSplitKQ_hf_sml_I6__halfhLi64ELi4ELi16ELi16ELi1ELi4EEEviiiPKT0_S4_PT_PKfS8_ii,comdat
	.protected	_ZN5aiter17wvSplitKQ_hf_sml_I6__halfhLi64ELi4ELi16ELi16ELi1ELi4EEEviiiPKT0_S4_PT_PKfS8_ii ; -- Begin function _ZN5aiter17wvSplitKQ_hf_sml_I6__halfhLi64ELi4ELi16ELi16ELi1ELi4EEEviiiPKT0_S4_PT_PKfS8_ii
	.globl	_ZN5aiter17wvSplitKQ_hf_sml_I6__halfhLi64ELi4ELi16ELi16ELi1ELi4EEEviiiPKT0_S4_PT_PKfS8_ii
	.p2align	8
	.type	_ZN5aiter17wvSplitKQ_hf_sml_I6__halfhLi64ELi4ELi16ELi16ELi1ELi4EEEviiiPKT0_S4_PT_PKfS8_ii,@function
_ZN5aiter17wvSplitKQ_hf_sml_I6__halfhLi64ELi4ELi16ELi16ELi1ELi4EEEviiiPKT0_S4_PT_PKfS8_ii: ; @_ZN5aiter17wvSplitKQ_hf_sml_I6__halfhLi64ELi4ELi16ELi16ELi1ELi4EEEviiiPKT0_S4_PT_PKfS8_ii
; %bb.0:
	s_load_dwordx4 s[4:7], s[0:1], 0x0
	s_load_dwordx4 s[8:11], s[0:1], 0x28
	v_bfe_u32 v1, v0, 10, 10
	v_and_b32_e32 v0, 0x3ff, v0
	v_lshlrev_b32_e32 v4, 4, v0
	v_mov_b32_e32 v2, v4
	s_waitcnt lgkmcnt(0)
	s_lshl_b32 s3, s4, 2
	scratch_store_dwordx2 off, v[2:3], off offset:1928 ; 8-byte Folded Spill
	v_lshl_add_u32 v2, v1, 10, v4
	s_min_i32 s3, s3, 0x10000
	v_cmp_gt_u32_e32 vcc, s3, v2
	s_and_saveexec_b64 s[12:13], vcc
	s_cbranch_execz .LBB72_3
; %bb.1:
	s_load_dwordx2 s[14:15], s[0:1], 0x18
	s_mov_b64 s[16:17], 0
.LBB72_2:                               ; =>This Inner Loop Header: Depth=1
	s_waitcnt lgkmcnt(0)
	global_load_dwordx4 v[4:7], v2, s[14:15]
	s_waitcnt vmcnt(0)
	ds_write_b128 v2, v[4:7]
	v_add_u32_e32 v2, 0x4000, v2
	v_cmp_le_u32_e32 vcc, s3, v2
	s_or_b64 s[16:17], vcc, s[16:17]
	s_andn2_b64 exec, exec, s[16:17]
	s_cbranch_execnz .LBB72_2
.LBB72_3:
	s_or_b64 exec, exec, s[12:13]
	s_load_dwordx2 s[14:15], s[0:1], 0x38
	s_waitcnt lgkmcnt(0)
	s_barrier
	v_cmp_gt_u32_e32 vcc, s14, v1
	s_and_saveexec_b64 s[12:13], vcc
	s_cbranch_execz .LBB72_17
; %bb.4:
	s_mul_i32 s2, s2, s14
	v_add_u32_e32 v1, s2, v1
	v_lshlrev_b32_e32 v118, 2, v1
	v_cmp_gt_u32_e32 vcc, s6, v118
	s_and_b64 exec, exec, vcc
	s_cbranch_execz .LBB72_17
; %bb.5:
	s_load_dword s7, s[8:9], 0x0
	s_load_dword s22, s[10:11], 0x0
	s_load_dwordx2 s[2:3], s[0:1], 0x10
	s_load_dwordx2 s[12:13], s[0:1], 0x20
	scratch_load_dwordx2 v[2:3], off, off offset:1928 ; 8-byte Folded Reload
	v_cmp_eq_u32_e64 s[0:1], 0, v0
	s_mov_b32 s9, 0
	s_mov_b32 s24, s9
	;; [unrolled: 1-line block ×5, first 2 shown]
	s_mul_i32 s20, s14, s15
	s_cmp_lg_u32 s4, 0
	s_cselect_b64 s[10:11], -1, 0
	s_lshl_b32 s23, s20, 2
	s_mul_i32 s20, s20, s5
	s_mov_b32 s8, s5
	s_lshl_b32 s14, s5, 1
	s_mov_b32 s15, s9
	s_mul_i32 s16, s5, 3
	s_mov_b32 s17, s9
	v_mov_b32_e32 v55, 0
	s_waitcnt vmcnt(0)
	v_lshl_add_u32 v0, s4, 1, v2
	scratch_store_dword off, v0, off offset:1948 ; 4-byte Folded Spill
	v_add_u32_e32 v0, s4, v2
	scratch_store_dword off, v0, off offset:1952 ; 4-byte Folded Spill
	v_mul_lo_u32 v0, s5, v1
	v_lshl_add_u32 v0, v0, 2, v2
	v_mad_u64_u32 v[4:5], s[18:19], s4, 3, v[2:3]
	scratch_store_dword off, v0, off offset:1936 ; 4-byte Folded Spill
	v_mov_b64_e32 v[0:1], s[24:25]
	v_mov_b64_e32 v[2:3], s[26:27]
	scratch_store_dwordx4 off, v[0:3], off offset:1964 ; 16-byte Folded Spill
	s_lshl_b32 s5, s20, 2
	s_mov_b64 s[18:19], 0
	v_mbcnt_lo_u32_b32 v0, -1, 0
	v_mbcnt_hi_u32_b32 v0, -1, v0
	v_lshlrev_b32_e32 v0, 2, v0
	v_and_b32_e32 v122, 0x100, v0
	scratch_store_dwordx2 off, v[4:5], off offset:1940 ; 8-byte Folded Spill
	scratch_store_dword off, v122, off offset:1980 ; 4-byte Folded Spill
	s_branch .LBB72_7
.LBB72_6:                               ;   in Loop: Header=BB72_7 Depth=1
	s_or_b64 exec, exec, s[20:21]
	v_add_u32_e32 v118, s23, v118
	v_cmp_le_u32_e32 vcc, s6, v118
	s_or_b64 s[18:19], vcc, s[18:19]
	v_add_u32_e32 v121, s5, v121
	scratch_store_dword off, v121, off offset:1936 ; 4-byte Folded Spill
	s_andn2_b64 exec, exec, s[18:19]
	s_cbranch_execz .LBB72_17
.LBB72_7:                               ; =>This Loop Header: Depth=1
                                        ;     Child Loop BB72_10 Depth 2
                                        ;     Child Loop BB72_14 Depth 2
	scratch_load_dwordx4 v[0:3], off, off offset:1964 ; 16-byte Folded Reload
	s_and_b64 vcc, exec, s[10:11]
	s_waitcnt vmcnt(0)
	scratch_store_dwordx4 off, v[0:3], off offset:48
	scratch_store_dwordx4 off, v[0:3], off offset:32
	;; [unrolled: 1-line block ×3, first 2 shown]
	scratch_store_dwordx4 off, v[0:3], off
	scratch_store_dwordx4 off, v[0:3], off offset:304
	scratch_store_dwordx4 off, v[0:3], off offset:288
	scratch_store_dwordx4 off, v[0:3], off offset:272
	scratch_store_dwordx4 off, v[0:3], off offset:256
	scratch_store_dwordx4 off, v[0:3], off offset:560
	scratch_store_dwordx4 off, v[0:3], off offset:544
	scratch_store_dwordx4 off, v[0:3], off offset:528
	scratch_store_dwordx4 off, v[0:3], off offset:512
	scratch_store_dwordx4 off, v[0:3], off offset:816
	scratch_store_dwordx4 off, v[0:3], off offset:800
	scratch_store_dwordx4 off, v[0:3], off offset:784
	scratch_store_dwordx4 off, v[0:3], off offset:768
	scratch_store_dwordx4 off, v[0:3], off offset:112
	scratch_store_dwordx4 off, v[0:3], off offset:96
	scratch_store_dwordx4 off, v[0:3], off offset:80
	scratch_store_dwordx4 off, v[0:3], off offset:64
	scratch_store_dwordx4 off, v[0:3], off offset:368
	scratch_store_dwordx4 off, v[0:3], off offset:352
	scratch_store_dwordx4 off, v[0:3], off offset:336
	scratch_store_dwordx4 off, v[0:3], off offset:320
	scratch_store_dwordx4 off, v[0:3], off offset:624
	scratch_store_dwordx4 off, v[0:3], off offset:608
	scratch_store_dwordx4 off, v[0:3], off offset:592
	scratch_store_dwordx4 off, v[0:3], off offset:576
	scratch_store_dwordx4 off, v[0:3], off offset:880
	scratch_store_dwordx4 off, v[0:3], off offset:864
	scratch_store_dwordx4 off, v[0:3], off offset:848
	scratch_store_dwordx4 off, v[0:3], off offset:832
	scratch_store_dwordx4 off, v[0:3], off offset:176
	scratch_store_dwordx4 off, v[0:3], off offset:160
	scratch_store_dwordx4 off, v[0:3], off offset:144
	scratch_store_dwordx4 off, v[0:3], off offset:128
	scratch_store_dwordx4 off, v[0:3], off offset:432
	scratch_store_dwordx4 off, v[0:3], off offset:416
	scratch_store_dwordx4 off, v[0:3], off offset:400
	scratch_store_dwordx4 off, v[0:3], off offset:384
	scratch_store_dwordx4 off, v[0:3], off offset:688
	scratch_store_dwordx4 off, v[0:3], off offset:672
	scratch_store_dwordx4 off, v[0:3], off offset:656
	scratch_store_dwordx4 off, v[0:3], off offset:640
	scratch_store_dwordx4 off, v[0:3], off offset:944
	scratch_store_dwordx4 off, v[0:3], off offset:928
	scratch_store_dwordx4 off, v[0:3], off offset:912
	scratch_store_dwordx4 off, v[0:3], off offset:896
	scratch_store_dwordx4 off, v[0:3], off offset:240
	scratch_store_dwordx4 off, v[0:3], off offset:224
	scratch_store_dwordx4 off, v[0:3], off offset:208
	scratch_store_dwordx4 off, v[0:3], off offset:192
	scratch_store_dwordx4 off, v[0:3], off offset:496
	scratch_store_dwordx4 off, v[0:3], off offset:480
	scratch_store_dwordx4 off, v[0:3], off offset:464
	scratch_store_dwordx4 off, v[0:3], off offset:448
	scratch_store_dwordx4 off, v[0:3], off offset:752
	scratch_store_dwordx4 off, v[0:3], off offset:736
	scratch_store_dwordx4 off, v[0:3], off offset:720
	scratch_store_dwordx4 off, v[0:3], off offset:704
	scratch_store_dwordx4 off, v[0:3], off offset:1008
	scratch_store_dwordx4 off, v[0:3], off offset:992
	scratch_store_dwordx4 off, v[0:3], off offset:976
	scratch_store_dwordx4 off, v[0:3], off offset:960
	s_cbranch_vccz .LBB72_13
; %bb.8:                                ;   in Loop: Header=BB72_7 Depth=1
	v_mov_b32_e32 v112, 0
	v_mov_b32_e32 v0, v112
	;; [unrolled: 1-line block ×33, first 2 shown]
	scratch_store_dwordx2 off, v[54:55], off offset:1920 ; 8-byte Folded Spill
	scratch_store_dwordx2 off, v[118:119], off offset:1956 ; 8-byte Folded Spill
	scratch_store_dwordx4 off, v[0:3], off offset:1280 ; 16-byte Folded Spill
	s_nop 0
	scratch_store_dwordx4 off, v[4:7], off offset:1296 ; 16-byte Folded Spill
	scratch_store_dwordx4 off, v[8:11], off offset:1312 ; 16-byte Folded Spill
	scratch_store_dwordx4 off, v[12:15], off offset:1328 ; 16-byte Folded Spill
	scratch_store_dwordx4 off, v[0:3], off offset:1408 ; 16-byte Folded Spill
	s_nop 0
	scratch_store_dwordx4 off, v[4:7], off offset:1424 ; 16-byte Folded Spill
	scratch_store_dwordx4 off, v[8:11], off offset:1440 ; 16-byte Folded Spill
	scratch_store_dwordx4 off, v[12:15], off offset:1456 ; 16-byte Folded Spill
	scratch_store_dwordx4 off, v[0:3], off offset:1536 ; 16-byte Folded Spill
	s_nop 0
	scratch_store_dwordx4 off, v[4:7], off offset:1552 ; 16-byte Folded Spill
	scratch_store_dwordx4 off, v[8:11], off offset:1568 ; 16-byte Folded Spill
	scratch_store_dwordx4 off, v[12:15], off offset:1584 ; 16-byte Folded Spill
	scratch_store_dwordx4 off, v[16:19], off offset:1024 ; 16-byte Folded Spill
	s_nop 0
	scratch_store_dwordx4 off, v[20:23], off offset:1040 ; 16-byte Folded Spill
	scratch_store_dwordx4 off, v[24:27], off offset:1056 ; 16-byte Folded Spill
	scratch_store_dwordx4 off, v[28:31], off offset:1072 ; 16-byte Folded Spill
	scratch_store_dwordx4 off, v[16:19], off offset:1088 ; 16-byte Folded Spill
	s_nop 0
	scratch_store_dwordx4 off, v[20:23], off offset:1104 ; 16-byte Folded Spill
	scratch_store_dwordx4 off, v[24:27], off offset:1120 ; 16-byte Folded Spill
	scratch_store_dwordx4 off, v[28:31], off offset:1136 ; 16-byte Folded Spill
	scratch_store_dwordx4 off, v[16:19], off offset:1152 ; 16-byte Folded Spill
	s_nop 0
	scratch_store_dwordx4 off, v[20:23], off offset:1168 ; 16-byte Folded Spill
	scratch_store_dwordx4 off, v[24:27], off offset:1184 ; 16-byte Folded Spill
	scratch_store_dwordx4 off, v[28:31], off offset:1200 ; 16-byte Folded Spill
	scratch_store_dwordx4 off, v[16:19], off offset:1216 ; 16-byte Folded Spill
	s_nop 0
	scratch_store_dwordx4 off, v[20:23], off offset:1232 ; 16-byte Folded Spill
	scratch_store_dwordx4 off, v[24:27], off offset:1248 ; 16-byte Folded Spill
	scratch_store_dwordx4 off, v[28:31], off offset:1264 ; 16-byte Folded Spill
	s_mov_b32 s24, 0
	v_mov_b32_e32 v113, v112
	v_mov_b32_e32 v114, v112
	;; [unrolled: 1-line block ×79, first 2 shown]
	scratch_store_dwordx4 off, v[16:19], off offset:1344 ; 16-byte Folded Spill
	s_nop 0
	scratch_store_dwordx4 off, v[20:23], off offset:1360 ; 16-byte Folded Spill
	scratch_store_dwordx4 off, v[24:27], off offset:1376 ; 16-byte Folded Spill
	scratch_store_dwordx4 off, v[28:31], off offset:1392 ; 16-byte Folded Spill
	scratch_store_dwordx4 off, v[16:19], off offset:1472 ; 16-byte Folded Spill
	s_nop 0
	scratch_store_dwordx4 off, v[20:23], off offset:1488 ; 16-byte Folded Spill
	scratch_store_dwordx4 off, v[24:27], off offset:1504 ; 16-byte Folded Spill
	scratch_store_dwordx4 off, v[28:31], off offset:1520 ; 16-byte Folded Spill
	;; [unrolled: 5-line block ×3, first 2 shown]
	s_branch .LBB72_10
.LBB72_9:                               ;   in Loop: Header=BB72_10 Depth=2
	s_or_b64 exec, exec, s[20:21]
	scratch_load_dwordx4 v[96:99], off, off offset:1216 ; 16-byte Folded Reload
	scratch_load_dwordx4 v[100:103], off, off offset:1232 ; 16-byte Folded Reload
	;; [unrolled: 1-line block ×16, first 2 shown]
	s_waitcnt lgkmcnt(0)
	v_mfma_f32_32x32x16_fp8_fp8 v[0:15], v[40:41], v[28:29], v[0:15]
	s_addk_i32 s24, 0x400
	s_cmp_ge_u32 s24, s4
	v_mfma_f32_32x32x16_fp8_fp8 v[0:15], v[42:43], v[30:31], v[0:15]
	v_mfma_f32_32x32x16_fp8_fp8 v[112:127], v[36:37], v[28:29], v[112:127]
	;; [unrolled: 1-line block ×3, first 2 shown]
	s_waitcnt vmcnt(12)
	v_mfma_f32_32x32x16_fp8_fp8 v[96:111], v[44:45], v[28:29], v[96:111]
	s_waitcnt vmcnt(8)
	v_mfma_f32_32x32x16_fp8_fp8 v[80:95], v[44:45], v[32:33], v[80:95]
	;; [unrolled: 2-line block ×4, first 2 shown]
	v_mfma_f32_32x32x16_fp8_fp8 v[96:111], v[46:47], v[30:31], v[96:111]
	s_nop 7
	s_nop 2
	scratch_store_dwordx4 off, v[96:99], off offset:1216 ; 16-byte Folded Spill
	s_nop 0
	scratch_store_dwordx4 off, v[100:103], off offset:1232 ; 16-byte Folded Spill
	scratch_store_dwordx4 off, v[104:107], off offset:1248 ; 16-byte Folded Spill
	scratch_store_dwordx4 off, v[108:111], off offset:1264 ; 16-byte Folded Spill
	v_mfma_f32_32x32x16_fp8_fp8 v[80:95], v[46:47], v[34:35], v[80:95]
	s_nop 7
	s_nop 2
	scratch_store_dwordx4 off, v[80:83], off offset:1152 ; 16-byte Folded Spill
	s_nop 0
	scratch_store_dwordx4 off, v[84:87], off offset:1168 ; 16-byte Folded Spill
	scratch_store_dwordx4 off, v[88:91], off offset:1184 ; 16-byte Folded Spill
	scratch_store_dwordx4 off, v[92:95], off offset:1200 ; 16-byte Folded Spill
	;; [unrolled: 8-line block ×4, first 2 shown]
	scratch_load_dwordx4 v[76:79], off, off offset:1536 ; 16-byte Folded Reload
	scratch_load_dwordx4 v[80:83], off, off offset:1552 ; 16-byte Folded Reload
	;; [unrolled: 1-line block ×4, first 2 shown]
	s_nop 0
	scratch_load_dwordx4 v[60:63], off, off offset:1408 ; 16-byte Folded Reload
	scratch_load_dwordx4 v[64:67], off, off offset:1424 ; 16-byte Folded Reload
	;; [unrolled: 1-line block ×8, first 2 shown]
	s_waitcnt vmcnt(8)
	v_mfma_f32_32x32x16_fp8_fp8 v[76:91], v[40:41], v[32:33], v[76:91]
	s_waitcnt vmcnt(4)
	v_mfma_f32_32x32x16_fp8_fp8 v[60:75], v[40:41], v[24:25], v[60:75]
	;; [unrolled: 2-line block ×3, first 2 shown]
	v_mfma_f32_32x32x16_fp8_fp8 v[76:91], v[42:43], v[34:35], v[76:91]
	s_nop 7
	s_nop 2
	scratch_store_dwordx4 off, v[76:79], off offset:1536 ; 16-byte Folded Spill
	s_nop 0
	scratch_store_dwordx4 off, v[80:83], off offset:1552 ; 16-byte Folded Spill
	scratch_store_dwordx4 off, v[84:87], off offset:1568 ; 16-byte Folded Spill
	scratch_store_dwordx4 off, v[88:91], off offset:1584 ; 16-byte Folded Spill
	v_mfma_f32_32x32x16_fp8_fp8 v[60:75], v[42:43], v[26:27], v[60:75]
	s_nop 7
	s_nop 2
	scratch_store_dwordx4 off, v[60:63], off offset:1408 ; 16-byte Folded Spill
	s_nop 0
	scratch_store_dwordx4 off, v[64:67], off offset:1424 ; 16-byte Folded Spill
	scratch_store_dwordx4 off, v[68:71], off offset:1440 ; 16-byte Folded Spill
	scratch_store_dwordx4 off, v[72:75], off offset:1456 ; 16-byte Folded Spill
	;; [unrolled: 8-line block ×3, first 2 shown]
	scratch_load_dwordx4 v[72:75], off, off offset:1600 ; 16-byte Folded Reload
	scratch_load_dwordx4 v[76:79], off, off offset:1616 ; 16-byte Folded Reload
	;; [unrolled: 1-line block ×4, first 2 shown]
	s_nop 0
	scratch_load_dwordx4 v[56:59], off, off offset:1472 ; 16-byte Folded Reload
	scratch_load_dwordx4 v[60:63], off, off offset:1488 ; 16-byte Folded Reload
	;; [unrolled: 1-line block ×8, first 2 shown]
	s_waitcnt vmcnt(8)
	v_mfma_f32_32x32x16_fp8_fp8 v[72:87], v[36:37], v[32:33], v[72:87]
	s_waitcnt vmcnt(4)
	v_mfma_f32_32x32x16_fp8_fp8 v[56:71], v[36:37], v[24:25], v[56:71]
	;; [unrolled: 2-line block ×3, first 2 shown]
	v_mfma_f32_32x32x16_fp8_fp8 v[72:87], v[38:39], v[34:35], v[72:87]
	s_nop 7
	s_nop 2
	scratch_store_dwordx4 off, v[72:75], off offset:1600 ; 16-byte Folded Spill
	s_nop 0
	scratch_store_dwordx4 off, v[76:79], off offset:1616 ; 16-byte Folded Spill
	scratch_store_dwordx4 off, v[80:83], off offset:1632 ; 16-byte Folded Spill
	scratch_store_dwordx4 off, v[84:87], off offset:1648 ; 16-byte Folded Spill
	v_mfma_f32_32x32x16_fp8_fp8 v[56:71], v[38:39], v[26:27], v[56:71]
	s_nop 7
	s_nop 2
	scratch_store_dwordx4 off, v[56:59], off offset:1472 ; 16-byte Folded Spill
	s_nop 0
	scratch_store_dwordx4 off, v[60:63], off offset:1488 ; 16-byte Folded Spill
	scratch_store_dwordx4 off, v[64:67], off offset:1504 ; 16-byte Folded Spill
	scratch_store_dwordx4 off, v[68:71], off offset:1520 ; 16-byte Folded Spill
	;; [unrolled: 8-line block ×3, first 2 shown]
	scratch_load_dwordx4 v[84:87], off, off offset:1856 ; 16-byte Folded Reload
	scratch_load_dwordx4 v[88:91], off, off offset:1872 ; 16-byte Folded Reload
	;; [unrolled: 1-line block ×16, first 2 shown]
	s_waitcnt vmcnt(12)
	v_mfma_f32_32x32x16_fp8_fp8 v[84:99], v[20:21], v[28:29], v[84:99]
	s_waitcnt vmcnt(8)
	v_mfma_f32_32x32x16_fp8_fp8 v[68:83], v[20:21], v[32:33], v[68:83]
	;; [unrolled: 2-line block ×4, first 2 shown]
	v_mfma_f32_32x32x16_fp8_fp8 v[84:99], v[22:23], v[30:31], v[84:99]
	v_mfma_f32_32x32x16_fp8_fp8 v[68:83], v[22:23], v[34:35], v[68:83]
	;; [unrolled: 1-line block ×4, first 2 shown]
	s_cbranch_scc1 .LBB72_12
.LBB72_10:                              ;   Parent Loop BB72_7 Depth=1
                                        ; =>  This Inner Loop Header: Depth=2
	s_nop 6
	scratch_store_dwordx4 off, v[84:87], off offset:1856 ; 16-byte Folded Spill
	s_nop 0
	scratch_store_dwordx4 off, v[88:91], off offset:1872 ; 16-byte Folded Spill
	scratch_store_dwordx4 off, v[92:95], off offset:1888 ; 16-byte Folded Spill
	scratch_store_dwordx4 off, v[96:99], off offset:1904 ; 16-byte Folded Spill
	scratch_store_dwordx4 off, v[68:71], off offset:1792 ; 16-byte Folded Spill
	s_nop 0
	scratch_store_dwordx4 off, v[72:75], off offset:1808 ; 16-byte Folded Spill
	scratch_store_dwordx4 off, v[76:79], off offset:1824 ; 16-byte Folded Spill
	scratch_store_dwordx4 off, v[80:83], off offset:1840 ; 16-byte Folded Spill
	scratch_store_dwordx4 off, v[52:55], off offset:1728 ; 16-byte Folded Spill
	s_nop 0
	scratch_store_dwordx4 off, v[56:59], off offset:1744 ; 16-byte Folded Spill
	scratch_store_dwordx4 off, v[60:63], off offset:1760 ; 16-byte Folded Spill
	scratch_store_dwordx4 off, v[64:67], off offset:1776 ; 16-byte Folded Spill
	scratch_store_dwordx4 off, v[36:39], off offset:1664 ; 16-byte Folded Spill
	s_nop 0
	scratch_store_dwordx4 off, v[40:43], off offset:1680 ; 16-byte Folded Spill
	scratch_store_dwordx4 off, v[44:47], off offset:1696 ; 16-byte Folded Spill
	scratch_store_dwordx4 off, v[48:51], off offset:1712 ; 16-byte Folded Spill
	scratch_load_dwordx2 v[16:17], off, off offset:1928 ; 8-byte Folded Reload
	v_mov_b64_e32 v[44:45], 0
	v_mov_b64_e32 v[46:47], v[44:45]
	;; [unrolled: 1-line block ×15, first 2 shown]
	s_waitcnt vmcnt(0)
	v_add_u32_e32 v48, s24, v16
	v_cmp_gt_u32_e32 vcc, s4, v48
	v_mov_b64_e32 v[16:17], v[44:45]
	s_and_saveexec_b64 s[20:21], vcc
	s_cbranch_execz .LBB72_9
; %bb.11:                               ;   in Loop: Header=BB72_10 Depth=2
	scratch_load_dwordx2 v[16:17], off, off offset:1920 ; 8-byte Folded Reload
	scratch_load_dword v16, off, off offset:1936 ; 4-byte Folded Reload
	s_waitcnt vmcnt(1)
	v_mov_b32_e32 v19, v17
	s_waitcnt vmcnt(0)
	v_add_u32_e32 v18, s24, v16
	s_waitcnt lgkmcnt(0)
	v_lshl_add_u64 v[16:17], s[2:3], 0, v[18:19]
	scratch_store_dwordx2 off, v[18:19], off offset:1920 ; 8-byte Folded Spill
	global_load_dwordx4 v[28:31], v18, s[2:3] nt
	v_lshl_add_u64 v[18:19], v[16:17], 0, s[8:9]
	v_lshl_add_u64 v[20:21], v[16:17], 0, s[14:15]
	global_load_dwordx4 v[32:35], v[18:19], off nt
	global_load_dwordx4 v[24:27], v[20:21], off nt
	v_lshl_add_u64 v[16:17], v[16:17], 0, s[16:17]
	scratch_load_dword v20, off, off offset:1952 ; 4-byte Folded Reload
	scratch_load_dword v21, off, off offset:1948 ; 4-byte Folded Reload
	ds_read_b128 v[40:43], v48
	global_load_dwordx4 v[16:19], v[16:17], off nt
	s_waitcnt vmcnt(2)
	v_add_u32_e32 v20, s24, v20
	s_waitcnt vmcnt(1)
	v_add_u32_e32 v21, s24, v21
	ds_read_b128 v[36:39], v20
	ds_read_b128 v[20:23], v21
	scratch_load_dwordx2 v[44:45], off, off offset:1940 ; 8-byte Folded Reload
	s_waitcnt vmcnt(0)
	v_add_u32_e32 v44, s24, v44
	ds_read_b128 v[44:47], v44
	s_branch .LBB72_9
.LBB72_12:                              ;   in Loop: Header=BB72_7 Depth=1
	scratch_store_dwordx4 off, v[12:15], off offset:48
	scratch_store_dwordx4 off, v[8:11], off offset:32
	;; [unrolled: 1-line block ×3, first 2 shown]
	scratch_store_dwordx4 off, v[0:3], off
	scratch_load_dwordx4 v[0:3], off, off offset:1536 ; 16-byte Folded Reload
	s_nop 0
	scratch_load_dwordx4 v[4:7], off, off offset:1552 ; 16-byte Folded Reload
	scratch_load_dwordx4 v[8:11], off, off offset:1568 ; 16-byte Folded Reload
	scratch_load_dwordx4 v[12:15], off, off offset:1584 ; 16-byte Folded Reload
	s_waitcnt vmcnt(0)
	scratch_store_dwordx4 off, v[12:15], off offset:112
	scratch_store_dwordx4 off, v[8:11], off offset:96
	scratch_store_dwordx4 off, v[4:7], off offset:80
	scratch_store_dwordx4 off, v[0:3], off offset:64
	scratch_load_dwordx4 v[0:3], off, off offset:1408 ; 16-byte Folded Reload
	s_nop 0
	scratch_load_dwordx4 v[4:7], off, off offset:1424 ; 16-byte Folded Reload
	scratch_load_dwordx4 v[8:11], off, off offset:1440 ; 16-byte Folded Reload
	scratch_load_dwordx4 v[12:15], off, off offset:1456 ; 16-byte Folded Reload
	s_waitcnt vmcnt(0)
	scratch_store_dwordx4 off, v[12:15], off offset:176
	scratch_store_dwordx4 off, v[8:11], off offset:160
	scratch_store_dwordx4 off, v[4:7], off offset:144
	scratch_store_dwordx4 off, v[0:3], off offset:128
	scratch_load_dwordx4 v[0:3], off, off offset:1280 ; 16-byte Folded Reload
	s_nop 0
	scratch_load_dwordx4 v[4:7], off, off offset:1296 ; 16-byte Folded Reload
	scratch_load_dwordx4 v[8:11], off, off offset:1312 ; 16-byte Folded Reload
	scratch_load_dwordx4 v[12:15], off, off offset:1328 ; 16-byte Folded Reload
	s_waitcnt vmcnt(0)
	scratch_store_dwordx4 off, v[12:15], off offset:240
	scratch_store_dwordx4 off, v[8:11], off offset:224
	scratch_store_dwordx4 off, v[4:7], off offset:208
	scratch_store_dwordx4 off, v[0:3], off offset:192
	scratch_store_dwordx4 off, v[124:127], off offset:304
	scratch_store_dwordx4 off, v[120:123], off offset:288
	;; [unrolled: 1-line block ×4, first 2 shown]
	scratch_load_dwordx4 v[0:3], off, off offset:1600 ; 16-byte Folded Reload
	scratch_load_dwordx4 v[4:7], off, off offset:1616 ; 16-byte Folded Reload
	;; [unrolled: 1-line block ×4, first 2 shown]
	s_waitcnt vmcnt(0)
	scratch_store_dwordx4 off, v[12:15], off offset:368
	scratch_store_dwordx4 off, v[8:11], off offset:352
	;; [unrolled: 1-line block ×4, first 2 shown]
	scratch_load_dwordx4 v[0:3], off, off offset:1472 ; 16-byte Folded Reload
	s_nop 0
	scratch_load_dwordx4 v[4:7], off, off offset:1488 ; 16-byte Folded Reload
	scratch_load_dwordx4 v[8:11], off, off offset:1504 ; 16-byte Folded Reload
	;; [unrolled: 1-line block ×3, first 2 shown]
	s_waitcnt vmcnt(0)
	scratch_store_dwordx4 off, v[12:15], off offset:432
	scratch_store_dwordx4 off, v[8:11], off offset:416
	;; [unrolled: 1-line block ×4, first 2 shown]
	scratch_load_dwordx4 v[0:3], off, off offset:1344 ; 16-byte Folded Reload
	s_nop 0
	scratch_load_dwordx4 v[4:7], off, off offset:1360 ; 16-byte Folded Reload
	scratch_load_dwordx4 v[8:11], off, off offset:1376 ; 16-byte Folded Reload
	;; [unrolled: 1-line block ×3, first 2 shown]
	s_waitcnt vmcnt(0)
	scratch_store_dwordx4 off, v[12:15], off offset:496
	scratch_store_dwordx4 off, v[8:11], off offset:480
	;; [unrolled: 1-line block ×20, first 2 shown]
	scratch_load_dwordx4 v[0:3], off, off offset:1216 ; 16-byte Folded Reload
	scratch_load_dwordx4 v[4:7], off, off offset:1232 ; 16-byte Folded Reload
	;; [unrolled: 1-line block ×4, first 2 shown]
	s_waitcnt vmcnt(0)
	scratch_store_dwordx4 off, v[12:15], off offset:816
	scratch_store_dwordx4 off, v[8:11], off offset:800
	scratch_store_dwordx4 off, v[4:7], off offset:784
	scratch_store_dwordx4 off, v[0:3], off offset:768
	scratch_load_dwordx4 v[0:3], off, off offset:1152 ; 16-byte Folded Reload
	s_nop 0
	scratch_load_dwordx4 v[4:7], off, off offset:1168 ; 16-byte Folded Reload
	scratch_load_dwordx4 v[8:11], off, off offset:1184 ; 16-byte Folded Reload
	scratch_load_dwordx4 v[12:15], off, off offset:1200 ; 16-byte Folded Reload
	s_waitcnt vmcnt(0)
	scratch_store_dwordx4 off, v[12:15], off offset:880
	scratch_store_dwordx4 off, v[8:11], off offset:864
	scratch_store_dwordx4 off, v[4:7], off offset:848
	scratch_store_dwordx4 off, v[0:3], off offset:832
	scratch_load_dwordx4 v[0:3], off, off offset:1088 ; 16-byte Folded Reload
	s_nop 0
	scratch_load_dwordx4 v[4:7], off, off offset:1104 ; 16-byte Folded Reload
	scratch_load_dwordx4 v[8:11], off, off offset:1120 ; 16-byte Folded Reload
	scratch_load_dwordx4 v[12:15], off, off offset:1136 ; 16-byte Folded Reload
	;; [unrolled: 10-line block ×3, first 2 shown]
	s_waitcnt vmcnt(0)
	scratch_store_dwordx4 off, v[12:15], off offset:1008
	scratch_store_dwordx4 off, v[8:11], off offset:992
	;; [unrolled: 1-line block ×4, first 2 shown]
	scratch_load_dwordx2 v[118:119], off, off offset:1956 ; 8-byte Folded Reload
	scratch_load_dword v122, off, off offset:1980 ; 4-byte Folded Reload
	scratch_load_dwordx2 v[54:55], off, off offset:1920 ; 8-byte Folded Reload
.LBB72_13:                              ;   in Loop: Header=BB72_7 Depth=1
	scratch_load_dword v121, off, off offset:1936 ; 4-byte Folded Reload
	s_nop 0
	scratch_load_dword v0, off, off offset:1952 ; 4-byte Folded Reload
	scratch_load_dword v0, off, off offset:1948 ; 4-byte Folded Reload
	scratch_load_dwordx2 v[0:1], off, off offset:1940 ; 8-byte Folded Reload
	scratch_load_dwordx2 v[0:1], off, off offset:1928 ; 8-byte Folded Reload
	s_waitcnt vmcnt(5)
	v_mov_b32_e32 v119, v55
	s_mov_b32 s20, 0
.LBB72_14:                              ;   Parent Loop BB72_7 Depth=1
                                        ; =>  This Inner Loop Header: Depth=2
	s_add_i32 s21, s20, 0
	scratch_load_dwordx4 v[0:3], off, s21 offset:48
	scratch_load_dwordx4 v[4:7], off, s21 offset:32
	scratch_load_dwordx4 v[8:11], off, s21
	scratch_load_dwordx4 v[12:15], off, s21 offset:16
	s_add_i32 s20, s20, 64
	s_cmpk_lg_i32 s20, 0x100
	s_waitcnt vmcnt(2)
	;;#ASMSTART
	v_add_f32 v4, v5, v4 row_shl:1 bound_ctrl:0 
	;;#ASMEND
	s_nop 0
	;;#ASMSTART
	v_add_f32 v4, v6, v4 row_shl:2 bound_ctrl:0 
	;;#ASMEND
	s_waitcnt vmcnt(1)
	;;#ASMSTART
	v_add_f32 v8, v9, v8 row_shl:1 bound_ctrl:0 
	;;#ASMEND
	;;#ASMSTART
	v_add_f32 v4, v7, v4 row_shl:3 bound_ctrl:0 
	;;#ASMEND
	s_nop 0
	;;#ASMSTART
	v_add_f32 v8, v10, v8 row_shl:2 bound_ctrl:0 
	;;#ASMEND
	;;#ASMSTART
	v_add_f32 v4, v0, v4 row_shl:8 bound_ctrl:0 
	;;#ASMEND
	s_nop 0
	;;#ASMSTART
	v_add_f32 v8, v11, v8 row_shl:3 bound_ctrl:0 
	;;#ASMEND
	;;#ASMSTART
	v_add_f32 v4, v1, v4 row_shl:9 bound_ctrl:0 
	;;#ASMEND
	s_waitcnt vmcnt(0)
	;;#ASMSTART
	v_add_f32 v8, v12, v8 row_shl:8 bound_ctrl:0 
	;;#ASMEND
	;;#ASMSTART
	v_add_f32 v4, v2, v4 row_shl:10 bound_ctrl:0 
	;;#ASMEND
	s_nop 0
	;;#ASMSTART
	v_add_f32 v8, v13, v8 row_shl:9 bound_ctrl:0 
	;;#ASMEND
	;;#ASMSTART
	v_add_f32 v4, v3, v4 row_shl:11 bound_ctrl:0 
	;;#ASMEND
	ds_bpermute_b32 v0, v122, v4 offset:208
	;;#ASMSTART
	v_add_f32 v8, v14, v8 row_shl:10 bound_ctrl:0 
	;;#ASMEND
	s_waitcnt lgkmcnt(0)
	v_add_f32_e32 v0, v4, v0
	;;#ASMSTART
	v_add_f32 v8, v15, v8 row_shl:11 bound_ctrl:0 
	;;#ASMEND
	ds_bpermute_b32 v1, v122, v8 offset:144
	ds_bpermute_b32 v0, v122, v0 offset:64
	s_waitcnt lgkmcnt(1)
	v_add_f32_e32 v1, v8, v1
	s_waitcnt lgkmcnt(0)
	v_add_f32_e32 v0, v1, v0
	scratch_store_dword off, v0, s21
	s_cbranch_scc1 .LBB72_14
; %bb.15:                               ;   in Loop: Header=BB72_7 Depth=1
	scratch_load_dwordx4 v[8:11], off, off offset:256
	scratch_load_dwordx4 v[4:7], off, off offset:288
	;; [unrolled: 1-line block ×16, first 2 shown]
	v_or_b32_e32 v114, 0xd0, v122
	scratch_load_dwordx4 v[64:67], off, off offset:560
	scratch_load_dwordx4 v[68:71], off, off offset:544
	;; [unrolled: 1-line block ×12, first 2 shown]
	v_or_b32_e32 v112, 0x90, v122
	v_or_b32_e32 v113, 64, v122
	s_waitcnt vmcnt(27)
	;;#ASMSTART
	v_add_f32 v8, v9, v8 row_shl:1 bound_ctrl:0 
	;;#ASMEND
	s_waitcnt vmcnt(26)
	;;#ASMSTART
	v_add_f32 v4, v5, v4 row_shl:1 bound_ctrl:0 
	;;#ASMEND
	;; [unrolled: 4-line block ×4, first 2 shown]
	;;#ASMSTART
	v_add_f32 v8, v10, v8 row_shl:2 bound_ctrl:0 
	;;#ASMEND
	s_waitcnt vmcnt(22)
	;;#ASMSTART
	v_add_f32 v56, v57, v56 row_shl:1 bound_ctrl:0 
	;;#ASMEND
	;;#ASMSTART
	v_add_f32 v16, v17, v16 row_shl:1 bound_ctrl:0 
	;;#ASMEND
	;; [unrolled: 3-line block ×6, first 2 shown]
	s_waitcnt vmcnt(20)
	;;#ASMSTART
	v_add_f32 v76, v77, v76 row_shl:1 bound_ctrl:0 
	;;#ASMEND
	;;#ASMSTART
	v_add_f32 v56, v58, v56 row_shl:2 bound_ctrl:0 
	;;#ASMEND
	;; [unrolled: 3-line block ×5, first 2 shown]
	s_waitcnt vmcnt(19)
	;;#ASMSTART
	v_add_f32 v8, v92, v8 row_shl:8 bound_ctrl:0 
	;;#ASMEND
	;;#ASMSTART
	v_add_f32 v76, v78, v76 row_shl:2 bound_ctrl:0 
	;;#ASMEND
	;; [unrolled: 3-line block ×3, first 2 shown]
	s_waitcnt vmcnt(18)
	;;#ASMSTART
	v_add_f32 v4, v88, v4 row_shl:8 bound_ctrl:0 
	;;#ASMEND
	s_waitcnt vmcnt(17)
	;;#ASMSTART
	v_add_f32 v32, v100, v32 row_shl:8 bound_ctrl:0 
	;;#ASMEND
	;; [unrolled: 4-line block ×3, first 2 shown]
	;;#ASMSTART
	v_add_f32 v8, v93, v8 row_shl:9 bound_ctrl:0 
	;;#ASMEND
	;;#ASMSTART
	v_add_f32 v76, v79, v76 row_shl:3 bound_ctrl:0 
	;;#ASMEND
	s_waitcnt vmcnt(14)
	;;#ASMSTART
	v_add_f32 v56, v104, v56 row_shl:8 bound_ctrl:0 
	;;#ASMEND
	;;#ASMSTART
	v_add_f32 v4, v89, v4 row_shl:9 bound_ctrl:0 
	;;#ASMEND
	;; [unrolled: 3-line block ×5, first 2 shown]
	s_waitcnt vmcnt(12)
	;;#ASMSTART
	v_add_f32 v76, v84, v76 row_shl:8 bound_ctrl:0 
	;;#ASMEND
	;;#ASMSTART
	v_add_f32 v56, v105, v56 row_shl:9 bound_ctrl:0 
	;;#ASMEND
	;; [unrolled: 3-line block ×6, first 2 shown]
	ds_bpermute_b32 v5, v112, v8
	;;#ASMSTART
	v_add_f32 v4, v91, v4 row_shl:11 bound_ctrl:0 
	;;#ASMEND
	ds_bpermute_b32 v6, v114, v4
	;;#ASMSTART
	v_add_f32 v36, v99, v36 row_shl:11 bound_ctrl:0 
	;;#ASMEND
	;; [unrolled: 4-line block ×3, first 2 shown]
	ds_bpermute_b32 v7, v112, v32
	s_waitcnt lgkmcnt(2)
	v_add_f32_e32 v4, v4, v6
	ds_bpermute_b32 v4, v113, v4
	s_waitcnt lgkmcnt(2)
	v_add_f32_e32 v6, v36, v9
	ds_bpermute_b32 v6, v113, v6
	;;#ASMSTART
	v_add_f32 v76, v85, v76 row_shl:9 bound_ctrl:0 
	;;#ASMEND
	v_add_f32_e32 v5, v8, v5
	;;#ASMSTART
	v_add_f32 v56, v106, v56 row_shl:10 bound_ctrl:0 
	;;#ASMEND
	s_waitcnt lgkmcnt(2)
	v_add_f32_e32 v7, v32, v7
	s_waitcnt lgkmcnt(1)
	v_add_f32_e32 v4, v5, v4
	;;#ASMSTART
	v_add_f32 v76, v86, v76 row_shl:10 bound_ctrl:0 
	;;#ASMEND
	;;#ASMSTART
	v_add_f32 v56, v107, v56 row_shl:11 bound_ctrl:0 
	;;#ASMEND
	ds_bpermute_b32 v10, v114, v56
	s_waitcnt lgkmcnt(1)
	v_add_f32_e32 v5, v7, v6
	scratch_store_dword off, v4, off offset:256
	scratch_store_dword off, v5, off offset:320
	;;#ASMSTART
	v_add_f32 v76, v87, v76 row_shl:11 bound_ctrl:0 
	;;#ASMEND
	ds_bpermute_b32 v4, v114, v76
	s_waitcnt lgkmcnt(1)
	v_add_f32_e32 v8, v56, v10
	;;#ASMSTART
	v_add_f32 v52, v53, v52 row_shl:1 bound_ctrl:0 
	;;#ASMEND
	;;#ASMSTART
	v_add_f32 v16, v18, v16 row_shl:2 bound_ctrl:0 
	;;#ASMEND
	ds_bpermute_b32 v18, v113, v8
	s_waitcnt lgkmcnt(1)
	v_add_f32_e32 v4, v76, v4
	ds_bpermute_b32 v53, v113, v4
	scratch_load_dwordx4 v[4:7], off, off offset:720
	scratch_load_dwordx4 v[8:11], off, off offset:704
	;; [unrolled: 1-line block ×4, first 2 shown]
	;;#ASMSTART
	v_add_f32 v16, v19, v16 row_shl:3 bound_ctrl:0 
	;;#ASMEND
	;;#ASMSTART
	v_add_f32 v52, v54, v52 row_shl:2 bound_ctrl:0 
	;;#ASMEND
	s_waitcnt vmcnt(16)
	;;#ASMSTART
	v_add_f32 v68, v69, v68 row_shl:1 bound_ctrl:0 
	;;#ASMEND
	s_waitcnt vmcnt(12)
	;;#ASMSTART
	v_add_f32 v44, v45, v44 row_shl:1 bound_ctrl:0 
	;;#ASMEND
	;;#ASMSTART
	v_add_f32 v12, v13, v12 row_shl:1 bound_ctrl:0 
	;;#ASMEND
	s_waitcnt vmcnt(10)
	;;#ASMSTART
	v_add_f32 v40, v41, v40 row_shl:1 bound_ctrl:0 
	;;#ASMEND
	;;#ASMSTART
	v_add_f32 v16, v108, v16 row_shl:8 bound_ctrl:0 
	;;#ASMEND
	;;#ASMSTART
	v_add_f32 v52, v55, v52 row_shl:3 bound_ctrl:0 
	;;#ASMEND
	;;#ASMSTART
	v_add_f32 v68, v70, v68 row_shl:2 bound_ctrl:0 
	;;#ASMEND
	;;#ASMSTART
	v_add_f32 v44, v46, v44 row_shl:2 bound_ctrl:0 
	;;#ASMEND
	;;#ASMSTART
	v_add_f32 v12, v14, v12 row_shl:2 bound_ctrl:0 
	;;#ASMEND
	s_nop 0
	;;#ASMSTART
	v_add_f32 v40, v42, v40 row_shl:2 bound_ctrl:0 
	;;#ASMEND
	;;#ASMSTART
	v_add_f32 v16, v109, v16 row_shl:9 bound_ctrl:0 
	;;#ASMEND
	;;#ASMSTART
	v_add_f32 v52, v80, v52 row_shl:8 bound_ctrl:0 
	;;#ASMEND
	;;#ASMSTART
	v_add_f32 v68, v71, v68 row_shl:3 bound_ctrl:0 
	;;#ASMEND
	;;#ASMSTART
	v_add_f32 v44, v47, v44 row_shl:3 bound_ctrl:0 
	;;#ASMEND
	;;#ASMSTART
	v_add_f32 v12, v15, v12 row_shl:3 bound_ctrl:0 
	;;#ASMEND
	s_nop 0
	;; [unrolled: 19-line block ×3, first 2 shown]
	;;#ASMSTART
	v_add_f32 v40, v48, v40 row_shl:8 bound_ctrl:0 
	;;#ASMEND
	;;#ASMSTART
	v_add_f32 v16, v111, v16 row_shl:11 bound_ctrl:0 
	;;#ASMEND
	ds_bpermute_b32 v17, v112, v16
	;;#ASMSTART
	v_add_f32 v52, v82, v52 row_shl:10 bound_ctrl:0 
	;;#ASMEND
	;;#ASMSTART
	v_add_f32 v68, v65, v68 row_shl:9 bound_ctrl:0 
	;;#ASMEND
	;; [unrolled: 3-line block ×4, first 2 shown]
	s_waitcnt lgkmcnt(0)
	v_add_f32_e32 v16, v16, v17
	;;#ASMSTART
	v_add_f32 v52, v83, v52 row_shl:11 bound_ctrl:0 
	;;#ASMEND
	ds_bpermute_b32 v19, v112, v52
	v_add_f32_e32 v16, v16, v18
	;;#ASMSTART
	v_add_f32 v68, v66, v68 row_shl:10 bound_ctrl:0 
	;;#ASMEND
	scratch_store_dword off, v16, off offset:384
	;;#ASMSTART
	v_add_f32 v68, v67, v68 row_shl:11 bound_ctrl:0 
	;;#ASMEND
	s_waitcnt lgkmcnt(0)
	v_add_f32_e32 v16, v52, v19
	ds_bpermute_b32 v13, v114, v68
	v_add_f32_e32 v16, v16, v53
	scratch_store_dword off, v16, off offset:448
	scratch_load_dwordx4 v[52:55], off, off offset:784
	s_nop 0
	scratch_load_dwordx4 v[14:17], off, off offset:768
	scratch_load_dwordx4 v[64:67], off, off offset:816
	;; [unrolled: 1-line block ×3, first 2 shown]
	;;#ASMSTART
	v_add_f32 v44, v62, v44 row_shl:10 bound_ctrl:0 
	;;#ASMEND
	;;#ASMSTART
	v_add_f32 v12, v74, v12 row_shl:10 bound_ctrl:0 
	;;#ASMEND
	s_waitcnt lgkmcnt(0)
	v_add_f32_e32 v13, v68, v13
	;;#ASMSTART
	v_add_f32 v44, v63, v44 row_shl:11 bound_ctrl:0 
	;;#ASMEND
	ds_bpermute_b32 v19, v114, v44
	;;#ASMSTART
	v_add_f32 v12, v75, v12 row_shl:11 bound_ctrl:0 
	;;#ASMEND
	;;#ASMSTART
	v_add_f32 v40, v49, v40 row_shl:9 bound_ctrl:0 
	;;#ASMEND
	scratch_load_dwordx4 v[46:49], off, off offset:848
	scratch_load_dwordx4 v[60:63], off, off offset:832
	;; [unrolled: 1-line block ×4, first 2 shown]
	ds_bpermute_b32 v18, v112, v12
	ds_bpermute_b32 v13, v113, v13
	;;#ASMSTART
	v_add_f32 v40, v50, v40 row_shl:10 bound_ctrl:0 
	;;#ASMEND
	s_waitcnt vmcnt(18)
	;;#ASMSTART
	v_add_f32 v24, v25, v24 row_shl:1 bound_ctrl:0 
	;;#ASMEND
	s_waitcnt lgkmcnt(2)
	v_add_f32_e32 v19, v44, v19
	;;#ASMSTART
	v_add_f32 v40, v51, v40 row_shl:11 bound_ctrl:0 
	;;#ASMEND
	ds_bpermute_b32 v41, v112, v40
	;;#ASMSTART
	v_add_f32 v24, v26, v24 row_shl:2 bound_ctrl:0 
	;;#ASMEND
	ds_bpermute_b32 v19, v113, v19
	;;#ASMSTART
	v_add_f32 v24, v27, v24 row_shl:3 bound_ctrl:0 
	;;#ASMEND
	s_waitcnt lgkmcnt(3)
	v_add_f32_e32 v12, v12, v18
	;;#ASMSTART
	v_add_f32 v24, v20, v24 row_shl:8 bound_ctrl:0 
	;;#ASMEND
	s_waitcnt lgkmcnt(2)
	v_add_f32_e32 v12, v12, v13
	;;#ASMSTART
	v_add_f32 v24, v21, v24 row_shl:9 bound_ctrl:0 
	;;#ASMEND
	scratch_store_dword off, v12, off offset:512
	;;#ASMSTART
	v_add_f32 v24, v22, v24 row_shl:10 bound_ctrl:0 
	;;#ASMEND
	s_waitcnt lgkmcnt(1)
	v_add_f32_e32 v12, v40, v41
	s_waitcnt vmcnt(17)
	;;#ASMSTART
	v_add_f32 v0, v1, v0 row_shl:1 bound_ctrl:0 
	;;#ASMEND
	;;#ASMSTART
	v_add_f32 v24, v23, v24 row_shl:11 bound_ctrl:0 
	;;#ASMEND
	ds_bpermute_b32 v1, v114, v24
	s_waitcnt lgkmcnt(1)
	v_add_f32_e32 v12, v12, v19
	scratch_store_dword off, v12, off offset:576
	;;#ASMSTART
	v_add_f32 v0, v2, v0 row_shl:2 bound_ctrl:0 
	;;#ASMEND
	scratch_load_dwordx4 v[40:43], off, off offset:912
	scratch_load_dwordx4 v[18:21], off, off offset:896
	;; [unrolled: 1-line block ×4, first 2 shown]
	;;#ASMSTART
	v_add_f32 v0, v3, v0 row_shl:3 bound_ctrl:0 
	;;#ASMEND
	s_waitcnt vmcnt(18)
	;;#ASMSTART
	v_add_f32 v8, v9, v8 row_shl:1 bound_ctrl:0 
	;;#ASMEND
	;;#ASMSTART
	v_add_f32 v0, v28, v0 row_shl:8 bound_ctrl:0 
	;;#ASMEND
	s_nop 0
	;;#ASMSTART
	v_add_f32 v8, v10, v8 row_shl:2 bound_ctrl:0 
	;;#ASMEND
	s_waitcnt lgkmcnt(0)
	v_add_f32_e32 v1, v24, v1
	;;#ASMSTART
	v_add_f32 v0, v29, v0 row_shl:9 bound_ctrl:0 
	;;#ASMEND
	;;#ASMSTART
	v_add_f32 v8, v11, v8 row_shl:3 bound_ctrl:0 
	;;#ASMEND
	scratch_load_dwordx4 v[10:13], off, off offset:976
	scratch_load_dwordx4 v[22:25], off, off offset:960
	;; [unrolled: 1-line block ×4, first 2 shown]
	s_waitcnt vmcnt(20)
	;;#ASMSTART
	v_add_f32 v32, v33, v32 row_shl:1 bound_ctrl:0 
	;;#ASMEND
	;;#ASMSTART
	v_add_f32 v0, v30, v0 row_shl:10 bound_ctrl:0 
	;;#ASMEND
	;; [unrolled: 3-line block ×3, first 2 shown]
	ds_bpermute_b32 v1, v113, v1
	;;#ASMSTART
	v_add_f32 v32, v34, v32 row_shl:2 bound_ctrl:0 
	;;#ASMEND
	;;#ASMSTART
	v_add_f32 v0, v31, v0 row_shl:11 bound_ctrl:0 
	;;#ASMEND
	ds_bpermute_b32 v2, v112, v0
	;;#ASMSTART
	v_add_f32 v32, v35, v32 row_shl:3 bound_ctrl:0 
	;;#ASMEND
	;;#ASMSTART
	v_add_f32 v8, v5, v8 row_shl:9 bound_ctrl:0 
	;;#ASMEND
	s_waitcnt vmcnt(14)
	;;#ASMSTART
	v_add_f32 v56, v57, v56 row_shl:1 bound_ctrl:0 
	;;#ASMEND
	;;#ASMSTART
	v_add_f32 v32, v36, v32 row_shl:8 bound_ctrl:0 
	;;#ASMEND
	;; [unrolled: 3-line block ×3, first 2 shown]
	s_nop 0
	;;#ASMSTART
	v_add_f32 v56, v58, v56 row_shl:2 bound_ctrl:0 
	;;#ASMEND
	s_waitcnt lgkmcnt(0)
	v_add_f32_e32 v0, v0, v2
	;;#ASMSTART
	v_add_f32 v32, v37, v32 row_shl:9 bound_ctrl:0 
	;;#ASMEND
	;;#ASMSTART
	v_add_f32 v8, v7, v8 row_shl:11 bound_ctrl:0 
	;;#ASMEND
	ds_bpermute_b32 v4, v112, v8
	;;#ASMSTART
	v_add_f32 v32, v38, v32 row_shl:10 bound_ctrl:0 
	;;#ASMEND
	;;#ASMSTART
	v_add_f32 v56, v59, v56 row_shl:3 bound_ctrl:0 
	;;#ASMEND
	s_waitcnt vmcnt(10)
	;;#ASMSTART
	v_add_f32 v68, v69, v68 row_shl:1 bound_ctrl:0 
	;;#ASMEND
	v_add_f32_e32 v0, v0, v1
	;;#ASMSTART
	v_add_f32 v32, v39, v32 row_shl:11 bound_ctrl:0 
	;;#ASMEND
	ds_bpermute_b32 v3, v114, v32
	;;#ASMSTART
	v_add_f32 v56, v64, v56 row_shl:8 bound_ctrl:0 
	;;#ASMEND
	;;#ASMSTART
	v_add_f32 v68, v70, v68 row_shl:2 bound_ctrl:0 
	;;#ASMEND
	scratch_store_dword off, v0, off offset:640
	s_waitcnt lgkmcnt(1)
	v_add_f32_e32 v0, v8, v4
	s_waitcnt lgkmcnt(0)
	v_add_f32_e32 v3, v32, v3
	ds_bpermute_b32 v3, v113, v3
	;;#ASMSTART
	v_add_f32 v56, v65, v56 row_shl:9 bound_ctrl:0 
	;;#ASMEND
	;;#ASMSTART
	v_add_f32 v68, v71, v68 row_shl:3 bound_ctrl:0 
	;;#ASMEND
	;; [unrolled: 3-line block ×4, first 2 shown]
	s_waitcnt lgkmcnt(0)
	v_add_f32_e32 v0, v0, v3
	;;#ASMSTART
	v_add_f32 v56, v66, v56 row_shl:10 bound_ctrl:0 
	;;#ASMEND
	;;#ASMSTART
	v_add_f32 v68, v72, v68 row_shl:8 bound_ctrl:0 
	;;#ASMEND
	scratch_store_dword off, v0, off offset:704
	;;#ASMSTART
	v_add_f32 v14, v16, v14 row_shl:2 bound_ctrl:0 
	;;#ASMEND
	;;#ASMSTART
	v_add_f32 v56, v67, v56 row_shl:11 bound_ctrl:0 
	;;#ASMEND
	ds_bpermute_b32 v0, v114, v56
	;;#ASMSTART
	v_add_f32 v68, v73, v68 row_shl:9 bound_ctrl:0 
	;;#ASMEND
	;;#ASMSTART
	v_add_f32 v14, v17, v14 row_shl:3 bound_ctrl:0 
	;;#ASMEND
	;; [unrolled: 3-line block ×3, first 2 shown]
	s_waitcnt vmcnt(6)
	;;#ASMSTART
	v_add_f32 v76, v77, v76 row_shl:1 bound_ctrl:0 
	;;#ASMEND
	s_waitcnt lgkmcnt(0)
	v_add_f32_e32 v0, v56, v0
	;;#ASMSTART
	v_add_f32 v68, v74, v68 row_shl:10 bound_ctrl:0 
	;;#ASMEND
	;;#ASMSTART
	v_add_f32 v14, v52, v14 row_shl:8 bound_ctrl:0 
	;;#ASMEND
	;; [unrolled: 3-line block ×3, first 2 shown]
	ds_bpermute_b32 v0, v113, v0
	;;#ASMSTART
	v_add_f32 v68, v75, v68 row_shl:11 bound_ctrl:0 
	;;#ASMEND
	ds_bpermute_b32 v2, v114, v68
	;;#ASMSTART
	v_add_f32 v14, v53, v14 row_shl:9 bound_ctrl:0 
	;;#ASMEND
	;;#ASMSTART
	v_add_f32 v60, v46, v60 row_shl:8 bound_ctrl:0 
	;;#ASMEND
	;; [unrolled: 3-line block ×3, first 2 shown]
	s_waitcnt vmcnt(2)
	;;#ASMSTART
	v_add_f32 v26, v27, v26 row_shl:1 bound_ctrl:0 
	;;#ASMEND
	s_waitcnt lgkmcnt(0)
	v_add_f32_e32 v2, v68, v2
	;;#ASMSTART
	v_add_f32 v14, v54, v14 row_shl:10 bound_ctrl:0 
	;;#ASMEND
	;;#ASMSTART
	v_add_f32 v60, v47, v60 row_shl:9 bound_ctrl:0 
	;;#ASMEND
	ds_bpermute_b32 v2, v113, v2
	;;#ASMSTART
	v_add_f32 v14, v55, v14 row_shl:11 bound_ctrl:0 
	;;#ASMEND
	ds_bpermute_b32 v1, v112, v14
	;;#ASMSTART
	v_add_f32 v60, v48, v60 row_shl:10 bound_ctrl:0 
	;;#ASMEND
	;;#ASMSTART
	v_add_f32 v76, v79, v76 row_shl:3 bound_ctrl:0 
	;;#ASMEND
	;; [unrolled: 3-line block ×4, first 2 shown]
	s_waitcnt lgkmcnt(0)
	v_add_f32_e32 v1, v14, v1
	;;#ASMSTART
	v_add_f32 v60, v49, v60 row_shl:11 bound_ctrl:0 
	;;#ASMEND
	ds_bpermute_b32 v3, v112, v60
	v_add_f32_e32 v0, v1, v0
	;;#ASMSTART
	v_add_f32 v76, v80, v76 row_shl:8 bound_ctrl:0 
	;;#ASMEND
	scratch_store_dword off, v0, off offset:768
	;;#ASMSTART
	v_add_f32 v76, v81, v76 row_shl:9 bound_ctrl:0 
	;;#ASMEND
	s_waitcnt lgkmcnt(0)
	v_add_f32_e32 v0, v60, v3
	;;#ASMSTART
	v_add_f32 v26, v29, v26 row_shl:3 bound_ctrl:0 
	;;#ASMEND
	v_add_f32_e32 v0, v0, v2
	;;#ASMSTART
	v_add_f32 v76, v82, v76 row_shl:10 bound_ctrl:0 
	;;#ASMEND
	;;#ASMSTART
	v_add_f32 v26, v84, v26 row_shl:8 bound_ctrl:0 
	;;#ASMEND
	scratch_store_dword off, v0, off offset:832
	;;#ASMSTART
	v_add_f32 v18, v20, v18 row_shl:2 bound_ctrl:0 
	;;#ASMEND
	;;#ASMSTART
	v_add_f32 v76, v83, v76 row_shl:11 bound_ctrl:0 
	;;#ASMEND
	ds_bpermute_b32 v0, v114, v76
	;;#ASMSTART
	v_add_f32 v26, v85, v26 row_shl:9 bound_ctrl:0 
	;;#ASMEND
	;;#ASMSTART
	v_add_f32 v18, v21, v18 row_shl:3 bound_ctrl:0 
	;;#ASMEND
	;; [unrolled: 3-line block ×3, first 2 shown]
	s_waitcnt lgkmcnt(0)
	v_add_f32_e32 v0, v76, v0
	;;#ASMSTART
	v_add_f32 v26, v86, v26 row_shl:10 bound_ctrl:0 
	;;#ASMEND
	;;#ASMSTART
	v_add_f32 v18, v40, v18 row_shl:8 bound_ctrl:0 
	;;#ASMEND
	;; [unrolled: 3-line block ×3, first 2 shown]
	ds_bpermute_b32 v0, v113, v0
	;;#ASMSTART
	v_add_f32 v26, v87, v26 row_shl:11 bound_ctrl:0 
	;;#ASMEND
	ds_bpermute_b32 v2, v114, v26
	;;#ASMSTART
	v_add_f32 v18, v41, v18 row_shl:9 bound_ctrl:0 
	;;#ASMEND
	;;#ASMSTART
	v_add_f32 v22, v25, v22 row_shl:3 bound_ctrl:0 
	;;#ASMEND
	s_waitcnt lgkmcnt(0)
	v_add_f32_e32 v2, v26, v2
	;;#ASMSTART
	v_add_f32 v18, v42, v18 row_shl:10 bound_ctrl:0 
	;;#ASMEND
	;;#ASMSTART
	v_add_f32 v22, v10, v22 row_shl:8 bound_ctrl:0 
	;;#ASMEND
	ds_bpermute_b32 v2, v113, v2
	;;#ASMSTART
	v_add_f32 v18, v43, v18 row_shl:11 bound_ctrl:0 
	;;#ASMEND
	ds_bpermute_b32 v1, v112, v18
	;;#ASMSTART
	v_add_f32 v22, v11, v22 row_shl:9 bound_ctrl:0 
	;;#ASMEND
	s_waitcnt lgkmcnt(0)
	v_add_f32_e32 v1, v18, v1
	;;#ASMSTART
	v_add_f32 v22, v12, v22 row_shl:10 bound_ctrl:0 
	;;#ASMEND
	v_add_f32_e32 v0, v1, v0
	;;#ASMSTART
	v_add_f32 v22, v13, v22 row_shl:11 bound_ctrl:0 
	;;#ASMEND
	ds_bpermute_b32 v3, v112, v22
	scratch_store_dword off, v0, off offset:896
	s_waitcnt lgkmcnt(0)
	v_add_f32_e32 v0, v22, v3
	v_add_f32_e32 v0, v0, v2
	scratch_store_dword off, v0, off offset:960
	s_mov_b64 s[20:21], exec
	s_and_b64 s[24:25], s[20:21], s[0:1]
	v_mov_b32_e32 v55, v119
	s_mov_b64 exec, s[24:25]
	s_cbranch_execz .LBB72_6
; %bb.16:                               ;   in Loop: Header=BB72_7 Depth=1
	scratch_load_dwordx4 v[0:3], off, off
	scratch_load_dwordx4 v[2:5], off, off offset:64
	scratch_load_dwordx4 v[4:7], off, off offset:128
	;; [unrolled: 1-line block ×15, first 2 shown]
	v_add_u32_e32 v54, s6, v118
	v_lshl_add_u64 v[48:49], v[54:55], 1, s[12:13]
	s_waitcnt vmcnt(0)
	v_add_u32_e32 v32, 1, v54
	v_add_u32_e32 v34, 2, v54
	;; [unrolled: 1-line block ×4, first 2 shown]
	v_mov_b32_e32 v119, v55
	v_lshl_add_u64 v[50:51], v[54:55], 1, s[12:13]
	v_add_u32_e32 v38, 2, v54
	v_add_u32_e32 v40, 3, v54
	;; [unrolled: 1-line block ×3, first 2 shown]
	v_mov_b32_e32 v33, v55
	v_mov_b32_e32 v35, v55
	;; [unrolled: 1-line block ×7, first 2 shown]
	v_lshl_add_u64 v[46:47], v[118:119], 1, s[12:13]
	v_add_u32_e32 v42, 1, v54
	v_add_u32_e32 v44, 2, v54
	v_lshl_add_u64 v[32:33], v[32:33], 1, s[12:13]
	v_lshl_add_u64 v[34:35], v[34:35], 1, s[12:13]
	;; [unrolled: 1-line block ×7, first 2 shown]
	v_add_u32_e32 v54, 3, v54
	v_mul_f32_e32 v0, s7, v0
	v_mul_f32_e32 v2, s7, v2
	;; [unrolled: 1-line block ×5, first 2 shown]
	v_fma_mixlo_f16 v0, s22, v0, 0
	v_fma_mixlo_f16 v1, s22, v1, 0
	v_mul_f32_e32 v5, s7, v10
	v_mul_f32_e32 v8, s7, v16
	;; [unrolled: 1-line block ×10, first 2 shown]
	v_fma_mixlo_f16 v8, s22, v8, 0
	v_fma_mixhi_f16 v1, s22, v3, 0
	v_fma_mixhi_f16 v0, s22, v2, 0
	v_fma_mixlo_f16 v4, s22, v4, 0
	v_fma_mixlo_f16 v5, s22, v5, 0
	;; [unrolled: 1-line block ×9, first 2 shown]
	v_fma_mixhi_f16 v8, s22, v9, 0
	global_store_dwordx2 v[46:47], v[0:1], off
	global_store_short v[48:49], v4, off
	global_store_short v[32:33], v5, off
	;; [unrolled: 1-line block ×4, first 2 shown]
	global_store_dword v[50:51], v8, off
	global_store_short v[38:39], v10, off
	global_store_short v[40:41], v11, off
	;; [unrolled: 1-line block ×4, first 2 shown]
	v_lshl_add_u64 v[0:1], v[44:45], 1, s[12:13]
	global_store_short v[0:1], v14, off
	v_mul_f32_e32 v0, s7, v30
	v_fma_mixlo_f16 v2, s22, v0, 0
	v_lshl_add_u64 v[0:1], v[54:55], 1, s[12:13]
	global_store_short v[0:1], v2, off
	s_branch .LBB72_6
.LBB72_17:
	s_endpgm
	.section	.rodata,"a",@progbits
	.p2align	6, 0x0
	.amdhsa_kernel _ZN5aiter17wvSplitKQ_hf_sml_I6__halfhLi64ELi4ELi16ELi16ELi1ELi4EEEviiiPKT0_S4_PT_PKfS8_ii
		.amdhsa_group_segment_fixed_size 65536
		.amdhsa_private_segment_fixed_size 2048
		.amdhsa_kernarg_size 64
		.amdhsa_user_sgpr_count 2
		.amdhsa_user_sgpr_dispatch_ptr 0
		.amdhsa_user_sgpr_queue_ptr 0
		.amdhsa_user_sgpr_kernarg_segment_ptr 1
		.amdhsa_user_sgpr_dispatch_id 0
		.amdhsa_user_sgpr_kernarg_preload_length 0
		.amdhsa_user_sgpr_kernarg_preload_offset 0
		.amdhsa_user_sgpr_private_segment_size 0
		.amdhsa_uses_dynamic_stack 0
		.amdhsa_enable_private_segment 1
		.amdhsa_system_sgpr_workgroup_id_x 1
		.amdhsa_system_sgpr_workgroup_id_y 0
		.amdhsa_system_sgpr_workgroup_id_z 0
		.amdhsa_system_sgpr_workgroup_info 0
		.amdhsa_system_vgpr_workitem_id 1
		.amdhsa_next_free_vgpr 128
		.amdhsa_next_free_sgpr 28
		.amdhsa_accum_offset 128
		.amdhsa_reserve_vcc 1
		.amdhsa_float_round_mode_32 0
		.amdhsa_float_round_mode_16_64 0
		.amdhsa_float_denorm_mode_32 3
		.amdhsa_float_denorm_mode_16_64 3
		.amdhsa_dx10_clamp 1
		.amdhsa_ieee_mode 1
		.amdhsa_fp16_overflow 0
		.amdhsa_tg_split 0
		.amdhsa_exception_fp_ieee_invalid_op 0
		.amdhsa_exception_fp_denorm_src 0
		.amdhsa_exception_fp_ieee_div_zero 0
		.amdhsa_exception_fp_ieee_overflow 0
		.amdhsa_exception_fp_ieee_underflow 0
		.amdhsa_exception_fp_ieee_inexact 0
		.amdhsa_exception_int_div_zero 0
	.end_amdhsa_kernel
	.section	.text._ZN5aiter17wvSplitKQ_hf_sml_I6__halfhLi64ELi4ELi16ELi16ELi1ELi4EEEviiiPKT0_S4_PT_PKfS8_ii,"axG",@progbits,_ZN5aiter17wvSplitKQ_hf_sml_I6__halfhLi64ELi4ELi16ELi16ELi1ELi4EEEviiiPKT0_S4_PT_PKfS8_ii,comdat
.Lfunc_end72:
	.size	_ZN5aiter17wvSplitKQ_hf_sml_I6__halfhLi64ELi4ELi16ELi16ELi1ELi4EEEviiiPKT0_S4_PT_PKfS8_ii, .Lfunc_end72-_ZN5aiter17wvSplitKQ_hf_sml_I6__halfhLi64ELi4ELi16ELi16ELi1ELi4EEEviiiPKT0_S4_PT_PKfS8_ii
                                        ; -- End function
	.section	.AMDGPU.csdata,"",@progbits
; Kernel info:
; codeLenInByte = 7860
; NumSgprs: 34
; NumVgprs: 128
; NumAgprs: 0
; TotalNumVgprs: 128
; ScratchSize: 2048
; MemoryBound: 0
; FloatMode: 240
; IeeeMode: 1
; LDSByteSize: 65536 bytes/workgroup (compile time only)
; SGPRBlocks: 4
; VGPRBlocks: 15
; NumSGPRsForWavesPerEU: 34
; NumVGPRsForWavesPerEU: 128
; AccumOffset: 128
; Occupancy: 4
; WaveLimiterHint : 1
; COMPUTE_PGM_RSRC2:SCRATCH_EN: 1
; COMPUTE_PGM_RSRC2:USER_SGPR: 2
; COMPUTE_PGM_RSRC2:TRAP_HANDLER: 0
; COMPUTE_PGM_RSRC2:TGID_X_EN: 1
; COMPUTE_PGM_RSRC2:TGID_Y_EN: 0
; COMPUTE_PGM_RSRC2:TGID_Z_EN: 0
; COMPUTE_PGM_RSRC2:TIDIG_COMP_CNT: 1
; COMPUTE_PGM_RSRC3_GFX90A:ACCUM_OFFSET: 31
; COMPUTE_PGM_RSRC3_GFX90A:TG_SPLIT: 0
	.section	.text._ZN5aiter13wvSplitKQ_hf_I6__halfhLi64ELi7ELi16ELi16ELi1ELi4EEEviiiPKT0_S4_PT_PKfS8_ii,"axG",@progbits,_ZN5aiter13wvSplitKQ_hf_I6__halfhLi64ELi7ELi16ELi16ELi1ELi4EEEviiiPKT0_S4_PT_PKfS8_ii,comdat
	.protected	_ZN5aiter13wvSplitKQ_hf_I6__halfhLi64ELi7ELi16ELi16ELi1ELi4EEEviiiPKT0_S4_PT_PKfS8_ii ; -- Begin function _ZN5aiter13wvSplitKQ_hf_I6__halfhLi64ELi7ELi16ELi16ELi1ELi4EEEviiiPKT0_S4_PT_PKfS8_ii
	.globl	_ZN5aiter13wvSplitKQ_hf_I6__halfhLi64ELi7ELi16ELi16ELi1ELi4EEEviiiPKT0_S4_PT_PKfS8_ii
	.p2align	8
	.type	_ZN5aiter13wvSplitKQ_hf_I6__halfhLi64ELi7ELi16ELi16ELi1ELi4EEEviiiPKT0_S4_PT_PKfS8_ii,@function
_ZN5aiter13wvSplitKQ_hf_I6__halfhLi64ELi7ELi16ELi16ELi1ELi4EEEviiiPKT0_S4_PT_PKfS8_ii: ; @_ZN5aiter13wvSplitKQ_hf_I6__halfhLi64ELi7ELi16ELi16ELi1ELi4EEEviiiPKT0_S4_PT_PKfS8_ii
; %bb.0:
	s_load_dwordx4 s[20:23], s[0:1], 0x0
	s_load_dwordx2 s[24:25], s[0:1], 0x18
	s_load_dwordx4 s[4:7], s[0:1], 0x28
	v_bfe_u32 v1, v0, 10, 10
	v_and_b32_e32 v0, 0x3ff, v0
	v_lshlrev_b32_e32 v4, 4, v0
	v_mov_b32_e32 v2, v4
	s_waitcnt lgkmcnt(0)
	s_lshl_b32 s3, s20, 2
	scratch_store_dwordx2 off, v[2:3], off offset:3752 ; 8-byte Folded Spill
	v_lshl_add_u32 v2, v1, 10, v4
	s_min_i32 s3, s3, 0x10000
	v_cmp_gt_u32_e32 vcc, s3, v2
	s_and_saveexec_b64 s[8:9], vcc
	s_cbranch_execz .LBB73_3
; %bb.1:
	s_mov_b64 s[10:11], 0
.LBB73_2:                               ; =>This Inner Loop Header: Depth=1
	global_load_dwordx4 v[4:7], v2, s[24:25]
	s_waitcnt vmcnt(0)
	ds_write_b128 v2, v[4:7]
	v_add_u32_e32 v2, 0x4000, v2
	v_cmp_le_u32_e32 vcc, s3, v2
	s_or_b64 s[10:11], vcc, s[10:11]
	s_andn2_b64 exec, exec, s[10:11]
	s_cbranch_execnz .LBB73_2
.LBB73_3:
	s_or_b64 exec, exec, s[8:9]
	s_load_dwordx2 s[8:9], s[0:1], 0x38
	s_waitcnt lgkmcnt(0)
	s_barrier
	v_cmp_gt_u32_e32 vcc, s8, v1
	s_and_saveexec_b64 s[10:11], vcc
	s_cbranch_execz .LBB73_67
; %bb.4:
	s_mul_i32 s2, s2, s8
	v_add_u32_e32 v1, s2, v1
	v_mul_lo_u32 v10, v1, 7
	v_cmp_gt_u32_e32 vcc, s22, v10
	s_and_b64 exec, exec, vcc
	s_cbranch_execz .LBB73_67
; %bb.5:
	s_load_dword s23, s[4:5], 0x0
	s_load_dword s33, s[6:7], 0x0
	s_load_dwordx2 s[26:27], s[0:1], 0x10
	s_load_dwordx2 s[28:29], s[0:1], 0x20
	scratch_load_dwordx2 v[2:3], off, off offset:3752 ; 8-byte Folded Reload
	s_mov_b32 s4, 0
	v_cmp_eq_u32_e64 s[0:1], 0, v0
	v_mul_lo_u32 v0, s21, v1
	s_mov_b32 s5, s4
	s_mov_b32 s6, s4
	;; [unrolled: 1-line block ×3, first 2 shown]
	s_mul_i32 s38, s8, s9
	s_cmp_lg_u32 s20, 0
	s_mul_i32 s38, s38, 7
	s_cselect_b64 s[30:31], -1, 0
	s_lshl_b32 s39, s22, 1
	s_mul_i32 s40, s22, 3
	s_mul_i32 s41, s38, s21
	s_ashr_i32 s35, s21, 31
	s_mov_b32 s34, s21
	s_mov_b64 s[36:37], 0
	v_mov_b32_e32 v19, 0
	s_mov_b32 s21, 0xffff
	s_waitcnt vmcnt(0)
	v_mad_u64_u32 v[0:1], s[2:3], v0, 7, v[2:3]
	scratch_store_dwordx2 off, v[0:1], off offset:3816 ; 8-byte Folded Spill
	v_mov_b64_e32 v[0:1], s[4:5]
	v_mov_b64_e32 v[2:3], s[6:7]
	scratch_store_dwordx4 off, v[0:3], off offset:3828 ; 16-byte Folded Spill
	s_nop 1
	v_mbcnt_lo_u32_b32 v0, -1, 0
	v_mbcnt_hi_u32_b32 v0, -1, v0
	v_lshlrev_b32_e32 v0, 2, v0
	v_and_b32_e32 v0, 0x100, v0
	scratch_store_dword off, v0, off offset:3824 ; 4-byte Folded Spill
	s_branch .LBB73_7
.LBB73_6:                               ;   in Loop: Header=BB73_7 Depth=1
	s_or_b64 exec, exec, s[6:7]
	scratch_load_dwordx2 v[0:1], off, off offset:3816 ; 8-byte Folded Reload
	s_waitcnt vmcnt(1)
	v_add_u32_e32 v10, s38, v10
	v_cmp_le_u32_e32 vcc, s22, v10
	s_or_b64 s[36:37], vcc, s[36:37]
	s_waitcnt vmcnt(0)
	v_add_u32_e32 v0, s41, v0
	scratch_store_dwordx2 off, v[0:1], off offset:3816 ; 8-byte Folded Spill
	s_andn2_b64 exec, exec, s[36:37]
	s_cbranch_execz .LBB73_67
.LBB73_7:                               ; =>This Loop Header: Depth=1
                                        ;     Child Loop BB73_11 Depth 2
                                        ;       Child Loop BB73_13 Depth 3
                                        ;     Child Loop BB73_31 Depth 2
                                        ;     Child Loop BB73_33 Depth 2
                                        ;     Child Loop BB73_35 Depth 2
                                        ;     Child Loop BB73_37 Depth 2
	scratch_load_dwordx4 v[0:3], off, off offset:3828 ; 16-byte Folded Reload
	s_and_b64 vcc, exec, s[30:31]
	scratch_store_dwordx2 off, v[10:11], off offset:3808 ; 8-byte Folded Spill
	s_waitcnt vmcnt(1)
	scratch_store_dwordx4 off, v[0:3], off offset:48
	scratch_store_dwordx4 off, v[0:3], off offset:32
	;; [unrolled: 1-line block ×3, first 2 shown]
	scratch_store_dwordx4 off, v[0:3], off
	scratch_store_dwordx4 off, v[0:3], off offset:496
	scratch_store_dwordx4 off, v[0:3], off offset:480
	;; [unrolled: 1-line block ×108, first 2 shown]
	s_cbranch_vccz .LBB73_30
; %bb.8:                                ;   in Loop: Header=BB73_7 Depth=1
	scratch_load_dwordx2 v[16:17], off, off offset:3816 ; 8-byte Folded Reload
	s_mov_b32 s5, s4
	s_mov_b32 s6, s4
	;; [unrolled: 1-line block ×15, first 2 shown]
	v_mov_b64_e32 v[0:1], s[4:5]
	s_mov_b32 s42, 0
	v_mov_b64_e32 v[2:3], s[6:7]
	v_mov_b64_e32 v[4:5], s[8:9]
	;; [unrolled: 1-line block ×7, first 2 shown]
	scratch_store_dwordx4 off, v[0:3], off offset:3368 ; 16-byte Folded Spill
	s_nop 0
	scratch_store_dwordx4 off, v[4:7], off offset:3384 ; 16-byte Folded Spill
	scratch_store_dwordx4 off, v[8:11], off offset:3400 ; 16-byte Folded Spill
	scratch_store_dwordx4 off, v[12:15], off offset:3416 ; 16-byte Folded Spill
	scratch_store_dwordx4 off, v[0:3], off offset:2104 ; 16-byte Folded Spill
	s_nop 0
	scratch_store_dwordx4 off, v[4:7], off offset:2120 ; 16-byte Folded Spill
	scratch_store_dwordx4 off, v[8:11], off offset:2136 ; 16-byte Folded Spill
	scratch_store_dwordx4 off, v[12:15], off offset:2152 ; 16-byte Folded Spill
	;; [unrolled: 5-line block ×28, first 2 shown]
	s_waitcnt vmcnt(62)
	v_mov_b32_e32 v18, v16
	s_branch .LBB73_11
.LBB73_9:                               ;   in Loop: Header=BB73_11 Depth=2
	s_or_b64 exec, exec, s[6:7]
	scratch_load_dwordx4 v[124:127], off, off offset:1792
	scratch_load_dwordx4 v[20:23], off, off offset:1808
	scratch_load_dwordx4 v[24:27], off, off offset:2808 ; 16-byte Folded Reload
	scratch_load_dwordx4 v[28:31], off, off offset:2824 ; 16-byte Folded Reload
	scratch_load_dwordx4 v[32:35], off, off offset:2840 ; 16-byte Folded Reload
	scratch_load_dwordx4 v[36:39], off, off offset:2856 ; 16-byte Folded Reload
	scratch_load_dwordx4 v[72:75], off, off offset:1824
	scratch_load_dwordx4 v[108:111], off, off offset:2744 ; 16-byte Folded Reload
	scratch_load_dwordx4 v[112:115], off, off offset:2760 ; 16-byte Folded Reload
	scratch_load_dwordx4 v[116:119], off, off offset:2776 ; 16-byte Folded Reload
	scratch_load_dwordx4 v[120:123], off, off offset:2792 ; 16-byte Folded Reload
	;; [unrolled: 5-line block ×4, first 2 shown]
	s_waitcnt vmcnt(0) lgkmcnt(0)
	v_mfma_f32_32x32x16_fp8_fp8 v[52:67], v[40:41], v[44:45], v[52:67]
	v_mov_b64_e32 v[16:17], v[44:45]
	v_mov_b64_e32 v[18:19], v[46:47]
	scratch_load_dwordx4 v[44:47], off, off offset:1872
	s_waitcnt vmcnt(0)
	scratch_store_dwordx4 off, v[44:47], off offset:3776 ; 16-byte Folded Spill
	scratch_load_dwordx4 v[76:79], off, off offset:2552 ; 16-byte Folded Reload
	scratch_load_dwordx4 v[80:83], off, off offset:2568 ; 16-byte Folded Reload
	;; [unrolled: 1-line block ×8, first 2 shown]
	v_mfma_f32_32x32x16_fp8_fp8 v[24:39], v[40:41], v[124:125], v[24:39]
	v_mfma_f32_32x32x16_fp8_fp8 v[24:39], v[42:43], v[126:127], v[24:39]
	;; [unrolled: 1-line block ×6, first 2 shown]
	s_waitcnt vmcnt(0)
	v_mfma_f32_32x32x16_fp8_fp8 v[92:107], v[40:41], v[44:45], v[92:107]
	s_nop 7
	s_nop 2
	scratch_store_dwordx4 off, v[92:95], off offset:1968 ; 16-byte Folded Spill
	s_nop 0
	scratch_store_dwordx4 off, v[96:99], off offset:1984 ; 16-byte Folded Spill
	scratch_store_dwordx4 off, v[100:103], off offset:2000 ; 16-byte Folded Spill
	;; [unrolled: 1-line block ×3, first 2 shown]
	v_mfma_f32_32x32x16_fp8_fp8 v[76:91], v[40:41], v[48:49], v[76:91]
	scratch_load_dwordx4 v[44:47], off, off offset:1888
	scratch_load_dwordx4 v[92:95], off, off offset:2488 ; 16-byte Folded Reload
	scratch_load_dwordx4 v[96:99], off, off offset:2504 ; 16-byte Folded Reload
	;; [unrolled: 1-line block ×4, first 2 shown]
	s_nop 0
	scratch_store_dwordx4 off, v[24:27], off offset:2808 ; 16-byte Folded Spill
	s_nop 0
	scratch_store_dwordx4 off, v[28:31], off offset:2824 ; 16-byte Folded Spill
	scratch_store_dwordx4 off, v[32:35], off offset:2840 ; 16-byte Folded Spill
	;; [unrolled: 1-line block ×4, first 2 shown]
	s_nop 0
	scratch_store_dwordx4 off, v[112:115], off offset:2760 ; 16-byte Folded Spill
	scratch_store_dwordx4 off, v[116:119], off offset:2776 ; 16-byte Folded Spill
	;; [unrolled: 1-line block ×3, first 2 shown]
	v_mov_b64_e32 v[32:33], v[72:73]
	v_mov_b64_e32 v[34:35], v[74:75]
	;; [unrolled: 1-line block ×4, first 2 shown]
	v_mfma_f32_32x32x16_fp8_fp8 v[0:15], v[42:43], v[34:35], v[0:15]
	s_nop 7
	s_nop 2
	scratch_store_dwordx4 off, v[0:3], off offset:2680 ; 16-byte Folded Spill
	s_nop 0
	scratch_store_dwordx4 off, v[4:7], off offset:2696 ; 16-byte Folded Spill
	scratch_store_dwordx4 off, v[8:11], off offset:2712 ; 16-byte Folded Spill
	;; [unrolled: 1-line block ×3, first 2 shown]
	v_mfma_f32_32x32x16_fp8_fp8 v[76:91], v[42:43], v[50:51], v[76:91]
	scratch_store_dwordx4 off, v[52:55], off offset:2616 ; 16-byte Folded Spill
	s_nop 0
	scratch_store_dwordx4 off, v[56:59], off offset:2632 ; 16-byte Folded Spill
	scratch_store_dwordx4 off, v[60:63], off offset:2648 ; 16-byte Folded Spill
	;; [unrolled: 1-line block ×3, first 2 shown]
	s_nop 5
	scratch_store_dwordx4 off, v[76:79], off offset:2552 ; 16-byte Folded Spill
	s_nop 0
	scratch_store_dwordx4 off, v[80:83], off offset:2568 ; 16-byte Folded Spill
	scratch_store_dwordx4 off, v[84:87], off offset:2584 ; 16-byte Folded Spill
	;; [unrolled: 1-line block ×3, first 2 shown]
	scratch_load_dwordx4 v[76:79], off, off offset:3776 ; 16-byte Folded Reload
	s_nop 0
	scratch_load_dwordx4 v[0:3], off, off offset:1968 ; 16-byte Folded Reload
	scratch_load_dwordx4 v[4:7], off, off offset:1984 ; 16-byte Folded Reload
	;; [unrolled: 1-line block ×4, first 2 shown]
	v_mov_b64_e32 v[66:67], v[18:19]
	v_mov_b64_e32 v[64:65], v[16:17]
	;; [unrolled: 1-line block ×4, first 2 shown]
	s_waitcnt vmcnt(25)
	v_mfma_f32_32x32x16_fp8_fp8 v[92:107], v[40:41], v[44:45], v[92:107]
	s_waitcnt vmcnt(0)
	v_mfma_f32_32x32x16_fp8_fp8 v[0:15], v[42:43], v[78:79], v[0:15]
	s_nop 7
	s_nop 2
	scratch_store_dwordx4 off, v[0:3], off offset:1968 ; 16-byte Folded Spill
	s_nop 0
	scratch_store_dwordx4 off, v[4:7], off offset:1984 ; 16-byte Folded Spill
	scratch_store_dwordx4 off, v[8:11], off offset:2000 ; 16-byte Folded Spill
	scratch_store_dwordx4 off, v[12:15], off offset:2016 ; 16-byte Folded Spill
	v_mfma_f32_32x32x16_fp8_fp8 v[92:107], v[42:43], v[46:47], v[92:107]
	s_nop 7
	s_nop 2
	scratch_store_dwordx4 off, v[92:95], off offset:2488 ; 16-byte Folded Spill
	s_nop 0
	scratch_store_dwordx4 off, v[96:99], off offset:2504 ; 16-byte Folded Spill
	scratch_store_dwordx4 off, v[100:103], off offset:2520 ; 16-byte Folded Spill
	;; [unrolled: 1-line block ×3, first 2 shown]
	v_mov_b64_e32 v[40:41], v[124:125]
	scratch_load_dwordx4 v[96:99], off, off offset:3256 ; 16-byte Folded Reload
	scratch_load_dwordx4 v[100:103], off, off offset:3272 ; 16-byte Folded Reload
	;; [unrolled: 1-line block ×4, first 2 shown]
	v_mov_b64_e32 v[42:43], v[126:127]
	scratch_load_dwordx4 v[80:83], off, off offset:3192 ; 16-byte Folded Reload
	scratch_load_dwordx4 v[84:87], off, off offset:3208 ; 16-byte Folded Reload
	;; [unrolled: 1-line block ×12, first 2 shown]
	s_waitcnt vmcnt(0)
	v_mfma_f32_32x32x16_fp8_fp8 v[0:15], v[68:69], v[64:65], v[0:15]
	s_nop 7
	s_nop 2
	v_mov_b64_e32 v[30:31], v[14:15]
	v_mov_b64_e32 v[28:29], v[12:13]
	;; [unrolled: 1-line block ×8, first 2 shown]
	scratch_load_dwordx4 v[0:3], off, off offset:3000 ; 16-byte Folded Reload
	scratch_load_dwordx4 v[4:7], off, off offset:3016 ; 16-byte Folded Reload
	scratch_load_dwordx4 v[8:11], off, off offset:3032 ; 16-byte Folded Reload
	scratch_load_dwordx4 v[12:15], off, off offset:3048 ; 16-byte Folded Reload
	v_mfma_f32_32x32x16_fp8_fp8 v[96:111], v[68:69], v[40:41], v[96:111]
	v_mfma_f32_32x32x16_fp8_fp8 v[80:95], v[68:69], v[36:37], v[80:95]
	;; [unrolled: 1-line block ×5, first 2 shown]
	s_waitcnt vmcnt(0)
	v_mfma_f32_32x32x16_fp8_fp8 v[0:15], v[68:69], v[48:49], v[0:15]
	s_nop 7
	s_nop 2
	v_mov_b64_e32 v[62:63], v[14:15]
	v_mov_b64_e32 v[60:61], v[12:13]
	;; [unrolled: 1-line block ×8, first 2 shown]
	scratch_load_dwordx4 v[0:3], off, off offset:2032 ; 16-byte Folded Reload
	scratch_load_dwordx4 v[4:7], off, off offset:2048 ; 16-byte Folded Reload
	;; [unrolled: 1-line block ×4, first 2 shown]
	v_mfma_f32_32x32x16_fp8_fp8 v[112:127], v[70:71], v[34:35], v[112:127]
	v_mfma_f32_32x32x16_fp8_fp8 v[16:31], v[70:71], v[66:67], v[16:31]
	s_waitcnt vmcnt(0)
	v_mfma_f32_32x32x16_fp8_fp8 v[0:15], v[68:69], v[76:77], v[0:15]
	s_nop 7
	s_nop 2
	scratch_store_dwordx4 off, v[0:3], off offset:2032 ; 16-byte Folded Spill
	s_nop 0
	scratch_store_dwordx4 off, v[4:7], off offset:2048 ; 16-byte Folded Spill
	scratch_store_dwordx4 off, v[8:11], off offset:2064 ; 16-byte Folded Spill
	;; [unrolled: 1-line block ×3, first 2 shown]
	scratch_load_dwordx4 v[0:3], off, off offset:2936 ; 16-byte Folded Reload
	s_nop 0
	scratch_load_dwordx4 v[4:7], off, off offset:2952 ; 16-byte Folded Reload
	scratch_load_dwordx4 v[8:11], off, off offset:2968 ; 16-byte Folded Reload
	;; [unrolled: 1-line block ×3, first 2 shown]
	s_nop 0
	scratch_store_dwordx4 off, v[96:99], off offset:3256 ; 16-byte Folded Spill
	s_nop 0
	scratch_store_dwordx4 off, v[100:103], off offset:3272 ; 16-byte Folded Spill
	scratch_store_dwordx4 off, v[104:107], off offset:3288 ; 16-byte Folded Spill
	scratch_store_dwordx4 off, v[108:111], off offset:3304 ; 16-byte Folded Spill
	scratch_store_dwordx4 off, v[80:83], off offset:3192 ; 16-byte Folded Spill
	s_nop 0
	scratch_store_dwordx4 off, v[84:87], off offset:3208 ; 16-byte Folded Spill
	scratch_store_dwordx4 off, v[88:91], off offset:3224 ; 16-byte Folded Spill
	scratch_store_dwordx4 off, v[92:95], off offset:3240 ; 16-byte Folded Spill
	;; [unrolled: 5-line block ×3, first 2 shown]
	v_mov_b64_e32 v[118:119], v[74:75]
	scratch_store_dwordx4 off, v[16:19], off offset:3064 ; 16-byte Folded Spill
	s_nop 0
	scratch_store_dwordx4 off, v[20:23], off offset:3080 ; 16-byte Folded Spill
	scratch_store_dwordx4 off, v[24:27], off offset:3096 ; 16-byte Folded Spill
	;; [unrolled: 1-line block ×3, first 2 shown]
	v_mfma_f32_32x32x16_fp8_fp8 v[48:63], v[70:71], v[118:119], v[48:63]
	s_nop 7
	s_nop 2
	scratch_store_dwordx4 off, v[48:51], off offset:3000 ; 16-byte Folded Spill
	s_nop 0
	scratch_store_dwordx4 off, v[52:55], off offset:3016 ; 16-byte Folded Spill
	scratch_store_dwordx4 off, v[56:59], off offset:3032 ; 16-byte Folded Spill
	scratch_store_dwordx4 off, v[60:63], off offset:3048 ; 16-byte Folded Spill
	scratch_load_dwordx4 v[16:19], off, off offset:2032 ; 16-byte Folded Reload
	scratch_load_dwordx4 v[20:23], off, off offset:2048 ; 16-byte Folded Reload
	scratch_load_dwordx4 v[24:27], off, off offset:2064 ; 16-byte Folded Reload
	scratch_load_dwordx4 v[28:31], off, off offset:2080 ; 16-byte Folded Reload
	v_mov_b64_e32 v[114:115], v[78:79]
	v_mov_b64_e32 v[122:123], v[66:67]
	;; [unrolled: 1-line block ×5, first 2 shown]
	s_waitcnt vmcnt(24)
	v_mfma_f32_32x32x16_fp8_fp8 v[0:15], v[68:69], v[44:45], v[0:15]
	s_waitcnt vmcnt(0)
	v_mfma_f32_32x32x16_fp8_fp8 v[16:31], v[70:71], v[114:115], v[16:31]
	s_nop 7
	s_nop 2
	scratch_store_dwordx4 off, v[16:19], off offset:2032 ; 16-byte Folded Spill
	s_nop 0
	scratch_store_dwordx4 off, v[20:23], off offset:2048 ; 16-byte Folded Spill
	scratch_store_dwordx4 off, v[24:27], off offset:2064 ; 16-byte Folded Spill
	;; [unrolled: 1-line block ×3, first 2 shown]
	v_mfma_f32_32x32x16_fp8_fp8 v[0:15], v[70:71], v[46:47], v[0:15]
	s_nop 7
	s_nop 2
	scratch_store_dwordx4 off, v[0:3], off offset:2936 ; 16-byte Folded Spill
	s_nop 0
	scratch_store_dwordx4 off, v[4:7], off offset:2952 ; 16-byte Folded Spill
	scratch_store_dwordx4 off, v[8:11], off offset:2968 ; 16-byte Folded Spill
	;; [unrolled: 1-line block ×3, first 2 shown]
	scratch_load_dwordx4 v[48:51], off, off offset:2872 ; 16-byte Folded Reload
	scratch_load_dwordx4 v[52:55], off, off offset:2888 ; 16-byte Folded Reload
	;; [unrolled: 1-line block ×5, first 2 shown]
	v_mov_b64_e32 v[14:15], v[40:41]
	v_mov_b64_e32 v[16:17], v[42:43]
	scratch_store_dwordx4 off, v[14:17], off offset:3760 ; 16-byte Folded Spill
	scratch_load_dwordx4 v[64:67], off, off offset:2424 ; 16-byte Folded Reload
	scratch_load_dwordx4 v[68:71], off, off offset:2440 ; 16-byte Folded Reload
	;; [unrolled: 1-line block ×4, first 2 shown]
	s_waitcnt vmcnt(5)
	v_mfma_f32_32x32x16_fp8_fp8 v[48:63], v[124:125], v[14:15], v[48:63]
	s_nop 7
	s_nop 2
	v_mov_b64_e32 v[0:1], v[48:49]
	v_mov_b64_e32 v[2:3], v[50:51]
	;; [unrolled: 1-line block ×8, first 2 shown]
	scratch_load_dwordx4 v[48:51], off, off offset:2360 ; 16-byte Folded Reload
	scratch_load_dwordx4 v[52:55], off, off offset:2376 ; 16-byte Folded Reload
	;; [unrolled: 1-line block ×4, first 2 shown]
	s_waitcnt vmcnt(4)
	v_mfma_f32_32x32x16_fp8_fp8 v[64:79], v[124:125], v[36:37], v[64:79]
	scratch_store_dwordx4 off, v[32:35], off offset:3352 ; 16-byte Folded Spill
	scratch_load_dwordx4 v[80:83], off, off offset:2296 ; 16-byte Folded Reload
	scratch_load_dwordx4 v[84:87], off, off offset:2312 ; 16-byte Folded Reload
	;; [unrolled: 1-line block ×4, first 2 shown]
	v_mfma_f32_32x32x16_fp8_fp8 v[0:15], v[126:127], v[16:17], v[0:15]
	s_waitcnt vmcnt(5)
	v_mfma_f32_32x32x16_fp8_fp8 v[48:63], v[124:125], v[32:33], v[48:63]
	scratch_load_dwordx4 v[18:21], off, off offset:2232 ; 16-byte Folded Reload
	scratch_load_dwordx4 v[22:25], off, off offset:2248 ; 16-byte Folded Reload
	;; [unrolled: 1-line block ×4, first 2 shown]
	s_waitcnt vmcnt(4)
	v_mfma_f32_32x32x16_fp8_fp8 v[80:95], v[124:125], v[120:121], v[80:95]
	s_waitcnt vmcnt(0)
	v_mfma_f32_32x32x16_fp8_fp8 v[18:33], v[124:125], v[116:117], v[18:33]
	s_nop 7
	s_nop 2
	v_mov_b64_e32 v[110:111], v[32:33]
	v_mov_b64_e32 v[108:109], v[30:31]
	;; [unrolled: 1-line block ×8, first 2 shown]
	scratch_load_dwordx4 v[18:21], off, off offset:1904 ; 16-byte Folded Reload
	scratch_load_dwordx4 v[22:25], off, off offset:1920 ; 16-byte Folded Reload
	;; [unrolled: 1-line block ×4, first 2 shown]
	v_mfma_f32_32x32x16_fp8_fp8 v[64:79], v[126:127], v[38:39], v[64:79]
	s_waitcnt vmcnt(0)
	v_mfma_f32_32x32x16_fp8_fp8 v[18:33], v[124:125], v[112:113], v[18:33]
	s_nop 7
	s_nop 2
	scratch_store_dwordx4 off, v[18:21], off offset:1904 ; 16-byte Folded Spill
	s_nop 0
	scratch_store_dwordx4 off, v[22:25], off offset:1920 ; 16-byte Folded Spill
	scratch_store_dwordx4 off, v[26:29], off offset:1936 ; 16-byte Folded Spill
	;; [unrolled: 1-line block ×3, first 2 shown]
	v_mfma_f32_32x32x16_fp8_fp8 v[48:63], v[126:127], v[34:35], v[48:63]
	scratch_load_dwordx4 v[18:21], off, off offset:2168 ; 16-byte Folded Reload
	scratch_load_dwordx4 v[22:25], off, off offset:2184 ; 16-byte Folded Reload
	;; [unrolled: 1-line block ×4, first 2 shown]
	s_nop 0
	scratch_store_dwordx4 off, v[0:3], off offset:2872 ; 16-byte Folded Spill
	s_nop 0
	scratch_store_dwordx4 off, v[4:7], off offset:2888 ; 16-byte Folded Spill
	scratch_store_dwordx4 off, v[8:11], off offset:2904 ; 16-byte Folded Spill
	scratch_store_dwordx4 off, v[12:15], off offset:2920 ; 16-byte Folded Spill
	scratch_store_dwordx4 off, v[64:67], off offset:2424 ; 16-byte Folded Spill
	s_nop 0
	scratch_store_dwordx4 off, v[68:71], off offset:2440 ; 16-byte Folded Spill
	scratch_store_dwordx4 off, v[72:75], off offset:2456 ; 16-byte Folded Spill
	scratch_store_dwordx4 off, v[76:79], off offset:2472 ; 16-byte Folded Spill
	;; [unrolled: 5-line block ×3, first 2 shown]
	scratch_store_dwordx4 off, v[120:123], off offset:3792 ; 16-byte Folded Spill
	v_mfma_f32_32x32x16_fp8_fp8 v[80:95], v[126:127], v[122:123], v[80:95]
	s_nop 7
	s_nop 2
	scratch_store_dwordx4 off, v[80:83], off offset:2296 ; 16-byte Folded Spill
	s_nop 0
	scratch_store_dwordx4 off, v[84:87], off offset:2312 ; 16-byte Folded Spill
	scratch_store_dwordx4 off, v[88:91], off offset:2328 ; 16-byte Folded Spill
	;; [unrolled: 1-line block ×3, first 2 shown]
	v_mfma_f32_32x32x16_fp8_fp8 v[96:111], v[126:127], v[118:119], v[96:111]
	s_nop 7
	s_nop 2
	scratch_store_dwordx4 off, v[96:99], off offset:2232 ; 16-byte Folded Spill
	s_nop 0
	scratch_store_dwordx4 off, v[100:103], off offset:2248 ; 16-byte Folded Spill
	scratch_store_dwordx4 off, v[104:107], off offset:2264 ; 16-byte Folded Spill
	scratch_store_dwordx4 off, v[108:111], off offset:2280 ; 16-byte Folded Spill
	scratch_load_dwordx4 v[0:3], off, off offset:2808 ; 16-byte Folded Reload
	scratch_load_dwordx4 v[4:7], off, off offset:2824 ; 16-byte Folded Reload
	;; [unrolled: 1-line block ×4, first 2 shown]
	s_waitcnt vmcnt(0)
	scratch_store_dwordx4 off, v[12:15], off offset:48
	scratch_store_dwordx4 off, v[8:11], off offset:32
	;; [unrolled: 1-line block ×3, first 2 shown]
	scratch_load_dwordx4 v[48:51], off, off offset:1904 ; 16-byte Folded Reload
	scratch_load_dwordx4 v[52:55], off, off offset:1920 ; 16-byte Folded Reload
	;; [unrolled: 1-line block ×4, first 2 shown]
	s_waitcnt vmcnt(0)
	v_mfma_f32_32x32x16_fp8_fp8 v[48:63], v[126:127], v[114:115], v[48:63]
	s_nop 7
	s_nop 2
	scratch_store_dwordx4 off, v[48:51], off offset:1904 ; 16-byte Folded Spill
	s_nop 0
	scratch_store_dwordx4 off, v[52:55], off offset:1920 ; 16-byte Folded Spill
	scratch_store_dwordx4 off, v[56:59], off offset:1936 ; 16-byte Folded Spill
	scratch_store_dwordx4 off, v[60:63], off offset:1952 ; 16-byte Folded Spill
	scratch_store_dwordx4 off, v[0:3], off
	scratch_load_dwordx4 v[0:3], off, off offset:2744 ; 16-byte Folded Reload
	s_nop 0
	scratch_load_dwordx4 v[4:7], off, off offset:2760 ; 16-byte Folded Reload
	scratch_load_dwordx4 v[8:11], off, off offset:2776 ; 16-byte Folded Reload
	;; [unrolled: 1-line block ×3, first 2 shown]
	s_waitcnt vmcnt(0)
	scratch_store_dwordx4 off, v[12:15], off offset:112
	scratch_store_dwordx4 off, v[8:11], off offset:96
	;; [unrolled: 1-line block ×4, first 2 shown]
	scratch_load_dwordx4 v[0:3], off, off offset:2680 ; 16-byte Folded Reload
	s_nop 0
	scratch_load_dwordx4 v[4:7], off, off offset:2696 ; 16-byte Folded Reload
	scratch_load_dwordx4 v[8:11], off, off offset:2712 ; 16-byte Folded Reload
	;; [unrolled: 1-line block ×3, first 2 shown]
	v_mfma_f32_32x32x16_fp8_fp8 v[18:33], v[124:125], v[44:45], v[18:33]
	s_waitcnt vmcnt(0)
	scratch_store_dwordx4 off, v[12:15], off offset:176
	scratch_store_dwordx4 off, v[8:11], off offset:160
	v_mfma_f32_32x32x16_fp8_fp8 v[18:33], v[126:127], v[46:47], v[18:33]
	s_nop 7
	s_nop 2
	scratch_store_dwordx4 off, v[18:21], off offset:2168 ; 16-byte Folded Spill
	s_nop 0
	scratch_store_dwordx4 off, v[22:25], off offset:2184 ; 16-byte Folded Spill
	scratch_store_dwordx4 off, v[26:29], off offset:2200 ; 16-byte Folded Spill
	;; [unrolled: 1-line block ×3, first 2 shown]
	scratch_store_dwordx4 off, v[4:7], off offset:144
	scratch_store_dwordx4 off, v[0:3], off offset:128
	scratch_load_dwordx4 v[0:3], off, off offset:2616 ; 16-byte Folded Reload
	s_nop 0
	scratch_load_dwordx4 v[4:7], off, off offset:2632 ; 16-byte Folded Reload
	scratch_load_dwordx4 v[8:11], off, off offset:2648 ; 16-byte Folded Reload
	;; [unrolled: 1-line block ×3, first 2 shown]
	s_waitcnt vmcnt(0)
	scratch_store_dwordx4 off, v[12:15], off offset:240
	scratch_store_dwordx4 off, v[8:11], off offset:224
	scratch_store_dwordx4 off, v[4:7], off offset:208
	scratch_store_dwordx4 off, v[0:3], off offset:192
	scratch_load_dwordx4 v[0:3], off, off offset:2552 ; 16-byte Folded Reload
	s_nop 0
	scratch_load_dwordx4 v[4:7], off, off offset:2568 ; 16-byte Folded Reload
	scratch_load_dwordx4 v[8:11], off, off offset:2584 ; 16-byte Folded Reload
	;; [unrolled: 1-line block ×3, first 2 shown]
	v_mov_b64_e32 v[78:79], v[38:39]
	v_mov_b64_e32 v[74:75], v[46:47]
	;; [unrolled: 1-line block ×4, first 2 shown]
	s_waitcnt vmcnt(0)
	scratch_store_dwordx4 off, v[12:15], off offset:304
	scratch_load_dwordx4 v[32:35], off, off offset:3688 ; 16-byte Folded Reload
	scratch_load_dwordx4 v[36:39], off, off offset:3704 ; 16-byte Folded Reload
	;; [unrolled: 1-line block ×6, first 2 shown]
	s_nop 0
	scratch_store_dwordx4 off, v[8:11], off offset:288
	scratch_store_dwordx4 off, v[4:7], off offset:272
	;; [unrolled: 1-line block ×3, first 2 shown]
	scratch_load_dwordx4 v[0:3], off, off offset:1968 ; 16-byte Folded Reload
	s_nop 0
	scratch_load_dwordx4 v[4:7], off, off offset:1984 ; 16-byte Folded Reload
	scratch_load_dwordx4 v[8:11], off, off offset:2000 ; 16-byte Folded Reload
	;; [unrolled: 1-line block ×3, first 2 shown]
	s_waitcnt vmcnt(0)
	scratch_store_dwordx4 off, v[12:15], off offset:368
	scratch_store_dwordx4 off, v[8:11], off offset:352
	;; [unrolled: 1-line block ×4, first 2 shown]
	scratch_load_dwordx4 v[16:19], off, off offset:3560 ; 16-byte Folded Reload
	scratch_load_dwordx4 v[20:23], off, off offset:3576 ; 16-byte Folded Reload
	;; [unrolled: 1-line block ×8, first 2 shown]
	s_waitcnt vmcnt(0)
	scratch_store_dwordx4 off, v[108:111], off offset:432
	scratch_store_dwordx4 off, v[104:107], off offset:416
	;; [unrolled: 1-line block ×4, first 2 shown]
	scratch_load_dwordx4 v[48:51], off, off offset:3256 ; 16-byte Folded Reload
	scratch_load_dwordx4 v[52:55], off, off offset:3272 ; 16-byte Folded Reload
	;; [unrolled: 1-line block ×4, first 2 shown]
	s_waitcnt vmcnt(0)
	scratch_store_dwordx4 off, v[60:63], off offset:496
	scratch_store_dwordx4 off, v[56:59], off offset:480
	;; [unrolled: 1-line block ×3, first 2 shown]
	scratch_load_dwordx4 v[96:99], off, off offset:3496 ; 16-byte Folded Reload
	scratch_load_dwordx4 v[100:103], off, off offset:3512 ; 16-byte Folded Reload
	;; [unrolled: 1-line block ×5, first 2 shown]
	s_waitcnt vmcnt(0)
	v_mfma_f32_32x32x16_fp8_fp8 v[96:111], v[64:65], v[0:1], v[96:111]
	scratch_store_dwordx4 off, v[48:51], off offset:448
	scratch_load_dwordx4 v[0:3], off, off offset:3192 ; 16-byte Folded Reload
	scratch_load_dwordx4 v[4:7], off, off offset:3208 ; 16-byte Folded Reload
	;; [unrolled: 1-line block ×4, first 2 shown]
	s_waitcnt vmcnt(0)
	scratch_store_dwordx4 off, v[12:15], off offset:560
	scratch_store_dwordx4 off, v[8:11], off offset:544
	;; [unrolled: 1-line block ×4, first 2 shown]
	scratch_load_dwordx4 v[48:51], off, off offset:3128 ; 16-byte Folded Reload
	scratch_load_dwordx4 v[52:55], off, off offset:3144 ; 16-byte Folded Reload
	;; [unrolled: 1-line block ×4, first 2 shown]
	s_waitcnt vmcnt(0)
	scratch_store_dwordx4 off, v[60:63], off offset:624
	scratch_store_dwordx4 off, v[56:59], off offset:608
	scratch_load_dwordx4 v[80:83], off, off offset:3432 ; 16-byte Folded Reload
	scratch_load_dwordx4 v[84:87], off, off offset:3448 ; 16-byte Folded Reload
	;; [unrolled: 1-line block ×4, first 2 shown]
	s_nop 0
	scratch_store_dwordx4 off, v[52:55], off offset:592
	scratch_store_dwordx4 off, v[48:51], off offset:576
	scratch_load_dwordx4 v[48:51], off, off offset:3064 ; 16-byte Folded Reload
	s_nop 0
	scratch_load_dwordx4 v[52:55], off, off offset:3080 ; 16-byte Folded Reload
	scratch_load_dwordx4 v[56:59], off, off offset:3096 ; 16-byte Folded Reload
	;; [unrolled: 1-line block ×3, first 2 shown]
	s_waitcnt vmcnt(0)
	scratch_store_dwordx4 off, v[60:63], off offset:688
	scratch_store_dwordx4 off, v[56:59], off offset:672
	;; [unrolled: 1-line block ×4, first 2 shown]
	scratch_load_dwordx4 v[48:51], off, off offset:3000 ; 16-byte Folded Reload
	s_nop 0
	scratch_load_dwordx4 v[52:55], off, off offset:3016 ; 16-byte Folded Reload
	scratch_load_dwordx4 v[56:59], off, off offset:3032 ; 16-byte Folded Reload
	;; [unrolled: 1-line block ×3, first 2 shown]
	v_mfma_f32_32x32x16_fp8_fp8 v[32:47], v[64:65], v[68:69], v[32:47]
	v_mov_b64_e32 v[68:69], v[114:115]
	s_waitcnt vmcnt(0)
	scratch_store_dwordx4 off, v[60:63], off offset:752
	scratch_load_dwordx4 v[0:3], off, off offset:2104 ; 16-byte Folded Reload
	scratch_load_dwordx4 v[4:7], off, off offset:2120 ; 16-byte Folded Reload
	;; [unrolled: 1-line block ×4, first 2 shown]
	s_waitcnt vmcnt(0)
	v_mfma_f32_32x32x16_fp8_fp8 v[0:15], v[64:65], v[116:117], v[0:15]
	s_nop 7
	s_nop 2
	scratch_store_dwordx4 off, v[0:3], off offset:2104 ; 16-byte Folded Spill
	s_nop 0
	scratch_store_dwordx4 off, v[4:7], off offset:2120 ; 16-byte Folded Spill
	scratch_store_dwordx4 off, v[8:11], off offset:2136 ; 16-byte Folded Spill
	;; [unrolled: 1-line block ×3, first 2 shown]
	scratch_store_dwordx4 off, v[56:59], off offset:736
	scratch_store_dwordx4 off, v[52:55], off offset:720
	;; [unrolled: 1-line block ×3, first 2 shown]
	scratch_load_dwordx4 v[0:3], off, off offset:2032 ; 16-byte Folded Reload
	s_nop 0
	scratch_load_dwordx4 v[4:7], off, off offset:2048 ; 16-byte Folded Reload
	scratch_load_dwordx4 v[8:11], off, off offset:2064 ; 16-byte Folded Reload
	scratch_load_dwordx4 v[12:15], off, off offset:2080 ; 16-byte Folded Reload
	s_waitcnt vmcnt(0)
	scratch_store_dwordx4 off, v[12:15], off offset:816
	scratch_store_dwordx4 off, v[8:11], off offset:800
	;; [unrolled: 1-line block ×4, first 2 shown]
	scratch_load_dwordx4 v[48:51], off, off offset:3368 ; 16-byte Folded Reload
	scratch_load_dwordx4 v[52:55], off, off offset:3384 ; 16-byte Folded Reload
	scratch_load_dwordx4 v[56:59], off, off offset:3400 ; 16-byte Folded Reload
	scratch_load_dwordx4 v[60:63], off, off offset:3416 ; 16-byte Folded Reload
	s_nop 0
	scratch_load_dwordx4 v[0:3], off, off offset:2936 ; 16-byte Folded Reload
	scratch_load_dwordx4 v[4:7], off, off offset:2952 ; 16-byte Folded Reload
	;; [unrolled: 1-line block ×4, first 2 shown]
	s_waitcnt vmcnt(0)
	scratch_store_dwordx4 off, v[12:15], off offset:880
	scratch_store_dwordx4 off, v[8:11], off offset:864
	;; [unrolled: 1-line block ×4, first 2 shown]
	scratch_load_dwordx4 v[0:3], off, off offset:2872 ; 16-byte Folded Reload
	s_nop 0
	scratch_load_dwordx4 v[4:7], off, off offset:2888 ; 16-byte Folded Reload
	scratch_load_dwordx4 v[8:11], off, off offset:2904 ; 16-byte Folded Reload
	;; [unrolled: 1-line block ×3, first 2 shown]
	s_waitcnt vmcnt(0)
	scratch_store_dwordx4 off, v[12:15], off offset:944
	scratch_store_dwordx4 off, v[8:11], off offset:928
	;; [unrolled: 1-line block ×3, first 2 shown]
	v_mfma_f32_32x32x16_fp8_fp8 v[16:31], v[64:65], v[76:77], v[16:31]
	v_mov_b64_e32 v[76:77], v[118:119]
	v_mfma_f32_32x32x16_fp8_fp8 v[80:95], v[64:65], v[120:121], v[80:95]
	v_mfma_f32_32x32x16_fp8_fp8 v[48:63], v[64:65], v[112:113], v[48:63]
	scratch_load_dwordx4 v[112:115], off, off offset:3624 ; 16-byte Folded Reload
	scratch_load_dwordx4 v[116:119], off, off offset:3640 ; 16-byte Folded Reload
	scratch_load_dwordx4 v[120:123], off, off offset:3656 ; 16-byte Folded Reload
	scratch_load_dwordx4 v[124:127], off, off offset:3672 ; 16-byte Folded Reload
	s_nop 0
	scratch_store_dwordx4 off, v[0:3], off offset:896
	scratch_load_dwordx4 v[0:3], off, off offset:2424 ; 16-byte Folded Reload
	s_nop 0
	scratch_load_dwordx4 v[4:7], off, off offset:2440 ; 16-byte Folded Reload
	scratch_load_dwordx4 v[8:11], off, off offset:2456 ; 16-byte Folded Reload
	scratch_load_dwordx4 v[12:15], off, off offset:2472 ; 16-byte Folded Reload
	s_waitcnt vmcnt(0)
	scratch_store_dwordx4 off, v[12:15], off offset:1008
	scratch_store_dwordx4 off, v[8:11], off offset:992
	scratch_store_dwordx4 off, v[4:7], off offset:976
	scratch_store_dwordx4 off, v[0:3], off offset:960
	scratch_load_dwordx4 v[0:3], off, off offset:2360 ; 16-byte Folded Reload
	s_nop 0
	scratch_load_dwordx4 v[4:7], off, off offset:2376 ; 16-byte Folded Reload
	scratch_load_dwordx4 v[8:11], off, off offset:2392 ; 16-byte Folded Reload
	scratch_load_dwordx4 v[12:15], off, off offset:2408 ; 16-byte Folded Reload
	s_waitcnt vmcnt(0)
	scratch_store_dwordx4 off, v[12:15], off offset:1072
	scratch_store_dwordx4 off, v[8:11], off offset:1056
	scratch_store_dwordx4 off, v[4:7], off offset:1040
	;; [unrolled: 10-line block ×3, first 2 shown]
	scratch_store_dwordx4 off, v[0:3], off offset:1088
	scratch_load_dwordx4 v[0:3], off, off offset:2232 ; 16-byte Folded Reload
	s_nop 0
	scratch_load_dwordx4 v[4:7], off, off offset:2248 ; 16-byte Folded Reload
	scratch_load_dwordx4 v[8:11], off, off offset:2264 ; 16-byte Folded Reload
	;; [unrolled: 1-line block ×3, first 2 shown]
	v_mfma_f32_32x32x16_fp8_fp8 v[32:47], v[66:67], v[70:71], v[32:47]
	s_waitcnt vmcnt(0)
	scratch_store_dwordx4 off, v[12:15], off offset:1200
	scratch_store_dwordx4 off, v[8:11], off offset:1184
	;; [unrolled: 1-line block ×4, first 2 shown]
	scratch_load_dwordx4 v[0:3], off, off offset:1904 ; 16-byte Folded Reload
	s_nop 0
	scratch_load_dwordx4 v[4:7], off, off offset:1920 ; 16-byte Folded Reload
	scratch_load_dwordx4 v[8:11], off, off offset:1936 ; 16-byte Folded Reload
	;; [unrolled: 1-line block ×3, first 2 shown]
	s_waitcnt vmcnt(0)
	scratch_store_dwordx4 off, v[12:15], off offset:1264
	scratch_store_dwordx4 off, v[8:11], off offset:1248
	;; [unrolled: 1-line block ×4, first 2 shown]
	scratch_load_dwordx4 v[0:3], off, off offset:3352 ; 16-byte Folded Reload
	s_waitcnt vmcnt(0)
	v_mfma_f32_32x32x16_fp8_fp8 v[96:111], v[66:67], v[2:3], v[96:111]
	scratch_load_dwordx4 v[0:3], off, off offset:2168 ; 16-byte Folded Reload
	scratch_load_dwordx4 v[4:7], off, off offset:2184 ; 16-byte Folded Reload
	;; [unrolled: 1-line block ×4, first 2 shown]
	s_waitcnt vmcnt(0)
	scratch_store_dwordx4 off, v[12:15], off offset:1328
	scratch_store_dwordx4 off, v[8:11], off offset:1312
	;; [unrolled: 1-line block ×7, first 2 shown]
	scratch_load_dwordx4 v[0:3], off, off offset:3792 ; 16-byte Folded Reload
	v_mfma_f32_32x32x16_fp8_fp8 v[16:31], v[66:67], v[78:79], v[16:31]
	scratch_store_dwordx4 off, v[32:35], off offset:3688 ; 16-byte Folded Spill
	s_nop 0
	scratch_store_dwordx4 off, v[36:39], off offset:3704 ; 16-byte Folded Spill
	scratch_store_dwordx4 off, v[40:43], off offset:3720 ; 16-byte Folded Spill
	;; [unrolled: 1-line block ×3, first 2 shown]
	scratch_store_dwordx4 off, v[32:35], off offset:1344
	s_nop 4
	scratch_store_dwordx4 off, v[28:31], off offset:1456
	scratch_store_dwordx4 off, v[24:27], off offset:1440
	;; [unrolled: 1-line block ×3, first 2 shown]
	scratch_store_dwordx4 off, v[16:19], off offset:3560 ; 16-byte Folded Spill
	s_nop 0
	scratch_store_dwordx4 off, v[20:23], off offset:3576 ; 16-byte Folded Spill
	scratch_store_dwordx4 off, v[24:27], off offset:3592 ; 16-byte Folded Spill
	;; [unrolled: 1-line block ×3, first 2 shown]
	scratch_store_dwordx4 off, v[16:19], off offset:1408
	scratch_store_dwordx4 off, v[108:111], off offset:1520
	scratch_store_dwordx4 off, v[104:107], off offset:1504
	s_waitcnt vmcnt(15)
	v_mfma_f32_32x32x16_fp8_fp8 v[80:95], v[66:67], v[2:3], v[80:95]
	scratch_load_dwordx4 v[0:3], off, off offset:2104 ; 16-byte Folded Reload
	scratch_load_dwordx4 v[4:7], off, off offset:2120 ; 16-byte Folded Reload
	;; [unrolled: 1-line block ×4, first 2 shown]
	v_mfma_f32_32x32x16_fp8_fp8 v[112:127], v[64:65], v[72:73], v[112:127]
	s_waitcnt vmcnt(0)
	v_mfma_f32_32x32x16_fp8_fp8 v[0:15], v[66:67], v[76:77], v[0:15]
	scratch_store_dwordx4 off, v[100:103], off offset:1488
	scratch_store_dwordx4 off, v[96:99], off offset:3496 ; 16-byte Folded Spill
	s_nop 0
	scratch_store_dwordx4 off, v[100:103], off offset:3512 ; 16-byte Folded Spill
	scratch_store_dwordx4 off, v[104:107], off offset:3528 ; 16-byte Folded Spill
	;; [unrolled: 1-line block ×3, first 2 shown]
	scratch_store_dwordx4 off, v[96:99], off offset:1472
	scratch_store_dwordx4 off, v[92:95], off offset:1584
	;; [unrolled: 1-line block ×4, first 2 shown]
	scratch_store_dwordx4 off, v[80:83], off offset:3432 ; 16-byte Folded Spill
	s_nop 0
	scratch_store_dwordx4 off, v[84:87], off offset:3448 ; 16-byte Folded Spill
	scratch_store_dwordx4 off, v[88:91], off offset:3464 ; 16-byte Folded Spill
	;; [unrolled: 1-line block ×3, first 2 shown]
	scratch_store_dwordx4 off, v[80:83], off offset:1536
	scratch_store_dwordx4 off, v[12:15], off offset:1648
	v_mfma_f32_32x32x16_fp8_fp8 v[112:127], v[66:67], v[74:75], v[112:127]
	v_mfma_f32_32x32x16_fp8_fp8 v[48:63], v[66:67], v[68:69], v[48:63]
	scratch_store_dwordx4 off, v[8:11], off offset:1632
	scratch_store_dwordx4 off, v[4:7], off offset:1616
	scratch_store_dwordx4 off, v[0:3], off offset:2104 ; 16-byte Folded Spill
	s_nop 0
	scratch_store_dwordx4 off, v[4:7], off offset:2120 ; 16-byte Folded Spill
	scratch_store_dwordx4 off, v[8:11], off offset:2136 ; 16-byte Folded Spill
	;; [unrolled: 1-line block ×3, first 2 shown]
	scratch_store_dwordx4 off, v[0:3], off offset:1600
	s_nop 2
	scratch_store_dwordx4 off, v[60:63], off offset:1712
	scratch_store_dwordx4 off, v[56:59], off offset:1696
	;; [unrolled: 1-line block ×3, first 2 shown]
	scratch_store_dwordx4 off, v[48:51], off offset:3368 ; 16-byte Folded Spill
	s_nop 0
	scratch_store_dwordx4 off, v[52:55], off offset:3384 ; 16-byte Folded Spill
	scratch_store_dwordx4 off, v[56:59], off offset:3400 ; 16-byte Folded Spill
	;; [unrolled: 1-line block ×3, first 2 shown]
	scratch_store_dwordx4 off, v[48:51], off offset:1664
	scratch_store_dwordx4 off, v[124:127], off offset:1776
	;; [unrolled: 1-line block ×4, first 2 shown]
	scratch_store_dwordx4 off, v[112:115], off offset:3624 ; 16-byte Folded Spill
	s_nop 0
	scratch_store_dwordx4 off, v[116:119], off offset:3640 ; 16-byte Folded Spill
	scratch_store_dwordx4 off, v[120:123], off offset:3656 ; 16-byte Folded Spill
	;; [unrolled: 1-line block ×3, first 2 shown]
	scratch_store_dwordx4 off, v[112:115], off offset:1728
.LBB73_10:                              ;   in Loop: Header=BB73_11 Depth=2
	s_or_b64 exec, exec, s[2:3]
	scratch_load_dwordx2 v[18:19], off, off offset:2096 ; 8-byte Folded Reload
	s_addk_i32 s42, 0x400
	s_cmp_ge_u32 s42, s20
	s_waitcnt vmcnt(0)
	v_add_u32_e32 v18, 0x400, v18
	s_cbranch_scc1 .LBB73_30
.LBB73_11:                              ;   Parent Loop BB73_7 Depth=1
                                        ; =>  This Loop Header: Depth=2
                                        ;       Child Loop BB73_13 Depth 3
	scratch_load_dwordx2 v[16:17], off, off offset:3752 ; 8-byte Folded Reload
	s_nop 0
	scratch_store_dwordx2 off, v[18:19], off offset:2096 ; 8-byte Folded Spill
	s_waitcnt vmcnt(1)
	v_add_u32_e32 v18, s42, v16
	v_cmp_gt_u32_e32 vcc, s20, v18
	s_and_saveexec_b64 s[2:3], vcc
	s_cbranch_execz .LBB73_10
; %bb.12:                               ;   in Loop: Header=BB73_11 Depth=2
	scratch_load_dwordx2 v[0:1], off, off offset:2096 ; 8-byte Folded Reload
	v_mov_b32_e32 v19, 0x700
	s_mov_b32 s5, 0
	s_mov_b64 s[6:7], 0
	s_waitcnt vmcnt(0) lgkmcnt(0)
	v_lshl_add_u64 v[16:17], s[26:27], 0, v[0:1]
	scratch_load_dwordx2 v[0:1], off, off offset:3808 ; 8-byte Folded Reload
.LBB73_13:                              ;   Parent Loop BB73_7 Depth=1
                                        ;     Parent Loop BB73_11 Depth=2
                                        ; =>    This Inner Loop Header: Depth=3
	global_load_dwordx4 v[20:23], v[16:17], off nt
	s_add_i32 s10, s5, 1
	s_cmp_gt_u32 s5, 5
	s_cselect_b64 s[8:9], -1, 0
	v_lshl_add_u64 v[16:17], v[16:17], 0, s[34:35]
	s_mov_b32 s5, s10
	s_waitcnt vmcnt(0)
	scratch_store_dwordx4 v19, v[20:23], off
	s_nop 1
	v_add_u32_e32 v20, s10, v0
	v_cmp_le_u32_e32 vcc, s22, v20
	s_or_b64 s[8:9], s[8:9], vcc
	s_and_b64 s[8:9], exec, s[8:9]
	v_add_u32_e32 v19, 16, v19
	s_or_b64 s[6:7], s[8:9], s[6:7]
	s_andn2_b64 exec, exec, s[6:7]
	s_cbranch_execnz .LBB73_13
; %bb.14:                               ;   in Loop: Header=BB73_11 Depth=2
	s_or_b64 exec, exec, s[6:7]
	v_cmp_lt_u32_e32 vcc, s21, v18
                                        ; implicit-def: $vgpr40_vgpr41
	s_and_saveexec_b64 s[6:7], vcc
	s_xor_b64 s[6:7], exec, s[6:7]
	s_cbranch_execz .LBB73_16
; %bb.15:                               ;   in Loop: Header=BB73_11 Depth=2
	global_load_dwordx4 v[40:43], v18, s[24:25]
.LBB73_16:                              ;   in Loop: Header=BB73_11 Depth=2
	s_andn2_saveexec_b64 s[6:7], s[6:7]
	s_cbranch_execz .LBB73_18
; %bb.17:                               ;   in Loop: Header=BB73_11 Depth=2
	s_waitcnt vmcnt(0)
	ds_read_b128 v[40:43], v18
.LBB73_18:                              ;   in Loop: Header=BB73_11 Depth=2
	s_or_b64 exec, exec, s[6:7]
	v_add_u32_e32 v16, s20, v18
	v_cmp_lt_u32_e32 vcc, s21, v16
                                        ; implicit-def: $vgpr68_vgpr69
	s_and_saveexec_b64 s[6:7], vcc
	s_xor_b64 s[6:7], exec, s[6:7]
	s_cbranch_execz .LBB73_20
; %bb.19:                               ;   in Loop: Header=BB73_11 Depth=2
	global_load_dwordx4 v[68:71], v16, s[24:25]
.LBB73_20:                              ;   in Loop: Header=BB73_11 Depth=2
	s_andn2_saveexec_b64 s[6:7], s[6:7]
	s_cbranch_execz .LBB73_22
; %bb.21:                               ;   in Loop: Header=BB73_11 Depth=2
	s_waitcnt vmcnt(0)
	ds_read_b128 v[68:71], v16
.LBB73_22:                              ;   in Loop: Header=BB73_11 Depth=2
	s_or_b64 exec, exec, s[6:7]
	v_add_u32_e32 v16, s20, v16
	v_cmp_lt_u32_e32 vcc, s21, v16
                                        ; implicit-def: $vgpr0_vgpr1
	scratch_store_dwordx4 off, v[0:3], off offset:3336 ; 16-byte Folded Spill
	s_and_saveexec_b64 s[6:7], vcc
	s_xor_b64 s[6:7], exec, s[6:7]
	s_cbranch_execz .LBB73_24
; %bb.23:                               ;   in Loop: Header=BB73_11 Depth=2
	global_load_dwordx4 v[0:3], v16, s[24:25]
	s_waitcnt vmcnt(0)
	scratch_store_dwordx4 off, v[0:3], off offset:3336 ; 16-byte Folded Spill
.LBB73_24:                              ;   in Loop: Header=BB73_11 Depth=2
	s_andn2_saveexec_b64 s[6:7], s[6:7]
	s_cbranch_execz .LBB73_26
; %bb.25:                               ;   in Loop: Header=BB73_11 Depth=2
	ds_read_b128 v[0:3], v16
	s_waitcnt lgkmcnt(0)
	scratch_store_dwordx4 off, v[0:3], off offset:3336 ; 16-byte Folded Spill
.LBB73_26:                              ;   in Loop: Header=BB73_11 Depth=2
	s_or_b64 exec, exec, s[6:7]
	v_add_u32_e32 v16, s20, v16
	v_cmp_lt_u32_e32 vcc, s21, v16
                                        ; implicit-def: $vgpr0_vgpr1
	scratch_store_dwordx4 off, v[0:3], off offset:3320 ; 16-byte Folded Spill
	s_and_saveexec_b64 s[6:7], vcc
	s_xor_b64 s[6:7], exec, s[6:7]
	s_cbranch_execz .LBB73_28
; %bb.27:                               ;   in Loop: Header=BB73_11 Depth=2
	global_load_dwordx4 v[0:3], v16, s[24:25]
                                        ; implicit-def: $vgpr16
	s_waitcnt vmcnt(0)
	scratch_store_dwordx4 off, v[0:3], off offset:3320 ; 16-byte Folded Spill
.LBB73_28:                              ;   in Loop: Header=BB73_11 Depth=2
	s_andn2_saveexec_b64 s[6:7], s[6:7]
	s_cbranch_execz .LBB73_9
; %bb.29:                               ;   in Loop: Header=BB73_11 Depth=2
	ds_read_b128 v[0:3], v16
	s_waitcnt lgkmcnt(0)
	scratch_store_dwordx4 off, v[0:3], off offset:3320 ; 16-byte Folded Spill
	s_branch .LBB73_9
.LBB73_30:                              ;   in Loop: Header=BB73_7 Depth=1
	scratch_load_dword v16, off, off offset:3824 ; 4-byte Folded Reload
	v_mov_b32_e32 v21, v19
	s_mov_b32 s2, 0
.LBB73_31:                              ;   Parent Loop BB73_7 Depth=1
                                        ; =>  This Inner Loop Header: Depth=2
	s_add_i32 s3, s2, 0
	scratch_load_dwordx4 v[0:3], off, s3 offset:48
	scratch_load_dwordx4 v[4:7], off, s3 offset:32
	scratch_load_dwordx4 v[8:11], off, s3
	scratch_load_dwordx4 v[12:15], off, s3 offset:16
	s_add_i32 s2, s2, 64
	s_cmpk_lg_i32 s2, 0x1c0
	s_waitcnt vmcnt(2)
	;;#ASMSTART
	v_add_f32 v4, v5, v4 row_shl:1 bound_ctrl:0 
	;;#ASMEND
	s_nop 0
	;;#ASMSTART
	v_add_f32 v4, v6, v4 row_shl:2 bound_ctrl:0 
	;;#ASMEND
	s_waitcnt vmcnt(1)
	;;#ASMSTART
	v_add_f32 v8, v9, v8 row_shl:1 bound_ctrl:0 
	;;#ASMEND
	;;#ASMSTART
	v_add_f32 v4, v7, v4 row_shl:3 bound_ctrl:0 
	;;#ASMEND
	s_nop 0
	;;#ASMSTART
	v_add_f32 v8, v10, v8 row_shl:2 bound_ctrl:0 
	;;#ASMEND
	;;#ASMSTART
	v_add_f32 v4, v0, v4 row_shl:8 bound_ctrl:0 
	;;#ASMEND
	s_nop 0
	;;#ASMSTART
	v_add_f32 v8, v11, v8 row_shl:3 bound_ctrl:0 
	;;#ASMEND
	;;#ASMSTART
	v_add_f32 v4, v1, v4 row_shl:9 bound_ctrl:0 
	;;#ASMEND
	s_waitcnt vmcnt(0)
	;;#ASMSTART
	v_add_f32 v8, v12, v8 row_shl:8 bound_ctrl:0 
	;;#ASMEND
	;;#ASMSTART
	v_add_f32 v4, v2, v4 row_shl:10 bound_ctrl:0 
	;;#ASMEND
	s_nop 0
	;;#ASMSTART
	v_add_f32 v8, v13, v8 row_shl:9 bound_ctrl:0 
	;;#ASMEND
	;;#ASMSTART
	v_add_f32 v4, v3, v4 row_shl:11 bound_ctrl:0 
	;;#ASMEND
	ds_bpermute_b32 v0, v16, v4 offset:208
	;;#ASMSTART
	v_add_f32 v8, v14, v8 row_shl:10 bound_ctrl:0 
	;;#ASMEND
	s_waitcnt lgkmcnt(0)
	v_add_f32_e32 v0, v4, v0
	;;#ASMSTART
	v_add_f32 v8, v15, v8 row_shl:11 bound_ctrl:0 
	;;#ASMEND
	ds_bpermute_b32 v1, v16, v8 offset:144
	ds_bpermute_b32 v0, v16, v0 offset:64
	s_waitcnt lgkmcnt(1)
	v_add_f32_e32 v1, v8, v1
	s_waitcnt lgkmcnt(0)
	v_add_f32_e32 v0, v1, v0
	scratch_store_dword off, v0, s3
	s_cbranch_scc1 .LBB73_31
; %bb.32:                               ;   in Loop: Header=BB73_7 Depth=1
	v_or_b32_e32 v0, 0x90, v16
	v_or_b32_e32 v1, 0xd0, v16
	;; [unrolled: 1-line block ×3, first 2 shown]
	s_movk_i32 s2, 0x1c0
.LBB73_33:                              ;   Parent Loop BB73_7 Depth=1
                                        ; =>  This Inner Loop Header: Depth=2
	s_add_i32 s3, s2, 0
	scratch_load_dwordx4 v[4:7], off, s3 offset:48
	scratch_load_dwordx4 v[8:11], off, s3 offset:32
	scratch_load_dwordx4 v[12:15], off, s3
	scratch_load_dwordx4 v[16:19], off, s3 offset:16
	s_add_i32 s2, s2, 64
	s_cmpk_lg_i32 s2, 0x380
	s_waitcnt vmcnt(2)
	;;#ASMSTART
	v_add_f32 v8, v9, v8 row_shl:1 bound_ctrl:0 
	;;#ASMEND
	s_nop 0
	;;#ASMSTART
	v_add_f32 v8, v10, v8 row_shl:2 bound_ctrl:0 
	;;#ASMEND
	s_waitcnt vmcnt(1)
	;;#ASMSTART
	v_add_f32 v12, v13, v12 row_shl:1 bound_ctrl:0 
	;;#ASMEND
	;;#ASMSTART
	v_add_f32 v8, v11, v8 row_shl:3 bound_ctrl:0 
	;;#ASMEND
	s_nop 0
	;;#ASMSTART
	v_add_f32 v12, v14, v12 row_shl:2 bound_ctrl:0 
	;;#ASMEND
	;;#ASMSTART
	v_add_f32 v8, v4, v8 row_shl:8 bound_ctrl:0 
	;;#ASMEND
	s_nop 0
	;;#ASMSTART
	v_add_f32 v12, v15, v12 row_shl:3 bound_ctrl:0 
	;;#ASMEND
	;;#ASMSTART
	v_add_f32 v8, v5, v8 row_shl:9 bound_ctrl:0 
	;;#ASMEND
	s_waitcnt vmcnt(0)
	;;#ASMSTART
	v_add_f32 v12, v16, v12 row_shl:8 bound_ctrl:0 
	;;#ASMEND
	;;#ASMSTART
	v_add_f32 v8, v6, v8 row_shl:10 bound_ctrl:0 
	;;#ASMEND
	s_nop 0
	;;#ASMSTART
	v_add_f32 v12, v17, v12 row_shl:9 bound_ctrl:0 
	;;#ASMEND
	;;#ASMSTART
	v_add_f32 v8, v7, v8 row_shl:11 bound_ctrl:0 
	;;#ASMEND
	ds_bpermute_b32 v3, v1, v8
	;;#ASMSTART
	v_add_f32 v12, v18, v12 row_shl:10 bound_ctrl:0 
	;;#ASMEND
	s_waitcnt lgkmcnt(0)
	v_add_f32_e32 v3, v8, v3
	;;#ASMSTART
	v_add_f32 v12, v19, v12 row_shl:11 bound_ctrl:0 
	;;#ASMEND
	ds_bpermute_b32 v4, v0, v12
	ds_bpermute_b32 v3, v2, v3
	s_waitcnt lgkmcnt(1)
	v_add_f32_e32 v4, v12, v4
	s_waitcnt lgkmcnt(0)
	v_add_f32_e32 v3, v4, v3
	scratch_store_dword off, v3, s3
	s_cbranch_scc1 .LBB73_33
; %bb.34:                               ;   in Loop: Header=BB73_7 Depth=1
	s_movk_i32 s2, 0x380
.LBB73_35:                              ;   Parent Loop BB73_7 Depth=1
                                        ; =>  This Inner Loop Header: Depth=2
	s_add_i32 s3, s2, 0
	scratch_load_dwordx4 v[4:7], off, s3 offset:48
	scratch_load_dwordx4 v[8:11], off, s3 offset:32
	scratch_load_dwordx4 v[12:15], off, s3
	scratch_load_dwordx4 v[16:19], off, s3 offset:16
	s_add_i32 s2, s2, 64
	s_cmpk_lg_i32 s2, 0x540
	s_waitcnt vmcnt(2)
	;;#ASMSTART
	v_add_f32 v8, v9, v8 row_shl:1 bound_ctrl:0 
	;;#ASMEND
	s_nop 0
	;;#ASMSTART
	v_add_f32 v8, v10, v8 row_shl:2 bound_ctrl:0 
	;;#ASMEND
	s_waitcnt vmcnt(1)
	;;#ASMSTART
	v_add_f32 v12, v13, v12 row_shl:1 bound_ctrl:0 
	;;#ASMEND
	;;#ASMSTART
	v_add_f32 v8, v11, v8 row_shl:3 bound_ctrl:0 
	;;#ASMEND
	s_nop 0
	;;#ASMSTART
	v_add_f32 v12, v14, v12 row_shl:2 bound_ctrl:0 
	;;#ASMEND
	;;#ASMSTART
	v_add_f32 v8, v4, v8 row_shl:8 bound_ctrl:0 
	;;#ASMEND
	s_nop 0
	;;#ASMSTART
	v_add_f32 v12, v15, v12 row_shl:3 bound_ctrl:0 
	;;#ASMEND
	;;#ASMSTART
	v_add_f32 v8, v5, v8 row_shl:9 bound_ctrl:0 
	;;#ASMEND
	s_waitcnt vmcnt(0)
	;;#ASMSTART
	v_add_f32 v12, v16, v12 row_shl:8 bound_ctrl:0 
	;;#ASMEND
	;;#ASMSTART
	v_add_f32 v8, v6, v8 row_shl:10 bound_ctrl:0 
	;;#ASMEND
	s_nop 0
	;;#ASMSTART
	v_add_f32 v12, v17, v12 row_shl:9 bound_ctrl:0 
	;;#ASMEND
	;;#ASMSTART
	v_add_f32 v8, v7, v8 row_shl:11 bound_ctrl:0 
	;;#ASMEND
	ds_bpermute_b32 v3, v1, v8
	;;#ASMSTART
	v_add_f32 v12, v18, v12 row_shl:10 bound_ctrl:0 
	;;#ASMEND
	s_waitcnt lgkmcnt(0)
	v_add_f32_e32 v3, v8, v3
	;;#ASMSTART
	v_add_f32 v12, v19, v12 row_shl:11 bound_ctrl:0 
	;;#ASMEND
	ds_bpermute_b32 v4, v0, v12
	ds_bpermute_b32 v3, v2, v3
	s_waitcnt lgkmcnt(1)
	v_add_f32_e32 v4, v12, v4
	s_waitcnt lgkmcnt(0)
	v_add_f32_e32 v3, v4, v3
	scratch_store_dword off, v3, s3
	s_cbranch_scc1 .LBB73_35
; %bb.36:                               ;   in Loop: Header=BB73_7 Depth=1
	s_movk_i32 s2, 0x540
.LBB73_37:                              ;   Parent Loop BB73_7 Depth=1
                                        ; =>  This Inner Loop Header: Depth=2
	s_add_i32 s3, s2, 0
	scratch_load_dwordx4 v[4:7], off, s3 offset:48
	scratch_load_dwordx4 v[8:11], off, s3 offset:32
	scratch_load_dwordx4 v[12:15], off, s3
	scratch_load_dwordx4 v[16:19], off, s3 offset:16
	s_add_i32 s2, s2, 64
	s_cmpk_lg_i32 s2, 0x700
	s_waitcnt vmcnt(2)
	;;#ASMSTART
	v_add_f32 v8, v9, v8 row_shl:1 bound_ctrl:0 
	;;#ASMEND
	s_nop 0
	;;#ASMSTART
	v_add_f32 v8, v10, v8 row_shl:2 bound_ctrl:0 
	;;#ASMEND
	s_waitcnt vmcnt(1)
	;;#ASMSTART
	v_add_f32 v12, v13, v12 row_shl:1 bound_ctrl:0 
	;;#ASMEND
	;;#ASMSTART
	v_add_f32 v8, v11, v8 row_shl:3 bound_ctrl:0 
	;;#ASMEND
	s_nop 0
	;;#ASMSTART
	v_add_f32 v12, v14, v12 row_shl:2 bound_ctrl:0 
	;;#ASMEND
	;;#ASMSTART
	v_add_f32 v8, v4, v8 row_shl:8 bound_ctrl:0 
	;;#ASMEND
	s_nop 0
	;;#ASMSTART
	v_add_f32 v12, v15, v12 row_shl:3 bound_ctrl:0 
	;;#ASMEND
	;;#ASMSTART
	v_add_f32 v8, v5, v8 row_shl:9 bound_ctrl:0 
	;;#ASMEND
	s_waitcnt vmcnt(0)
	;;#ASMSTART
	v_add_f32 v12, v16, v12 row_shl:8 bound_ctrl:0 
	;;#ASMEND
	;;#ASMSTART
	v_add_f32 v8, v6, v8 row_shl:10 bound_ctrl:0 
	;;#ASMEND
	s_nop 0
	;;#ASMSTART
	v_add_f32 v12, v17, v12 row_shl:9 bound_ctrl:0 
	;;#ASMEND
	;;#ASMSTART
	v_add_f32 v8, v7, v8 row_shl:11 bound_ctrl:0 
	;;#ASMEND
	ds_bpermute_b32 v3, v1, v8
	;;#ASMSTART
	v_add_f32 v12, v18, v12 row_shl:10 bound_ctrl:0 
	;;#ASMEND
	s_waitcnt lgkmcnt(0)
	v_add_f32_e32 v3, v8, v3
	;;#ASMSTART
	v_add_f32 v12, v19, v12 row_shl:11 bound_ctrl:0 
	;;#ASMEND
	ds_bpermute_b32 v4, v0, v12
	ds_bpermute_b32 v3, v2, v3
	s_waitcnt lgkmcnt(1)
	v_add_f32_e32 v4, v12, v4
	s_waitcnt lgkmcnt(0)
	v_add_f32_e32 v3, v4, v3
	scratch_store_dword off, v3, s3
	s_cbranch_scc1 .LBB73_37
; %bb.38:                               ;   in Loop: Header=BB73_7 Depth=1
	s_mov_b64 s[6:7], exec
	scratch_load_dwordx2 v[10:11], off, off offset:3808 ; 8-byte Folded Reload
	s_and_b64 s[2:3], s[6:7], s[0:1]
	v_mov_b32_e32 v19, v21
	s_mov_b64 exec, s[2:3]
	s_cbranch_execz .LBB73_6
; %bb.39:                               ;   in Loop: Header=BB73_7 Depth=1
	scratch_load_dword v0, off, off offset:3824 ; 4-byte Folded Reload
	scratch_load_dwordx4 v[4:7], off, off
	s_waitcnt vmcnt(2)
	v_mov_b32_e32 v11, v19
	v_add_u32_e32 v2, 1, v10
	s_waitcnt vmcnt(1)
	v_lshl_add_u64 v[0:1], v[10:11], 1, s[28:29]
	v_cmp_gt_u32_e32 vcc, s22, v2
	s_waitcnt vmcnt(0)
	v_mul_f32_e32 v3, s23, v4
	v_fma_mixlo_f16 v3, s33, v3, 0
	global_store_short v[0:1], v3, off
	s_and_saveexec_b64 s[8:9], vcc
	s_cbranch_execz .LBB73_46
; %bb.40:                               ;   in Loop: Header=BB73_7 Depth=1
	scratch_load_dwordx4 v[4:7], off, off offset:64
	v_add_u32_e32 v3, 2, v10
	v_cmp_gt_u32_e64 s[2:3], s22, v3
	s_waitcnt vmcnt(0)
	v_mul_f32_e32 v4, s23, v4
	v_fma_mixlo_f16 v4, s33, v4, 0
	global_store_short v[0:1], v4, off offset:2
	s_and_b64 exec, exec, s[2:3]
	s_cbranch_execz .LBB73_46
; %bb.41:                               ;   in Loop: Header=BB73_7 Depth=1
	scratch_load_dwordx4 v[4:7], off, off offset:128
	v_add_u32_e32 v3, 3, v10
	v_cmp_gt_u32_e64 s[2:3], s22, v3
	s_waitcnt vmcnt(0)
	v_mul_f32_e32 v4, s23, v4
	v_fma_mixlo_f16 v4, s33, v4, 0
	global_store_short v[0:1], v4, off offset:4
	s_and_b64 exec, exec, s[2:3]
	;; [unrolled: 10-line block ×5, first 2 shown]
	s_cbranch_execz .LBB73_46
; %bb.45:                               ;   in Loop: Header=BB73_7 Depth=1
	scratch_load_dwordx4 v[4:7], off, off offset:384
	s_waitcnt vmcnt(0)
	v_mul_f32_e32 v3, s23, v4
	v_fma_mixlo_f16 v3, s33, v3, 0
	global_store_short v[0:1], v3, off offset:12
.LBB73_46:                              ;   in Loop: Header=BB73_7 Depth=1
	s_or_b64 exec, exec, s[8:9]
	scratch_load_dwordx4 v[4:7], off, off offset:448
	v_add_u32_e32 v18, s22, v10
	s_waitcnt vmcnt(0)
	v_mul_f32_e32 v0, s23, v4
	v_fma_mixlo_f16 v3, s33, v0, 0
	v_lshl_add_u64 v[0:1], v[18:19], 1, s[28:29]
	global_store_short v[0:1], v3, off
	s_and_saveexec_b64 s[8:9], vcc
	s_cbranch_execz .LBB73_53
; %bb.47:                               ;   in Loop: Header=BB73_7 Depth=1
	scratch_load_dwordx4 v[4:7], off, off offset:512
	s_waitcnt vmcnt(0)
	v_add_u32_e32 v6, s22, v2
	v_mov_b32_e32 v7, v19
	v_add_u32_e32 v0, 2, v10
	v_lshl_add_u64 v[6:7], v[6:7], 1, s[28:29]
	v_cmp_gt_u32_e64 s[2:3], s22, v0
	v_mul_f32_e32 v1, s23, v4
	v_fma_mixlo_f16 v1, s33, v1, 0
	global_store_short v[6:7], v1, off
	s_and_b64 exec, exec, s[2:3]
	s_cbranch_execz .LBB73_53
; %bb.48:                               ;   in Loop: Header=BB73_7 Depth=1
	scratch_load_dwordx4 v[4:7], off, off offset:576
	s_waitcnt vmcnt(0)
	v_add_u32_e32 v6, s22, v0
	v_mov_b32_e32 v7, v19
	v_add_u32_e32 v0, 3, v10
	v_lshl_add_u64 v[6:7], v[6:7], 1, s[28:29]
	v_cmp_gt_u32_e64 s[2:3], s22, v0
	v_mul_f32_e32 v1, s23, v4
	v_fma_mixlo_f16 v1, s33, v1, 0
	global_store_short v[6:7], v1, off
	s_and_b64 exec, exec, s[2:3]
	;; [unrolled: 13-line block ×5, first 2 shown]
	s_cbranch_execz .LBB73_53
; %bb.52:                               ;   in Loop: Header=BB73_7 Depth=1
	scratch_load_dwordx4 v[4:7], off, off offset:832
	v_add_u32_e32 v0, s22, v0
	v_mov_b32_e32 v1, v19
	v_lshl_add_u64 v[0:1], v[0:1], 1, s[28:29]
	s_waitcnt vmcnt(0)
	v_mul_f32_e32 v3, s23, v4
	v_fma_mixlo_f16 v3, s33, v3, 0
	global_store_short v[0:1], v3, off
.LBB73_53:                              ;   in Loop: Header=BB73_7 Depth=1
	s_or_b64 exec, exec, s[8:9]
	scratch_load_dwordx4 v[4:7], off, off offset:896
	v_add_u32_e32 v18, s22, v18
	s_waitcnt vmcnt(0)
	v_mul_f32_e32 v0, s23, v4
	v_fma_mixlo_f16 v3, s33, v0, 0
	v_lshl_add_u64 v[0:1], v[18:19], 1, s[28:29]
	global_store_short v[0:1], v3, off
	s_and_saveexec_b64 s[8:9], vcc
	s_cbranch_execz .LBB73_60
; %bb.54:                               ;   in Loop: Header=BB73_7 Depth=1
	scratch_load_dwordx4 v[4:7], off, off offset:960
	s_waitcnt vmcnt(0)
	v_add_u32_e32 v6, s39, v2
	v_mov_b32_e32 v7, v19
	v_add_u32_e32 v0, 2, v10
	v_lshl_add_u64 v[6:7], v[6:7], 1, s[28:29]
	v_cmp_gt_u32_e64 s[2:3], s22, v0
	v_mul_f32_e32 v1, s23, v4
	v_fma_mixlo_f16 v1, s33, v1, 0
	global_store_short v[6:7], v1, off
	s_and_b64 exec, exec, s[2:3]
	s_cbranch_execz .LBB73_60
; %bb.55:                               ;   in Loop: Header=BB73_7 Depth=1
	scratch_load_dwordx4 v[4:7], off, off offset:1024
	s_waitcnt vmcnt(0)
	v_add_u32_e32 v6, s39, v0
	v_mov_b32_e32 v7, v19
	v_add_u32_e32 v0, 3, v10
	v_lshl_add_u64 v[6:7], v[6:7], 1, s[28:29]
	v_cmp_gt_u32_e64 s[2:3], s22, v0
	v_mul_f32_e32 v1, s23, v4
	v_fma_mixlo_f16 v1, s33, v1, 0
	global_store_short v[6:7], v1, off
	s_and_b64 exec, exec, s[2:3]
	;; [unrolled: 13-line block ×5, first 2 shown]
	s_cbranch_execz .LBB73_60
; %bb.59:                               ;   in Loop: Header=BB73_7 Depth=1
	scratch_load_dwordx4 v[4:7], off, off offset:1280
	v_add_u32_e32 v0, s39, v0
	v_mov_b32_e32 v1, v19
	v_lshl_add_u64 v[0:1], v[0:1], 1, s[28:29]
	s_waitcnt vmcnt(0)
	v_mul_f32_e32 v3, s23, v4
	v_fma_mixlo_f16 v3, s33, v3, 0
	global_store_short v[0:1], v3, off
.LBB73_60:                              ;   in Loop: Header=BB73_7 Depth=1
	s_or_b64 exec, exec, s[8:9]
	scratch_load_dwordx4 v[4:7], off, off offset:1344
	v_add_u32_e32 v18, s22, v18
	s_waitcnt vmcnt(0)
	v_mul_f32_e32 v0, s23, v4
	v_fma_mixlo_f16 v3, s33, v0, 0
	v_lshl_add_u64 v[0:1], v[18:19], 1, s[28:29]
	global_store_short v[0:1], v3, off
	s_and_b64 exec, exec, vcc
	s_cbranch_execz .LBB73_6
; %bb.61:                               ;   in Loop: Header=BB73_7 Depth=1
	scratch_load_dwordx4 v[4:7], off, off offset:1408
	v_add_u32_e32 v18, s40, v2
	v_add_u32_e32 v0, 2, v10
	v_lshl_add_u64 v[2:3], v[18:19], 1, s[28:29]
	v_cmp_gt_u32_e32 vcc, s22, v0
	s_waitcnt vmcnt(0)
	v_mul_f32_e32 v1, s23, v4
	v_fma_mixlo_f16 v1, s33, v1, 0
	global_store_short v[2:3], v1, off
	s_and_b64 exec, exec, vcc
	s_cbranch_execz .LBB73_6
; %bb.62:                               ;   in Loop: Header=BB73_7 Depth=1
	scratch_load_dwordx4 v[2:5], off, off offset:1472
	v_add_u32_e32 v18, s40, v0
	v_add_u32_e32 v0, 3, v10
	s_waitcnt vmcnt(0)
	v_lshl_add_u64 v[4:5], v[18:19], 1, s[28:29]
	v_cmp_gt_u32_e32 vcc, s22, v0
	v_mul_f32_e32 v1, s23, v2
	v_fma_mixlo_f16 v1, s33, v1, 0
	global_store_short v[4:5], v1, off
	s_and_b64 exec, exec, vcc
	s_cbranch_execz .LBB73_6
; %bb.63:                               ;   in Loop: Header=BB73_7 Depth=1
	scratch_load_dwordx4 v[2:5], off, off offset:1536
	v_add_u32_e32 v18, s40, v0
	v_add_u32_e32 v0, 4, v10
	s_waitcnt vmcnt(0)
	v_lshl_add_u64 v[4:5], v[18:19], 1, s[28:29]
	v_cmp_gt_u32_e32 vcc, s22, v0
	;; [unrolled: 12-line block ×4, first 2 shown]
	v_mul_f32_e32 v1, s23, v2
	v_fma_mixlo_f16 v1, s33, v1, 0
	global_store_short v[4:5], v1, off
	s_and_b64 exec, exec, vcc
	s_cbranch_execz .LBB73_6
; %bb.66:                               ;   in Loop: Header=BB73_7 Depth=1
	scratch_load_dwordx4 v[2:5], off, off offset:1728
	v_add_u32_e32 v18, s40, v0
	s_waitcnt vmcnt(0)
	v_mul_f32_e32 v0, s23, v2
	v_fma_mixlo_f16 v2, s33, v0, 0
	v_lshl_add_u64 v[0:1], v[18:19], 1, s[28:29]
	global_store_short v[0:1], v2, off
	s_branch .LBB73_6
.LBB73_67:
	s_endpgm
	.section	.rodata,"a",@progbits
	.p2align	6, 0x0
	.amdhsa_kernel _ZN5aiter13wvSplitKQ_hf_I6__halfhLi64ELi7ELi16ELi16ELi1ELi4EEEviiiPKT0_S4_PT_PKfS8_ii
		.amdhsa_group_segment_fixed_size 65536
		.amdhsa_private_segment_fixed_size 3904
		.amdhsa_kernarg_size 64
		.amdhsa_user_sgpr_count 2
		.amdhsa_user_sgpr_dispatch_ptr 0
		.amdhsa_user_sgpr_queue_ptr 0
		.amdhsa_user_sgpr_kernarg_segment_ptr 1
		.amdhsa_user_sgpr_dispatch_id 0
		.amdhsa_user_sgpr_kernarg_preload_length 0
		.amdhsa_user_sgpr_kernarg_preload_offset 0
		.amdhsa_user_sgpr_private_segment_size 0
		.amdhsa_uses_dynamic_stack 0
		.amdhsa_enable_private_segment 1
		.amdhsa_system_sgpr_workgroup_id_x 1
		.amdhsa_system_sgpr_workgroup_id_y 0
		.amdhsa_system_sgpr_workgroup_id_z 0
		.amdhsa_system_sgpr_workgroup_info 0
		.amdhsa_system_vgpr_workitem_id 1
		.amdhsa_next_free_vgpr 128
		.amdhsa_next_free_sgpr 43
		.amdhsa_accum_offset 128
		.amdhsa_reserve_vcc 1
		.amdhsa_float_round_mode_32 0
		.amdhsa_float_round_mode_16_64 0
		.amdhsa_float_denorm_mode_32 3
		.amdhsa_float_denorm_mode_16_64 3
		.amdhsa_dx10_clamp 1
		.amdhsa_ieee_mode 1
		.amdhsa_fp16_overflow 0
		.amdhsa_tg_split 0
		.amdhsa_exception_fp_ieee_invalid_op 0
		.amdhsa_exception_fp_denorm_src 0
		.amdhsa_exception_fp_ieee_div_zero 0
		.amdhsa_exception_fp_ieee_overflow 0
		.amdhsa_exception_fp_ieee_underflow 0
		.amdhsa_exception_fp_ieee_inexact 0
		.amdhsa_exception_int_div_zero 0
	.end_amdhsa_kernel
	.section	.text._ZN5aiter13wvSplitKQ_hf_I6__halfhLi64ELi7ELi16ELi16ELi1ELi4EEEviiiPKT0_S4_PT_PKfS8_ii,"axG",@progbits,_ZN5aiter13wvSplitKQ_hf_I6__halfhLi64ELi7ELi16ELi16ELi1ELi4EEEviiiPKT0_S4_PT_PKfS8_ii,comdat
.Lfunc_end73:
	.size	_ZN5aiter13wvSplitKQ_hf_I6__halfhLi64ELi7ELi16ELi16ELi1ELi4EEEviiiPKT0_S4_PT_PKfS8_ii, .Lfunc_end73-_ZN5aiter13wvSplitKQ_hf_I6__halfhLi64ELi7ELi16ELi16ELi1ELi4EEEviiiPKT0_S4_PT_PKfS8_ii
                                        ; -- End function
	.section	.AMDGPU.csdata,"",@progbits
; Kernel info:
; codeLenInByte = 10676
; NumSgprs: 49
; NumVgprs: 128
; NumAgprs: 0
; TotalNumVgprs: 128
; ScratchSize: 3904
; MemoryBound: 1
; FloatMode: 240
; IeeeMode: 1
; LDSByteSize: 65536 bytes/workgroup (compile time only)
; SGPRBlocks: 6
; VGPRBlocks: 15
; NumSGPRsForWavesPerEU: 49
; NumVGPRsForWavesPerEU: 128
; AccumOffset: 128
; Occupancy: 4
; WaveLimiterHint : 1
; COMPUTE_PGM_RSRC2:SCRATCH_EN: 1
; COMPUTE_PGM_RSRC2:USER_SGPR: 2
; COMPUTE_PGM_RSRC2:TRAP_HANDLER: 0
; COMPUTE_PGM_RSRC2:TGID_X_EN: 1
; COMPUTE_PGM_RSRC2:TGID_Y_EN: 0
; COMPUTE_PGM_RSRC2:TGID_Z_EN: 0
; COMPUTE_PGM_RSRC2:TIDIG_COMP_CNT: 1
; COMPUTE_PGM_RSRC3_GFX90A:ACCUM_OFFSET: 31
; COMPUTE_PGM_RSRC3_GFX90A:TG_SPLIT: 0
	.section	.text._ZN5aiter17wvSplitKQ_hf_sml_I14__hip_bfloat16hLi64ELi2ELi16ELi16ELi2ELi1EEEviiiPKT0_S4_PT_PKfS8_ii,"axG",@progbits,_ZN5aiter17wvSplitKQ_hf_sml_I14__hip_bfloat16hLi64ELi2ELi16ELi16ELi2ELi1EEEviiiPKT0_S4_PT_PKfS8_ii,comdat
	.protected	_ZN5aiter17wvSplitKQ_hf_sml_I14__hip_bfloat16hLi64ELi2ELi16ELi16ELi2ELi1EEEviiiPKT0_S4_PT_PKfS8_ii ; -- Begin function _ZN5aiter17wvSplitKQ_hf_sml_I14__hip_bfloat16hLi64ELi2ELi16ELi16ELi2ELi1EEEviiiPKT0_S4_PT_PKfS8_ii
	.globl	_ZN5aiter17wvSplitKQ_hf_sml_I14__hip_bfloat16hLi64ELi2ELi16ELi16ELi2ELi1EEEviiiPKT0_S4_PT_PKfS8_ii
	.p2align	8
	.type	_ZN5aiter17wvSplitKQ_hf_sml_I14__hip_bfloat16hLi64ELi2ELi16ELi16ELi2ELi1EEEviiiPKT0_S4_PT_PKfS8_ii,@function
_ZN5aiter17wvSplitKQ_hf_sml_I14__hip_bfloat16hLi64ELi2ELi16ELi16ELi2ELi1EEEviiiPKT0_S4_PT_PKfS8_ii: ; @_ZN5aiter17wvSplitKQ_hf_sml_I14__hip_bfloat16hLi64ELi2ELi16ELi16ELi2ELi1EEEviiiPKT0_S4_PT_PKfS8_ii
; %bb.0:
	s_load_dwordx4 s[8:11], s[0:1], 0x0
	s_load_dwordx4 s[4:7], s[0:1], 0x28
	v_bfe_u32 v1, v0, 10, 10
	v_and_b32_e32 v0, 0x3ff, v0
	v_lshlrev_b32_e32 v60, 4, v0
	v_lshl_add_u32 v2, v1, 10, v60
	s_waitcnt lgkmcnt(0)
	s_min_i32 s3, s8, 0x10000
	v_cmp_gt_u32_e32 vcc, s3, v2
	s_and_saveexec_b64 s[12:13], vcc
	s_cbranch_execz .LBB74_3
; %bb.1:
	s_load_dwordx2 s[14:15], s[0:1], 0x18
	s_mov_b64 s[16:17], 0
.LBB74_2:                               ; =>This Inner Loop Header: Depth=1
	s_waitcnt lgkmcnt(0)
	global_load_dwordx4 v[4:7], v2, s[14:15]
	s_waitcnt vmcnt(0)
	ds_write_b128 v2, v[4:7]
	v_add_u32_e32 v2, 0x4000, v2
	v_cmp_le_u32_e32 vcc, s3, v2
	s_or_b64 s[16:17], vcc, s[16:17]
	s_andn2_b64 exec, exec, s[16:17]
	s_cbranch_execnz .LBB74_2
.LBB74_3:
	s_or_b64 exec, exec, s[12:13]
	s_load_dwordx2 s[16:17], s[0:1], 0x38
	s_waitcnt lgkmcnt(0)
	s_barrier
	v_cmp_gt_u32_e32 vcc, s16, v1
	s_and_saveexec_b64 s[12:13], vcc
	s_cbranch_execz .LBB74_30
; %bb.4:
	s_mul_i32 s2, s2, s16
	v_add_lshl_u32 v56, s2, v1, 1
	v_cmp_gt_u32_e32 vcc, s10, v56
	s_and_b64 exec, exec, vcc
	s_cbranch_execz .LBB74_30
; %bb.5:
	s_load_dword s11, s[4:5], 0x0
	s_load_dword s22, s[6:7], 0x0
	s_load_dwordx2 s[12:13], s[0:1], 0x10
	s_load_dwordx2 s[14:15], s[0:1], 0x20
	s_cmp_lg_u32 s8, 0
	s_cselect_b64 s[2:3], -1, 0
	v_cmp_eq_u32_e64 s[0:1], 0, v0
	v_cndmask_b32_e64 v0, 0, 1, s[2:3]
	v_cmp_ne_u32_e64 s[2:3], 1, v0
	v_mbcnt_lo_u32_b32 v0, -1, 0
	v_mbcnt_hi_u32_b32 v0, -1, v0
	s_mul_i32 s4, s16, s17
	v_lshlrev_b32_e32 v0, 2, v0
	s_mov_b32 s7, 0
	s_lshl_b32 s23, s4, 1
	s_mov_b32 s6, s9
	s_mov_b64 s[16:17], 0
	v_mov_b32_e32 v59, 0
	v_and_b32_e32 v61, 0x100, v0
	s_mov_b32 s24, 0x7f800000
	s_movk_i32 s25, 0x7fff
	s_branch .LBB74_8
.LBB74_6:                               ;   in Loop: Header=BB74_8 Depth=1
	s_or_b64 exec, exec, s[18:19]
	global_store_short_d16_hi v[0:1], v3, off offset:2
.LBB74_7:                               ;   in Loop: Header=BB74_8 Depth=1
	s_or_b64 exec, exec, s[4:5]
	v_add_u32_e32 v56, s23, v56
	v_cmp_le_u32_e32 vcc, s10, v56
	s_or_b64 s[16:17], vcc, s[16:17]
	s_andn2_b64 exec, exec, s[16:17]
	s_cbranch_execz .LBB74_30
.LBB74_8:                               ; =>This Loop Header: Depth=1
                                        ;     Child Loop BB74_11 Depth 2
	s_and_b64 vcc, exec, s[2:3]
	v_mov_b32_e32 v31, v59
	v_mov_b32_e32 v30, v59
	;; [unrolled: 1-line block ×13, first 2 shown]
	s_waitcnt lgkmcnt(0)
	v_mov_b32_e32 v18, v59
	v_mov_b32_e32 v17, v59
	;; [unrolled: 1-line block ×19, first 2 shown]
	s_cbranch_vccnz .LBB74_21
; %bb.9:                                ;   in Loop: Header=BB74_8 Depth=1
	v_mov_b32_e32 v0, 0
	v_mul_lo_u32 v57, v56, s9
	s_mov_b32 s26, 0
	v_mov_b32_e32 v1, v0
	v_mov_b32_e32 v2, v0
	;; [unrolled: 1-line block ×31, first 2 shown]
	s_branch .LBB74_11
.LBB74_10:                              ;   in Loop: Header=BB74_11 Depth=2
	s_addk_i32 s26, 0x800
	s_cmp_ge_u32 s26, s8
	s_cbranch_scc1 .LBB74_21
.LBB74_11:                              ;   Parent Loop BB74_8 Depth=1
                                        ; =>  This Inner Loop Header: Depth=2
	v_add_u32_e32 v62, s26, v60
	v_mov_b64_e32 v[32:33], 0
	v_cmp_gt_u32_e32 vcc, s8, v62
	v_add_u32_e32 v63, 0x400, v62
	v_mov_b64_e32 v[40:41], v[32:33]
	v_mov_b64_e32 v[42:43], v[32:33]
	;; [unrolled: 1-line block ×8, first 2 shown]
	s_and_saveexec_b64 s[18:19], vcc
	s_cbranch_execz .LBB74_15
; %bb.12:                               ;   in Loop: Header=BB74_11 Depth=2
	v_add_u32_e32 v58, v62, v57
	s_waitcnt lgkmcnt(0)
	v_lshl_add_u64 v[34:35], s[12:13], 0, v[58:59]
	v_lshl_add_u64 v[34:35], v[34:35], 0, s[6:7]
	global_load_dwordx4 v[48:51], v58, s[12:13] nt
	global_load_dwordx4 v[36:39], v[34:35], off nt
	v_mov_b64_e32 v[46:47], 0
	v_cmp_gt_u32_e64 s[4:5], s8, v63
	v_mov_b64_e32 v[44:45], v[46:47]
	v_mov_b64_e32 v[42:43], v[46:47]
	;; [unrolled: 1-line block ×3, first 2 shown]
	s_and_saveexec_b64 s[20:21], s[4:5]
	s_cbranch_execz .LBB74_14
; %bb.13:                               ;   in Loop: Header=BB74_11 Depth=2
	v_add_u32_e32 v58, v63, v57
	v_lshl_add_u64 v[34:35], s[12:13], 0, v[58:59]
	v_lshl_add_u64 v[34:35], v[34:35], 0, s[6:7]
	global_load_dwordx4 v[44:47], v58, s[12:13] nt
	global_load_dwordx4 v[40:43], v[34:35], off nt
.LBB74_14:                              ;   in Loop: Header=BB74_11 Depth=2
	s_or_b64 exec, exec, s[20:21]
.LBB74_15:                              ;   in Loop: Header=BB74_11 Depth=2
	s_or_b64 exec, exec, s[18:19]
	v_mov_b64_e32 v[34:35], v[32:33]
	v_mov_b64_e32 v[52:53], v[32:33]
	;; [unrolled: 1-line block ×3, first 2 shown]
	s_and_saveexec_b64 s[4:5], vcc
	s_cbranch_execz .LBB74_19
; %bb.16:                               ;   in Loop: Header=BB74_11 Depth=2
	ds_read_b128 v[52:55], v62
	v_mov_b64_e32 v[34:35], 0
	v_cmp_gt_u32_e32 vcc, s8, v63
	v_mov_b64_e32 v[32:33], v[34:35]
	s_and_saveexec_b64 s[18:19], vcc
	s_cbranch_execz .LBB74_18
; %bb.17:                               ;   in Loop: Header=BB74_11 Depth=2
	ds_read_b128 v[32:35], v62 offset:1024
.LBB74_18:                              ;   in Loop: Header=BB74_11 Depth=2
	s_or_b64 exec, exec, s[18:19]
.LBB74_19:                              ;   in Loop: Header=BB74_11 Depth=2
	s_or_b64 exec, exec, s[4:5]
	s_waitcnt vmcnt(1) lgkmcnt(0)
	v_mfma_f32_32x32x16_fp8_fp8 v[16:31], v[52:53], v[48:49], v[16:31]
	s_or_b32 s4, s26, 0x400
	s_cmp_ge_u32 s4, s8
	s_waitcnt vmcnt(0)
	v_mfma_f32_32x32x16_fp8_fp8 v[0:15], v[52:53], v[36:37], v[0:15]
	v_mfma_f32_32x32x16_fp8_fp8 v[16:31], v[54:55], v[50:51], v[16:31]
	;; [unrolled: 1-line block ×3, first 2 shown]
	s_cbranch_scc1 .LBB74_10
; %bb.20:                               ;   in Loop: Header=BB74_11 Depth=2
	v_mfma_f32_32x32x16_fp8_fp8 v[16:31], v[32:33], v[44:45], v[16:31]
	v_mfma_f32_32x32x16_fp8_fp8 v[0:15], v[32:33], v[40:41], v[0:15]
	;; [unrolled: 1-line block ×4, first 2 shown]
	s_branch .LBB74_10
.LBB74_21:                              ;   in Loop: Header=BB74_8 Depth=1
	;;#ASMSTART
	v_add_f32 v24, v25, v24 row_shl:1 bound_ctrl:0 
	;;#ASMEND
	;;#ASMSTART
	v_add_f32 v8, v9, v8 row_shl:1 bound_ctrl:0 
	;;#ASMEND
	;;#ASMSTART
	v_add_f32 v16, v17, v16 row_shl:1 bound_ctrl:0 
	;;#ASMEND
	;;#ASMSTART
	v_add_f32 v0, v1, v0 row_shl:1 bound_ctrl:0 
	;;#ASMEND
	s_nop 0
	;;#ASMSTART
	v_add_f32 v24, v26, v24 row_shl:2 bound_ctrl:0 
	;;#ASMEND
	;;#ASMSTART
	v_add_f32 v8, v10, v8 row_shl:2 bound_ctrl:0 
	;;#ASMEND
	;;#ASMSTART
	v_add_f32 v16, v18, v16 row_shl:2 bound_ctrl:0 
	;;#ASMEND
	;;#ASMSTART
	v_add_f32 v0, v2, v0 row_shl:2 bound_ctrl:0 
	;;#ASMEND
	s_nop 0
	;; [unrolled: 13-line block ×6, first 2 shown]
	;;#ASMSTART
	v_add_f32 v24, v31, v24 row_shl:11 bound_ctrl:0 
	;;#ASMEND
	ds_bpermute_b32 v18, v61, v24 offset:208
	;;#ASMSTART
	v_add_f32 v8, v15, v8 row_shl:11 bound_ctrl:0 
	;;#ASMEND
	ds_bpermute_b32 v2, v61, v8 offset:208
	;; [unrolled: 4-line block ×3, first 2 shown]
	s_waitcnt lgkmcnt(0)
	v_add_f32_e32 v18, v24, v18
	ds_bpermute_b32 v18, v61, v18 offset:64
	v_add_f32_e32 v2, v8, v2
	;;#ASMSTART
	v_add_f32 v0, v7, v0 row_shl:11 bound_ctrl:0 
	;;#ASMEND
	ds_bpermute_b32 v1, v61, v0 offset:144
	ds_bpermute_b32 v2, v61, v2 offset:64
	s_and_saveexec_b64 s[4:5], s[0:1]
	s_cbranch_execz .LBB74_7
; %bb.22:                               ;   in Loop: Header=BB74_8 Depth=1
	v_add_f32_e32 v3, v16, v17
	s_waitcnt lgkmcnt(2)
	v_add_f32_e32 v3, v3, v18
	v_mul_f32_e32 v3, s11, v3
	v_mul_f32_e32 v4, s22, v3
	v_and_b32_e32 v3, 0x7f800000, v4
	v_cmp_ne_u32_e32 vcc, s24, v3
                                        ; implicit-def: $vgpr3
	s_and_saveexec_b64 s[18:19], vcc
	s_xor_b64 s[18:19], exec, s[18:19]
; %bb.23:                               ;   in Loop: Header=BB74_8 Depth=1
	v_bfe_u32 v3, v4, 16, 1
	v_add3_u32 v3, v4, v3, s25
                                        ; implicit-def: $vgpr4
; %bb.24:                               ;   in Loop: Header=BB74_8 Depth=1
	s_andn2_saveexec_b64 s[18:19], s[18:19]
; %bb.25:                               ;   in Loop: Header=BB74_8 Depth=1
	v_or_b32_e32 v3, 0x10000, v4
	v_cmp_eq_u32_sdwa vcc, v4, v59 src0_sel:WORD_0 src1_sel:DWORD
	s_nop 1
	v_cndmask_b32_e32 v3, v3, v4, vcc
; %bb.26:                               ;   in Loop: Header=BB74_8 Depth=1
	s_or_b64 exec, exec, s[18:19]
	s_waitcnt lgkmcnt(1)
	v_add_f32_e32 v0, v0, v1
	s_waitcnt lgkmcnt(0)
	v_add_f32_e32 v2, v0, v2
	v_mov_b32_e32 v57, v59
	v_mul_f32_e32 v2, s11, v2
	v_lshl_add_u64 v[0:1], v[56:57], 1, s[14:15]
	v_mul_f32_e32 v2, s22, v2
	global_store_short_d16_hi v[0:1], v3, off
	v_and_b32_e32 v3, 0x7f800000, v2
	v_cmp_ne_u32_e32 vcc, s24, v3
                                        ; implicit-def: $vgpr3
	s_and_saveexec_b64 s[18:19], vcc
	s_xor_b64 s[18:19], exec, s[18:19]
; %bb.27:                               ;   in Loop: Header=BB74_8 Depth=1
	v_bfe_u32 v3, v2, 16, 1
	v_add3_u32 v3, v2, v3, s25
                                        ; implicit-def: $vgpr2
; %bb.28:                               ;   in Loop: Header=BB74_8 Depth=1
	s_andn2_saveexec_b64 s[18:19], s[18:19]
	s_cbranch_execz .LBB74_6
; %bb.29:                               ;   in Loop: Header=BB74_8 Depth=1
	v_or_b32_e32 v3, 0x10000, v2
	v_cmp_eq_u32_sdwa vcc, v2, v59 src0_sel:WORD_0 src1_sel:DWORD
	s_nop 1
	v_cndmask_b32_e32 v3, v3, v2, vcc
	s_branch .LBB74_6
.LBB74_30:
	s_endpgm
	.section	.rodata,"a",@progbits
	.p2align	6, 0x0
	.amdhsa_kernel _ZN5aiter17wvSplitKQ_hf_sml_I14__hip_bfloat16hLi64ELi2ELi16ELi16ELi2ELi1EEEviiiPKT0_S4_PT_PKfS8_ii
		.amdhsa_group_segment_fixed_size 65536
		.amdhsa_private_segment_fixed_size 0
		.amdhsa_kernarg_size 64
		.amdhsa_user_sgpr_count 2
		.amdhsa_user_sgpr_dispatch_ptr 0
		.amdhsa_user_sgpr_queue_ptr 0
		.amdhsa_user_sgpr_kernarg_segment_ptr 1
		.amdhsa_user_sgpr_dispatch_id 0
		.amdhsa_user_sgpr_kernarg_preload_length 0
		.amdhsa_user_sgpr_kernarg_preload_offset 0
		.amdhsa_user_sgpr_private_segment_size 0
		.amdhsa_uses_dynamic_stack 0
		.amdhsa_enable_private_segment 0
		.amdhsa_system_sgpr_workgroup_id_x 1
		.amdhsa_system_sgpr_workgroup_id_y 0
		.amdhsa_system_sgpr_workgroup_id_z 0
		.amdhsa_system_sgpr_workgroup_info 0
		.amdhsa_system_vgpr_workitem_id 1
		.amdhsa_next_free_vgpr 64
		.amdhsa_next_free_sgpr 27
		.amdhsa_accum_offset 64
		.amdhsa_reserve_vcc 1
		.amdhsa_float_round_mode_32 0
		.amdhsa_float_round_mode_16_64 0
		.amdhsa_float_denorm_mode_32 3
		.amdhsa_float_denorm_mode_16_64 3
		.amdhsa_dx10_clamp 1
		.amdhsa_ieee_mode 1
		.amdhsa_fp16_overflow 0
		.amdhsa_tg_split 0
		.amdhsa_exception_fp_ieee_invalid_op 0
		.amdhsa_exception_fp_denorm_src 0
		.amdhsa_exception_fp_ieee_div_zero 0
		.amdhsa_exception_fp_ieee_overflow 0
		.amdhsa_exception_fp_ieee_underflow 0
		.amdhsa_exception_fp_ieee_inexact 0
		.amdhsa_exception_int_div_zero 0
	.end_amdhsa_kernel
	.section	.text._ZN5aiter17wvSplitKQ_hf_sml_I14__hip_bfloat16hLi64ELi2ELi16ELi16ELi2ELi1EEEviiiPKT0_S4_PT_PKfS8_ii,"axG",@progbits,_ZN5aiter17wvSplitKQ_hf_sml_I14__hip_bfloat16hLi64ELi2ELi16ELi16ELi2ELi1EEEviiiPKT0_S4_PT_PKfS8_ii,comdat
.Lfunc_end74:
	.size	_ZN5aiter17wvSplitKQ_hf_sml_I14__hip_bfloat16hLi64ELi2ELi16ELi16ELi2ELi1EEEviiiPKT0_S4_PT_PKfS8_ii, .Lfunc_end74-_ZN5aiter17wvSplitKQ_hf_sml_I14__hip_bfloat16hLi64ELi2ELi16ELi16ELi2ELi1EEEviiiPKT0_S4_PT_PKfS8_ii
                                        ; -- End function
	.section	.AMDGPU.csdata,"",@progbits
; Kernel info:
; codeLenInByte = 1504
; NumSgprs: 33
; NumVgprs: 64
; NumAgprs: 0
; TotalNumVgprs: 64
; ScratchSize: 0
; MemoryBound: 1
; FloatMode: 240
; IeeeMode: 1
; LDSByteSize: 65536 bytes/workgroup (compile time only)
; SGPRBlocks: 4
; VGPRBlocks: 7
; NumSGPRsForWavesPerEU: 33
; NumVGPRsForWavesPerEU: 64
; AccumOffset: 64
; Occupancy: 4
; WaveLimiterHint : 0
; COMPUTE_PGM_RSRC2:SCRATCH_EN: 0
; COMPUTE_PGM_RSRC2:USER_SGPR: 2
; COMPUTE_PGM_RSRC2:TRAP_HANDLER: 0
; COMPUTE_PGM_RSRC2:TGID_X_EN: 1
; COMPUTE_PGM_RSRC2:TGID_Y_EN: 0
; COMPUTE_PGM_RSRC2:TGID_Z_EN: 0
; COMPUTE_PGM_RSRC2:TIDIG_COMP_CNT: 1
; COMPUTE_PGM_RSRC3_GFX90A:ACCUM_OFFSET: 15
; COMPUTE_PGM_RSRC3_GFX90A:TG_SPLIT: 0
	.section	.text._ZN5aiter13wvSplitKQ_hf_I14__hip_bfloat16hLi64ELi2ELi16ELi16ELi2ELi1EEEviiiPKT0_S4_PT_PKfS8_ii,"axG",@progbits,_ZN5aiter13wvSplitKQ_hf_I14__hip_bfloat16hLi64ELi2ELi16ELi16ELi2ELi1EEEviiiPKT0_S4_PT_PKfS8_ii,comdat
	.protected	_ZN5aiter13wvSplitKQ_hf_I14__hip_bfloat16hLi64ELi2ELi16ELi16ELi2ELi1EEEviiiPKT0_S4_PT_PKfS8_ii ; -- Begin function _ZN5aiter13wvSplitKQ_hf_I14__hip_bfloat16hLi64ELi2ELi16ELi16ELi2ELi1EEEviiiPKT0_S4_PT_PKfS8_ii
	.globl	_ZN5aiter13wvSplitKQ_hf_I14__hip_bfloat16hLi64ELi2ELi16ELi16ELi2ELi1EEEviiiPKT0_S4_PT_PKfS8_ii
	.p2align	8
	.type	_ZN5aiter13wvSplitKQ_hf_I14__hip_bfloat16hLi64ELi2ELi16ELi16ELi2ELi1EEEviiiPKT0_S4_PT_PKfS8_ii,@function
_ZN5aiter13wvSplitKQ_hf_I14__hip_bfloat16hLi64ELi2ELi16ELi16ELi2ELi1EEEviiiPKT0_S4_PT_PKfS8_ii: ; @_ZN5aiter13wvSplitKQ_hf_I14__hip_bfloat16hLi64ELi2ELi16ELi16ELi2ELi1EEEviiiPKT0_S4_PT_PKfS8_ii
; %bb.0:
	s_load_dwordx4 s[12:15], s[0:1], 0x0
	s_load_dwordx2 s[10:11], s[0:1], 0x18
	s_load_dwordx4 s[4:7], s[0:1], 0x28
	v_bfe_u32 v1, v0, 10, 10
	v_and_b32_e32 v0, 0x3ff, v0
	v_lshlrev_b32_e32 v60, 4, v0
	v_lshl_add_u32 v2, v1, 10, v60
	s_waitcnt lgkmcnt(0)
	s_min_i32 s3, s12, 0x10000
	v_cmp_gt_u32_e32 vcc, s3, v2
	s_and_saveexec_b64 s[8:9], vcc
	s_cbranch_execz .LBB75_3
; %bb.1:
	s_mov_b64 s[16:17], 0
.LBB75_2:                               ; =>This Inner Loop Header: Depth=1
	global_load_dwordx4 v[4:7], v2, s[10:11]
	s_waitcnt vmcnt(0)
	ds_write_b128 v2, v[4:7]
	v_add_u32_e32 v2, 0x4000, v2
	v_cmp_le_u32_e32 vcc, s3, v2
	s_or_b64 s[16:17], vcc, s[16:17]
	s_andn2_b64 exec, exec, s[16:17]
	s_cbranch_execnz .LBB75_2
.LBB75_3:
	s_or_b64 exec, exec, s[8:9]
	s_load_dwordx2 s[8:9], s[0:1], 0x38
	s_waitcnt lgkmcnt(0)
	s_barrier
	v_cmp_gt_u32_e32 vcc, s8, v1
	s_and_saveexec_b64 s[16:17], vcc
	s_cbranch_execz .LBB75_44
; %bb.4:
	s_mul_i32 s2, s2, s8
	v_add_lshl_u32 v56, s2, v1, 1
	v_cmp_gt_u32_e32 vcc, s14, v56
	s_and_b64 exec, exec, vcc
	s_cbranch_execz .LBB75_44
; %bb.5:
	s_load_dword s15, s[4:5], 0x0
	s_load_dword s28, s[6:7], 0x0
	s_load_dwordx2 s[16:17], s[0:1], 0x10
	s_load_dwordx2 s[18:19], s[0:1], 0x20
	s_cmp_lg_u32 s12, 0
	s_cselect_b64 s[2:3], -1, 0
	v_cmp_eq_u32_e64 s[0:1], 0, v0
	v_cndmask_b32_e64 v0, 0, 1, s[2:3]
	v_cmp_ne_u32_e64 s[2:3], 1, v0
	v_mbcnt_lo_u32_b32 v0, -1, 0
	v_mbcnt_hi_u32_b32 v0, -1, v0
	s_mul_i32 s4, s8, s9
	v_lshlrev_b32_e32 v0, 2, v0
	s_lshl_b32 s29, s4, 1
	s_ashr_i32 s21, s13, 31
	s_mov_b32 s20, s13
	s_mov_b64 s[22:23], 0
	v_mov_b32_e32 v59, 0
	s_mov_b32 s30, 0xffff
	v_and_b32_e32 v61, 0x100, v0
	s_mov_b32 s31, 0x7f800000
	s_movk_i32 s33, 0x7fff
                                        ; implicit-def: $vgpr40_vgpr41_vgpr42_vgpr43
                                        ; implicit-def: $vgpr44_vgpr45_vgpr46_vgpr47
                                        ; implicit-def: $vgpr32_vgpr33_vgpr34_vgpr35
                                        ; implicit-def: $vgpr36_vgpr37_vgpr38_vgpr39
                                        ; implicit-def: $vgpr50_vgpr51
                                        ; implicit-def: $vgpr54_vgpr55
	s_branch .LBB75_8
.LBB75_6:                               ;   in Loop: Header=BB75_8 Depth=1
	s_or_b64 exec, exec, s[6:7]
	global_store_short_d16_hi v[2:3], v1, off offset:2
.LBB75_7:                               ;   in Loop: Header=BB75_8 Depth=1
	s_or_b64 exec, exec, s[4:5]
	v_add_u32_e32 v56, s29, v56
	v_cmp_le_u32_e32 vcc, s14, v56
	s_or_b64 s[22:23], vcc, s[22:23]
	s_andn2_b64 exec, exec, s[22:23]
	s_cbranch_execz .LBB75_44
.LBB75_8:                               ; =>This Loop Header: Depth=1
                                        ;     Child Loop BB75_12 Depth 2
	v_or_b32_e32 v62, 1, v56
	s_and_b64 vcc, exec, s[2:3]
	v_cmp_gt_u32_e64 s[4:5], s14, v62
	s_cbranch_vccnz .LBB75_33
; %bb.9:                                ;   in Loop: Header=BB75_8 Depth=1
	v_mov_b32_e32 v0, 0
	v_mul_lo_u32 v57, v56, s13
	s_mov_b32 s34, 0
	s_waitcnt lgkmcnt(0)
	v_mov_b32_e32 v1, v0
	v_mov_b32_e32 v2, v0
	;; [unrolled: 1-line block ×31, first 2 shown]
	s_branch .LBB75_12
.LBB75_10:                              ;   in Loop: Header=BB75_12 Depth=2
	s_or_b64 exec, exec, s[8:9]
.LBB75_11:                              ;   in Loop: Header=BB75_12 Depth=2
	s_or_b64 exec, exec, s[6:7]
	s_addk_i32 s34, 0x800
	s_cmp_ge_u32 s34, s12
	s_cbranch_scc1 .LBB75_34
.LBB75_12:                              ;   Parent Loop BB75_8 Depth=1
                                        ; =>  This Inner Loop Header: Depth=2
	v_add_u32_e32 v63, s34, v60
	v_cmp_gt_u32_e32 vcc, s12, v63
	s_and_saveexec_b64 s[24:25], vcc
	s_cbranch_execz .LBB75_30
; %bb.13:                               ;   in Loop: Header=BB75_12 Depth=2
	v_add_u32_e32 v58, v63, v57
	s_waitcnt lgkmcnt(0)
	global_load_dwordx4 v[36:39], v58, s[16:17] nt
	s_and_saveexec_b64 s[6:7], s[4:5]
	s_cbranch_execz .LBB75_15
; %bb.14:                               ;   in Loop: Header=BB75_12 Depth=2
	s_waitcnt vmcnt(1)
	v_lshl_add_u64 v[44:45], s[16:17], 0, v[58:59]
	v_lshl_add_u64 v[44:45], v[44:45], 0, s[20:21]
	global_load_dwordx4 v[44:47], v[44:45], off nt
.LBB75_15:                              ;   in Loop: Header=BB75_12 Depth=2
	s_or_b64 exec, exec, s[6:7]
	v_add_u32_e32 v64, 0x400, v63
	v_cmp_gt_u32_e64 s[6:7], s12, v64
	s_and_saveexec_b64 s[8:9], s[6:7]
	s_cbranch_execz .LBB75_19
; %bb.16:                               ;   in Loop: Header=BB75_12 Depth=2
	v_add_u32_e32 v58, v64, v57
	global_load_dwordx4 v[32:35], v58, s[16:17] nt
	s_and_saveexec_b64 s[26:27], s[4:5]
	s_cbranch_execz .LBB75_18
; %bb.17:                               ;   in Loop: Header=BB75_12 Depth=2
	s_waitcnt vmcnt(2)
	v_lshl_add_u64 v[40:41], s[16:17], 0, v[58:59]
	v_lshl_add_u64 v[40:41], v[40:41], 0, s[20:21]
	global_load_dwordx4 v[40:43], v[40:41], off nt
.LBB75_18:                              ;   in Loop: Header=BB75_12 Depth=2
	s_or_b64 exec, exec, s[26:27]
.LBB75_19:                              ;   in Loop: Header=BB75_12 Depth=2
	s_or_b64 exec, exec, s[8:9]
	v_cmp_lt_u32_e64 s[8:9], s30, v63
                                        ; implicit-def: $vgpr52_vgpr53
	s_and_saveexec_b64 s[26:27], s[8:9]
	s_xor_b64 s[8:9], exec, s[26:27]
	s_cbranch_execnz .LBB75_22
; %bb.20:                               ;   in Loop: Header=BB75_12 Depth=2
	s_andn2_saveexec_b64 s[8:9], s[8:9]
	s_cbranch_execnz .LBB75_23
.LBB75_21:                              ;   in Loop: Header=BB75_12 Depth=2
	s_or_b64 exec, exec, s[8:9]
	s_and_saveexec_b64 s[8:9], s[6:7]
	s_cbranch_execnz .LBB75_24
	s_branch .LBB75_29
.LBB75_22:                              ;   in Loop: Header=BB75_12 Depth=2
	global_load_dwordx4 v[52:55], v63, s[10:11]
	s_andn2_saveexec_b64 s[8:9], s[8:9]
	s_cbranch_execz .LBB75_21
.LBB75_23:                              ;   in Loop: Header=BB75_12 Depth=2
	s_waitcnt vmcnt(0)
	ds_read_b128 v[52:55], v63
	s_or_b64 exec, exec, s[8:9]
	s_and_saveexec_b64 s[8:9], s[6:7]
	s_cbranch_execz .LBB75_29
.LBB75_24:                              ;   in Loop: Header=BB75_12 Depth=2
	v_cmp_lt_u32_e64 s[6:7], s30, v64
                                        ; implicit-def: $vgpr48_vgpr49
	s_and_saveexec_b64 s[26:27], s[6:7]
	s_xor_b64 s[6:7], exec, s[26:27]
	s_cbranch_execz .LBB75_26
; %bb.25:                               ;   in Loop: Header=BB75_12 Depth=2
	global_load_dwordx4 v[48:51], v64, s[10:11]
.LBB75_26:                              ;   in Loop: Header=BB75_12 Depth=2
	s_andn2_saveexec_b64 s[6:7], s[6:7]
	s_cbranch_execz .LBB75_28
; %bb.27:                               ;   in Loop: Header=BB75_12 Depth=2
	s_waitcnt vmcnt(0)
	ds_read_b128 v[48:51], v63 offset:1024
.LBB75_28:                              ;   in Loop: Header=BB75_12 Depth=2
	s_or_b64 exec, exec, s[6:7]
.LBB75_29:                              ;   in Loop: Header=BB75_12 Depth=2
	s_or_b64 exec, exec, s[8:9]
.LBB75_30:                              ;   in Loop: Header=BB75_12 Depth=2
	s_or_b64 exec, exec, s[24:25]
	s_and_saveexec_b64 s[6:7], vcc
	s_cbranch_execz .LBB75_11
; %bb.31:                               ;   in Loop: Header=BB75_12 Depth=2
	s_waitcnt vmcnt(0) lgkmcnt(0)
	v_mfma_f32_32x32x16_fp8_fp8 v[16:31], v[52:53], v[36:37], v[16:31]
	v_add_u32_e32 v58, 0x400, v63
	v_cmp_gt_u32_e32 vcc, s12, v58
	v_mfma_f32_32x32x16_fp8_fp8 v[0:15], v[52:53], v[44:45], v[0:15]
	v_mfma_f32_32x32x16_fp8_fp8 v[16:31], v[54:55], v[38:39], v[16:31]
	;; [unrolled: 1-line block ×3, first 2 shown]
	s_and_saveexec_b64 s[8:9], vcc
	s_cbranch_execz .LBB75_10
; %bb.32:                               ;   in Loop: Header=BB75_12 Depth=2
	v_mfma_f32_32x32x16_fp8_fp8 v[16:31], v[48:49], v[32:33], v[16:31]
	v_mfma_f32_32x32x16_fp8_fp8 v[0:15], v[48:49], v[40:41], v[0:15]
	;; [unrolled: 1-line block ×4, first 2 shown]
	s_branch .LBB75_10
.LBB75_33:                              ;   in Loop: Header=BB75_8 Depth=1
	v_mov_b32_e32 v31, v59
	v_mov_b32_e32 v30, v59
	;; [unrolled: 1-line block ×13, first 2 shown]
	s_waitcnt lgkmcnt(0)
	v_mov_b32_e32 v18, v59
	v_mov_b32_e32 v17, v59
	;; [unrolled: 1-line block ×19, first 2 shown]
.LBB75_34:                              ;   in Loop: Header=BB75_8 Depth=1
	;;#ASMSTART
	v_add_f32 v24, v25, v24 row_shl:1 bound_ctrl:0 
	;;#ASMEND
	;;#ASMSTART
	v_add_f32 v8, v9, v8 row_shl:1 bound_ctrl:0 
	;;#ASMEND
	;;#ASMSTART
	v_add_f32 v16, v17, v16 row_shl:1 bound_ctrl:0 
	;;#ASMEND
	;;#ASMSTART
	v_add_f32 v0, v1, v0 row_shl:1 bound_ctrl:0 
	;;#ASMEND
	s_nop 0
	;;#ASMSTART
	v_add_f32 v24, v26, v24 row_shl:2 bound_ctrl:0 
	;;#ASMEND
	;;#ASMSTART
	v_add_f32 v8, v10, v8 row_shl:2 bound_ctrl:0 
	;;#ASMEND
	;;#ASMSTART
	v_add_f32 v16, v18, v16 row_shl:2 bound_ctrl:0 
	;;#ASMEND
	;;#ASMSTART
	v_add_f32 v0, v2, v0 row_shl:2 bound_ctrl:0 
	;;#ASMEND
	s_nop 0
	;; [unrolled: 13-line block ×6, first 2 shown]
	;;#ASMSTART
	v_add_f32 v24, v31, v24 row_shl:11 bound_ctrl:0 
	;;#ASMEND
	ds_bpermute_b32 v18, v61, v24 offset:208
	;;#ASMSTART
	v_add_f32 v8, v15, v8 row_shl:11 bound_ctrl:0 
	;;#ASMEND
	ds_bpermute_b32 v2, v61, v8 offset:208
	;; [unrolled: 4-line block ×3, first 2 shown]
	s_waitcnt lgkmcnt(0)
	v_add_f32_e32 v18, v24, v18
	ds_bpermute_b32 v18, v61, v18 offset:64
	v_add_f32_e32 v2, v8, v2
	;;#ASMSTART
	v_add_f32 v0, v7, v0 row_shl:11 bound_ctrl:0 
	;;#ASMEND
	ds_bpermute_b32 v1, v61, v0 offset:144
	ds_bpermute_b32 v4, v61, v2 offset:64
	s_and_saveexec_b64 s[4:5], s[0:1]
	s_cbranch_execz .LBB75_7
; %bb.35:                               ;   in Loop: Header=BB75_8 Depth=1
	v_add_f32_e32 v2, v16, v17
	s_waitcnt lgkmcnt(2)
	v_add_f32_e32 v2, v2, v18
	v_mul_f32_e32 v2, s15, v2
	v_mul_f32_e32 v2, s28, v2
	v_and_b32_e32 v3, 0x7f800000, v2
	v_cmp_ne_u32_e32 vcc, s31, v3
                                        ; implicit-def: $vgpr5
	s_and_saveexec_b64 s[6:7], vcc
	s_xor_b64 s[6:7], exec, s[6:7]
; %bb.36:                               ;   in Loop: Header=BB75_8 Depth=1
	v_bfe_u32 v3, v2, 16, 1
	v_add3_u32 v5, v2, v3, s33
                                        ; implicit-def: $vgpr2
; %bb.37:                               ;   in Loop: Header=BB75_8 Depth=1
	s_andn2_saveexec_b64 s[6:7], s[6:7]
; %bb.38:                               ;   in Loop: Header=BB75_8 Depth=1
	v_or_b32_e32 v3, 0x10000, v2
	v_cmp_eq_u32_sdwa vcc, v2, v59 src0_sel:WORD_0 src1_sel:DWORD
	s_nop 1
	v_cndmask_b32_e32 v5, v3, v2, vcc
; %bb.39:                               ;   in Loop: Header=BB75_8 Depth=1
	s_or_b64 exec, exec, s[6:7]
	v_mov_b32_e32 v57, v59
	v_lshl_add_u64 v[2:3], v[56:57], 1, s[18:19]
	v_cmp_gt_u32_e32 vcc, s14, v62
	global_store_short_d16_hi v[2:3], v5, off
	s_and_b64 exec, exec, vcc
	s_cbranch_execz .LBB75_7
; %bb.40:                               ;   in Loop: Header=BB75_8 Depth=1
	s_waitcnt lgkmcnt(1)
	v_add_f32_e32 v0, v0, v1
	s_waitcnt lgkmcnt(0)
	v_add_f32_e32 v0, v0, v4
	v_mul_f32_e32 v0, s15, v0
	v_mul_f32_e32 v0, s28, v0
	v_and_b32_e32 v1, 0x7f800000, v0
	v_cmp_ne_u32_e32 vcc, s31, v1
                                        ; implicit-def: $vgpr1
	s_and_saveexec_b64 s[6:7], vcc
	s_xor_b64 s[6:7], exec, s[6:7]
; %bb.41:                               ;   in Loop: Header=BB75_8 Depth=1
	v_bfe_u32 v1, v0, 16, 1
	v_add3_u32 v1, v0, v1, s33
                                        ; implicit-def: $vgpr0
; %bb.42:                               ;   in Loop: Header=BB75_8 Depth=1
	s_andn2_saveexec_b64 s[6:7], s[6:7]
	s_cbranch_execz .LBB75_6
; %bb.43:                               ;   in Loop: Header=BB75_8 Depth=1
	v_or_b32_e32 v1, 0x10000, v0
	v_cmp_eq_u32_sdwa vcc, v0, v59 src0_sel:WORD_0 src1_sel:DWORD
	s_nop 1
	v_cndmask_b32_e32 v1, v1, v0, vcc
	s_branch .LBB75_6
.LBB75_44:
	s_endpgm
	.section	.rodata,"a",@progbits
	.p2align	6, 0x0
	.amdhsa_kernel _ZN5aiter13wvSplitKQ_hf_I14__hip_bfloat16hLi64ELi2ELi16ELi16ELi2ELi1EEEviiiPKT0_S4_PT_PKfS8_ii
		.amdhsa_group_segment_fixed_size 65536
		.amdhsa_private_segment_fixed_size 0
		.amdhsa_kernarg_size 64
		.amdhsa_user_sgpr_count 2
		.amdhsa_user_sgpr_dispatch_ptr 0
		.amdhsa_user_sgpr_queue_ptr 0
		.amdhsa_user_sgpr_kernarg_segment_ptr 1
		.amdhsa_user_sgpr_dispatch_id 0
		.amdhsa_user_sgpr_kernarg_preload_length 0
		.amdhsa_user_sgpr_kernarg_preload_offset 0
		.amdhsa_user_sgpr_private_segment_size 0
		.amdhsa_uses_dynamic_stack 0
		.amdhsa_enable_private_segment 0
		.amdhsa_system_sgpr_workgroup_id_x 1
		.amdhsa_system_sgpr_workgroup_id_y 0
		.amdhsa_system_sgpr_workgroup_id_z 0
		.amdhsa_system_sgpr_workgroup_info 0
		.amdhsa_system_vgpr_workitem_id 1
		.amdhsa_next_free_vgpr 65
		.amdhsa_next_free_sgpr 35
		.amdhsa_accum_offset 68
		.amdhsa_reserve_vcc 1
		.amdhsa_float_round_mode_32 0
		.amdhsa_float_round_mode_16_64 0
		.amdhsa_float_denorm_mode_32 3
		.amdhsa_float_denorm_mode_16_64 3
		.amdhsa_dx10_clamp 1
		.amdhsa_ieee_mode 1
		.amdhsa_fp16_overflow 0
		.amdhsa_tg_split 0
		.amdhsa_exception_fp_ieee_invalid_op 0
		.amdhsa_exception_fp_denorm_src 0
		.amdhsa_exception_fp_ieee_div_zero 0
		.amdhsa_exception_fp_ieee_overflow 0
		.amdhsa_exception_fp_ieee_underflow 0
		.amdhsa_exception_fp_ieee_inexact 0
		.amdhsa_exception_int_div_zero 0
	.end_amdhsa_kernel
	.section	.text._ZN5aiter13wvSplitKQ_hf_I14__hip_bfloat16hLi64ELi2ELi16ELi16ELi2ELi1EEEviiiPKT0_S4_PT_PKfS8_ii,"axG",@progbits,_ZN5aiter13wvSplitKQ_hf_I14__hip_bfloat16hLi64ELi2ELi16ELi16ELi2ELi1EEEviiiPKT0_S4_PT_PKfS8_ii,comdat
.Lfunc_end75:
	.size	_ZN5aiter13wvSplitKQ_hf_I14__hip_bfloat16hLi64ELi2ELi16ELi16ELi2ELi1EEEviiiPKT0_S4_PT_PKfS8_ii, .Lfunc_end75-_ZN5aiter13wvSplitKQ_hf_I14__hip_bfloat16hLi64ELi2ELi16ELi16ELi2ELi1EEEviiiPKT0_S4_PT_PKfS8_ii
                                        ; -- End function
	.section	.AMDGPU.csdata,"",@progbits
; Kernel info:
; codeLenInByte = 1608
; NumSgprs: 41
; NumVgprs: 65
; NumAgprs: 0
; TotalNumVgprs: 65
; ScratchSize: 0
; MemoryBound: 1
; FloatMode: 240
; IeeeMode: 1
; LDSByteSize: 65536 bytes/workgroup (compile time only)
; SGPRBlocks: 5
; VGPRBlocks: 8
; NumSGPRsForWavesPerEU: 41
; NumVGPRsForWavesPerEU: 65
; AccumOffset: 68
; Occupancy: 4
; WaveLimiterHint : 0
; COMPUTE_PGM_RSRC2:SCRATCH_EN: 0
; COMPUTE_PGM_RSRC2:USER_SGPR: 2
; COMPUTE_PGM_RSRC2:TRAP_HANDLER: 0
; COMPUTE_PGM_RSRC2:TGID_X_EN: 1
; COMPUTE_PGM_RSRC2:TGID_Y_EN: 0
; COMPUTE_PGM_RSRC2:TGID_Z_EN: 0
; COMPUTE_PGM_RSRC2:TIDIG_COMP_CNT: 1
; COMPUTE_PGM_RSRC3_GFX90A:ACCUM_OFFSET: 16
; COMPUTE_PGM_RSRC3_GFX90A:TG_SPLIT: 0
	.section	.text._ZN5aiter17wvSplitKQ_hf_sml_I14__hip_bfloat16hLi64ELi2ELi16ELi16ELi2ELi2EEEviiiPKT0_S4_PT_PKfS8_ii,"axG",@progbits,_ZN5aiter17wvSplitKQ_hf_sml_I14__hip_bfloat16hLi64ELi2ELi16ELi16ELi2ELi2EEEviiiPKT0_S4_PT_PKfS8_ii,comdat
	.protected	_ZN5aiter17wvSplitKQ_hf_sml_I14__hip_bfloat16hLi64ELi2ELi16ELi16ELi2ELi2EEEviiiPKT0_S4_PT_PKfS8_ii ; -- Begin function _ZN5aiter17wvSplitKQ_hf_sml_I14__hip_bfloat16hLi64ELi2ELi16ELi16ELi2ELi2EEEviiiPKT0_S4_PT_PKfS8_ii
	.globl	_ZN5aiter17wvSplitKQ_hf_sml_I14__hip_bfloat16hLi64ELi2ELi16ELi16ELi2ELi2EEEviiiPKT0_S4_PT_PKfS8_ii
	.p2align	8
	.type	_ZN5aiter17wvSplitKQ_hf_sml_I14__hip_bfloat16hLi64ELi2ELi16ELi16ELi2ELi2EEEviiiPKT0_S4_PT_PKfS8_ii,@function
_ZN5aiter17wvSplitKQ_hf_sml_I14__hip_bfloat16hLi64ELi2ELi16ELi16ELi2ELi2EEEviiiPKT0_S4_PT_PKfS8_ii: ; @_ZN5aiter17wvSplitKQ_hf_sml_I14__hip_bfloat16hLi64ELi2ELi16ELi16ELi2ELi2EEEviiiPKT0_S4_PT_PKfS8_ii
; %bb.0:
	s_load_dwordx4 s[8:11], s[0:1], 0x0
	s_load_dwordx4 s[4:7], s[0:1], 0x28
	v_bfe_u32 v1, v0, 10, 10
	v_and_b32_e32 v0, 0x3ff, v0
	v_lshlrev_b32_e32 v100, 4, v0
	s_waitcnt lgkmcnt(0)
	s_lshl_b32 s3, s8, 1
	v_lshl_add_u32 v2, v1, 10, v100
	s_min_i32 s3, s3, 0x10000
	v_cmp_gt_u32_e32 vcc, s3, v2
	s_and_saveexec_b64 s[12:13], vcc
	s_cbranch_execz .LBB76_3
; %bb.1:
	s_load_dwordx2 s[14:15], s[0:1], 0x18
	s_mov_b64 s[16:17], 0
.LBB76_2:                               ; =>This Inner Loop Header: Depth=1
	s_waitcnt lgkmcnt(0)
	global_load_dwordx4 v[4:7], v2, s[14:15]
	s_waitcnt vmcnt(0)
	ds_write_b128 v2, v[4:7]
	v_add_u32_e32 v2, 0x4000, v2
	v_cmp_le_u32_e32 vcc, s3, v2
	s_or_b64 s[16:17], vcc, s[16:17]
	s_andn2_b64 exec, exec, s[16:17]
	s_cbranch_execnz .LBB76_2
.LBB76_3:
	s_or_b64 exec, exec, s[12:13]
	s_load_dwordx2 s[16:17], s[0:1], 0x38
	s_waitcnt lgkmcnt(0)
	s_barrier
	v_cmp_gt_u32_e32 vcc, s16, v1
	s_and_saveexec_b64 s[12:13], vcc
	s_cbranch_execz .LBB76_39
; %bb.4:
	s_mul_i32 s2, s2, s16
	v_add_u32_e32 v1, s2, v1
	v_lshlrev_b32_e32 v96, 1, v1
	v_cmp_gt_u32_e32 vcc, s10, v96
	s_and_b64 exec, exec, vcc
	s_cbranch_execz .LBB76_39
; %bb.5:
	s_load_dword s11, s[4:5], 0x0
	s_load_dword s22, s[6:7], 0x0
	s_load_dwordx2 s[12:13], s[0:1], 0x10
	s_load_dwordx2 s[14:15], s[0:1], 0x20
	s_cmp_lg_u32 s8, 0
	v_cmp_eq_u32_e64 s[0:1], 0, v0
	s_cselect_b64 s[2:3], -1, 0
	v_mul_lo_u32 v0, s9, v1
	v_lshl_add_u32 v102, v0, 1, v100
	v_cndmask_b32_e64 v0, 0, 1, s[2:3]
	v_cmp_ne_u32_e64 s[2:3], 1, v0
	v_mbcnt_lo_u32_b32 v0, -1, 0
	s_mul_i32 s4, s16, s17
	v_mbcnt_hi_u32_b32 v0, -1, v0
	s_lshl_b32 s23, s4, 1
	s_mul_i32 s4, s4, s9
	v_lshlrev_b32_e32 v0, 2, v0
	s_mov_b32 s7, 0
	s_mov_b32 s6, s9
	v_add_u32_e32 v101, s8, v100
	s_lshl_b32 s9, s4, 1
	s_mov_b64 s[16:17], 0
	v_mov_b32_e32 v99, 0
	v_and_b32_e32 v103, 0x100, v0
	s_mov_b32 s24, 0x7f800000
	s_movk_i32 s25, 0x7fff
	s_branch .LBB76_8
.LBB76_6:                               ;   in Loop: Header=BB76_8 Depth=1
	s_or_b64 exec, exec, s[18:19]
	v_add_u32_e32 v98, 1, v98
	v_lshl_add_u64 v[2:3], v[98:99], 1, s[14:15]
	global_store_short_d16_hi v[2:3], v0, off
.LBB76_7:                               ;   in Loop: Header=BB76_8 Depth=1
	s_or_b64 exec, exec, s[4:5]
	v_add_u32_e32 v96, s23, v96
	v_cmp_le_u32_e32 vcc, s10, v96
	s_or_b64 s[16:17], vcc, s[16:17]
	v_add_u32_e32 v102, s9, v102
	s_andn2_b64 exec, exec, s[16:17]
	s_cbranch_execz .LBB76_39
.LBB76_8:                               ; =>This Loop Header: Depth=1
                                        ;     Child Loop BB76_10 Depth 2
	s_and_b64 vcc, exec, s[2:3]
	v_mov_b32_e32 v63, v99
	v_mov_b32_e32 v62, v99
	;; [unrolled: 1-line block ×13, first 2 shown]
	s_waitcnt lgkmcnt(0)
	v_mov_b32_e32 v50, v99
	v_mov_b32_e32 v49, v99
	;; [unrolled: 1-line block ×51, first 2 shown]
	s_cbranch_vccnz .LBB76_22
; %bb.9:                                ;   in Loop: Header=BB76_8 Depth=1
	v_mov_b32_e32 v0, 0
	s_movk_i32 s26, 0x400
	v_mov_b32_e32 v1, v0
	v_mov_b32_e32 v2, v0
	;; [unrolled: 1-line block ×63, first 2 shown]
.LBB76_10:                              ;   Parent Loop BB76_8 Depth=1
                                        ; =>  This Inner Loop Header: Depth=2
	v_add_u32_e32 v97, s26, v100
	v_add_u32_e32 v104, 0xfffffc00, v97
	v_mov_b64_e32 v[64:65], 0
	v_cmp_gt_u32_e32 vcc, s8, v104
	v_mov_b64_e32 v[68:69], v[64:65]
	v_mov_b64_e32 v[70:71], v[64:65]
	;; [unrolled: 1-line block ×8, first 2 shown]
	s_and_saveexec_b64 s[18:19], vcc
	s_cbranch_execz .LBB76_14
; %bb.11:                               ;   in Loop: Header=BB76_10 Depth=2
	v_add_u32_e32 v66, s26, v102
	v_add_u32_e32 v98, 0xfffffc00, v66
	s_waitcnt lgkmcnt(0)
	v_lshl_add_u64 v[68:69], s[12:13], 0, v[98:99]
	v_lshl_add_u64 v[68:69], v[68:69], 0, s[6:7]
	global_load_dwordx4 v[80:83], v98, s[12:13] nt
	global_load_dwordx4 v[76:79], v[68:69], off nt
	v_mov_b64_e32 v[74:75], 0
	v_cmp_gt_u32_e64 s[4:5], s8, v97
	v_mov_b64_e32 v[72:73], v[74:75]
	v_mov_b64_e32 v[70:71], v[74:75]
	;; [unrolled: 1-line block ×3, first 2 shown]
	s_and_saveexec_b64 s[20:21], s[4:5]
	s_cbranch_execz .LBB76_13
; %bb.12:                               ;   in Loop: Header=BB76_10 Depth=2
	v_mov_b32_e32 v67, v99
	v_lshl_add_u64 v[68:69], s[12:13], 0, v[66:67]
	v_lshl_add_u64 v[68:69], v[68:69], 0, s[6:7]
	global_load_dwordx4 v[72:75], v66, s[12:13] nt
	s_nop 0
	global_load_dwordx4 v[68:71], v[68:69], off nt
.LBB76_13:                              ;   in Loop: Header=BB76_10 Depth=2
	s_or_b64 exec, exec, s[20:21]
.LBB76_14:                              ;   in Loop: Header=BB76_10 Depth=2
	s_or_b64 exec, exec, s[18:19]
	v_mov_b64_e32 v[66:67], v[64:65]
	v_mov_b64_e32 v[88:89], v[64:65]
	;; [unrolled: 1-line block ×7, first 2 shown]
	s_and_saveexec_b64 s[4:5], vcc
	s_cbranch_execz .LBB76_18
; %bb.15:                               ;   in Loop: Header=BB76_10 Depth=2
	v_add_u32_e32 v98, s26, v101
	v_add_u32_e32 v64, 0xfffffc00, v98
	ds_read_b128 v[92:95], v104
	ds_read_b128 v[88:91], v64
	v_mov_b64_e32 v[86:87], 0
	v_cmp_gt_u32_e32 vcc, s8, v97
	v_mov_b64_e32 v[84:85], v[86:87]
	v_mov_b64_e32 v[66:67], v[86:87]
	v_mov_b64_e32 v[64:65], v[86:87]
	s_and_saveexec_b64 s[18:19], vcc
	s_cbranch_execz .LBB76_17
; %bb.16:                               ;   in Loop: Header=BB76_10 Depth=2
	ds_read_b128 v[84:87], v97
	ds_read_b128 v[64:67], v98
.LBB76_17:                              ;   in Loop: Header=BB76_10 Depth=2
	s_or_b64 exec, exec, s[18:19]
.LBB76_18:                              ;   in Loop: Header=BB76_10 Depth=2
	s_or_b64 exec, exec, s[4:5]
	s_waitcnt vmcnt(1) lgkmcnt(0)
	v_mfma_f32_32x32x16_fp8_fp8 v[48:63], v[92:93], v[80:81], v[48:63]
	s_cmp_ge_u32 s26, s8
	s_waitcnt vmcnt(0)
	v_mfma_f32_32x32x16_fp8_fp8 v[32:47], v[92:93], v[76:77], v[32:47]
	v_mfma_f32_32x32x16_fp8_fp8 v[16:31], v[88:89], v[80:81], v[16:31]
	;; [unrolled: 1-line block ×7, first 2 shown]
	s_cbranch_scc1 .LBB76_20
; %bb.19:                               ;   in Loop: Header=BB76_10 Depth=2
	v_mfma_f32_32x32x16_fp8_fp8 v[48:63], v[84:85], v[72:73], v[48:63]
	v_mfma_f32_32x32x16_fp8_fp8 v[32:47], v[84:85], v[68:69], v[32:47]
	;; [unrolled: 1-line block ×8, first 2 shown]
.LBB76_20:                              ;   in Loop: Header=BB76_10 Depth=2
	s_add_i32 s4, s26, 0x800
	s_add_i32 s5, s26, 0x400
	s_cmp_ge_u32 s5, s8
	s_cbranch_scc1 .LBB76_22
; %bb.21:                               ;   in Loop: Header=BB76_10 Depth=2
	s_mov_b32 s26, s4
	s_branch .LBB76_10
.LBB76_22:                              ;   in Loop: Header=BB76_8 Depth=1
	;;#ASMSTART
	v_add_f32 v56, v57, v56 row_shl:1 bound_ctrl:0 
	;;#ASMEND
	;;#ASMSTART
	v_add_f32 v40, v41, v40 row_shl:1 bound_ctrl:0 
	;;#ASMEND
	;;#ASMSTART
	v_add_f32 v24, v25, v24 row_shl:1 bound_ctrl:0 
	;;#ASMEND
	;;#ASMSTART
	v_add_f32 v8, v9, v8 row_shl:1 bound_ctrl:0 
	;;#ASMEND
	;;#ASMSTART
	v_add_f32 v48, v49, v48 row_shl:1 bound_ctrl:0 
	;;#ASMEND
	;;#ASMSTART
	v_add_f32 v32, v33, v32 row_shl:1 bound_ctrl:0 
	;;#ASMEND
	s_nop 0
	;;#ASMSTART
	v_add_f32 v56, v58, v56 row_shl:2 bound_ctrl:0 
	;;#ASMEND
	;;#ASMSTART
	v_add_f32 v40, v42, v40 row_shl:2 bound_ctrl:0 
	;;#ASMEND
	;;#ASMSTART
	v_add_f32 v24, v26, v24 row_shl:2 bound_ctrl:0 
	;;#ASMEND
	;;#ASMSTART
	v_add_f32 v8, v10, v8 row_shl:2 bound_ctrl:0 
	;;#ASMEND
	;;#ASMSTART
	v_add_f32 v16, v17, v16 row_shl:1 bound_ctrl:0 
	;;#ASMEND
	;;#ASMSTART
	v_add_f32 v0, v1, v0 row_shl:1 bound_ctrl:0 
	;;#ASMEND
	s_nop 0
	;; [unrolled: 19-line block ×6, first 2 shown]
	;;#ASMSTART
	v_add_f32 v56, v63, v56 row_shl:11 bound_ctrl:0 
	;;#ASMEND
	ds_bpermute_b32 v50, v103, v56 offset:208
	;;#ASMSTART
	v_add_f32 v40, v47, v40 row_shl:11 bound_ctrl:0 
	;;#ASMEND
	ds_bpermute_b32 v34, v103, v40 offset:208
	;; [unrolled: 4-line block ×4, first 2 shown]
	;;#ASMSTART
	v_add_f32 v48, v52, v48 row_shl:8 bound_ctrl:0 
	;;#ASMEND
	;;#ASMSTART
	v_add_f32 v32, v36, v32 row_shl:8 bound_ctrl:0 
	;;#ASMEND
	;; [unrolled: 3-line block ×4, first 2 shown]
	s_waitcnt lgkmcnt(0)
	v_add_f32_e32 v50, v56, v50
	;;#ASMSTART
	v_add_f32 v48, v53, v48 row_shl:9 bound_ctrl:0 
	;;#ASMEND
	;;#ASMSTART
	v_add_f32 v32, v37, v32 row_shl:9 bound_ctrl:0 
	;;#ASMEND
	;; [unrolled: 3-line block ×4, first 2 shown]
	v_add_f32_e32 v34, v40, v34
	;;#ASMSTART
	v_add_f32 v48, v54, v48 row_shl:10 bound_ctrl:0 
	;;#ASMEND
	;;#ASMSTART
	v_add_f32 v32, v38, v32 row_shl:10 bound_ctrl:0 
	;;#ASMEND
	;; [unrolled: 3-line block ×3, first 2 shown]
	v_add_f32_e32 v18, v24, v18
	;;#ASMSTART
	v_add_f32 v0, v6, v0 row_shl:10 bound_ctrl:0 
	;;#ASMEND
	v_add_f32_e32 v2, v8, v2
	;;#ASMSTART
	v_add_f32 v48, v55, v48 row_shl:11 bound_ctrl:0 
	;;#ASMEND
	ds_bpermute_b32 v49, v103, v48 offset:144
	ds_bpermute_b32 v50, v103, v50 offset:64
	;;#ASMSTART
	v_add_f32 v32, v39, v32 row_shl:11 bound_ctrl:0 
	;;#ASMEND
	ds_bpermute_b32 v33, v103, v32 offset:144
	ds_bpermute_b32 v34, v103, v34 offset:64
	;; [unrolled: 5-line block ×4, first 2 shown]
	s_and_saveexec_b64 s[4:5], s[0:1]
	s_cbranch_execz .LBB76_7
; %bb.23:                               ;   in Loop: Header=BB76_8 Depth=1
	s_waitcnt lgkmcnt(7)
	v_add_f32_e32 v2, v48, v49
	s_waitcnt lgkmcnt(6)
	v_add_f32_e32 v2, v2, v50
	v_mul_f32_e32 v2, s11, v2
	v_mul_f32_e32 v2, s22, v2
	v_and_b32_e32 v3, 0x7f800000, v2
	v_cmp_ne_u32_e32 vcc, s24, v3
                                        ; implicit-def: $vgpr5
	s_and_saveexec_b64 s[18:19], vcc
	s_xor_b64 s[18:19], exec, s[18:19]
; %bb.24:                               ;   in Loop: Header=BB76_8 Depth=1
	v_bfe_u32 v3, v2, 16, 1
	v_add3_u32 v5, v2, v3, s25
                                        ; implicit-def: $vgpr2
; %bb.25:                               ;   in Loop: Header=BB76_8 Depth=1
	s_andn2_saveexec_b64 s[18:19], s[18:19]
; %bb.26:                               ;   in Loop: Header=BB76_8 Depth=1
	v_or_b32_e32 v3, 0x10000, v2
	v_cmp_eq_u32_sdwa vcc, v2, v99 src0_sel:WORD_0 src1_sel:DWORD
	s_nop 1
	v_cndmask_b32_e32 v5, v3, v2, vcc
; %bb.27:                               ;   in Loop: Header=BB76_8 Depth=1
	s_or_b64 exec, exec, s[18:19]
	s_waitcnt lgkmcnt(5)
	v_add_f32_e32 v2, v32, v33
	v_mov_b32_e32 v97, v99
	s_waitcnt lgkmcnt(4)
	v_add_f32_e32 v6, v2, v34
	v_lshl_add_u64 v[2:3], v[96:97], 1, s[14:15]
	global_store_short_d16_hi v[2:3], v5, off
	v_mul_f32_e32 v5, s11, v6
	v_mul_f32_e32 v5, s22, v5
	v_and_b32_e32 v6, 0x7f800000, v5
	v_cmp_ne_u32_e32 vcc, s24, v6
                                        ; implicit-def: $vgpr6
	s_and_saveexec_b64 s[18:19], vcc
	s_xor_b64 s[18:19], exec, s[18:19]
; %bb.28:                               ;   in Loop: Header=BB76_8 Depth=1
	v_bfe_u32 v6, v5, 16, 1
	v_add3_u32 v6, v5, v6, s25
                                        ; implicit-def: $vgpr5
; %bb.29:                               ;   in Loop: Header=BB76_8 Depth=1
	s_andn2_saveexec_b64 s[18:19], s[18:19]
; %bb.30:                               ;   in Loop: Header=BB76_8 Depth=1
	v_or_b32_e32 v6, 0x10000, v5
	v_cmp_eq_u32_sdwa vcc, v5, v99 src0_sel:WORD_0 src1_sel:DWORD
	s_nop 1
	v_cndmask_b32_e32 v6, v6, v5, vcc
; %bb.31:                               ;   in Loop: Header=BB76_8 Depth=1
	s_or_b64 exec, exec, s[18:19]
	s_waitcnt lgkmcnt(3)
	v_add_f32_e32 v5, v16, v17
	s_waitcnt lgkmcnt(2)
	v_add_f32_e32 v5, v5, v18
	global_store_short_d16_hi v[2:3], v6, off offset:2
	v_mul_f32_e32 v2, s11, v5
	v_mul_f32_e32 v3, s22, v2
	v_and_b32_e32 v2, 0x7f800000, v3
	v_cmp_ne_u32_e32 vcc, s24, v2
                                        ; implicit-def: $vgpr2
	s_and_saveexec_b64 s[18:19], vcc
	s_xor_b64 s[18:19], exec, s[18:19]
; %bb.32:                               ;   in Loop: Header=BB76_8 Depth=1
	v_bfe_u32 v2, v3, 16, 1
	v_add3_u32 v2, v3, v2, s25
                                        ; implicit-def: $vgpr3
; %bb.33:                               ;   in Loop: Header=BB76_8 Depth=1
	s_andn2_saveexec_b64 s[18:19], s[18:19]
; %bb.34:                               ;   in Loop: Header=BB76_8 Depth=1
	v_or_b32_e32 v2, 0x10000, v3
	v_cmp_eq_u32_sdwa vcc, v3, v99 src0_sel:WORD_0 src1_sel:DWORD
	s_nop 1
	v_cndmask_b32_e32 v2, v2, v3, vcc
; %bb.35:                               ;   in Loop: Header=BB76_8 Depth=1
	s_or_b64 exec, exec, s[18:19]
	v_add_u32_e32 v98, s10, v96
	s_waitcnt lgkmcnt(1)
	v_add_f32_e32 v0, v0, v1
	s_waitcnt lgkmcnt(0)
	v_add_f32_e32 v3, v0, v4
	v_lshl_add_u64 v[0:1], v[98:99], 1, s[14:15]
	global_store_short_d16_hi v[0:1], v2, off
	v_mul_f32_e32 v0, s11, v3
	v_mul_f32_e32 v1, s22, v0
	v_and_b32_e32 v0, 0x7f800000, v1
	v_cmp_ne_u32_e32 vcc, s24, v0
                                        ; implicit-def: $vgpr0
	s_and_saveexec_b64 s[18:19], vcc
	s_xor_b64 s[18:19], exec, s[18:19]
; %bb.36:                               ;   in Loop: Header=BB76_8 Depth=1
	v_bfe_u32 v0, v1, 16, 1
	v_add3_u32 v0, v1, v0, s25
                                        ; implicit-def: $vgpr1
; %bb.37:                               ;   in Loop: Header=BB76_8 Depth=1
	s_andn2_saveexec_b64 s[18:19], s[18:19]
	s_cbranch_execz .LBB76_6
; %bb.38:                               ;   in Loop: Header=BB76_8 Depth=1
	v_or_b32_e32 v0, 0x10000, v1
	v_cmp_eq_u32_sdwa vcc, v1, v99 src0_sel:WORD_0 src1_sel:DWORD
	s_nop 1
	v_cndmask_b32_e32 v0, v0, v1, vcc
	s_branch .LBB76_6
.LBB76_39:
	s_endpgm
	.section	.rodata,"a",@progbits
	.p2align	6, 0x0
	.amdhsa_kernel _ZN5aiter17wvSplitKQ_hf_sml_I14__hip_bfloat16hLi64ELi2ELi16ELi16ELi2ELi2EEEviiiPKT0_S4_PT_PKfS8_ii
		.amdhsa_group_segment_fixed_size 65536
		.amdhsa_private_segment_fixed_size 0
		.amdhsa_kernarg_size 64
		.amdhsa_user_sgpr_count 2
		.amdhsa_user_sgpr_dispatch_ptr 0
		.amdhsa_user_sgpr_queue_ptr 0
		.amdhsa_user_sgpr_kernarg_segment_ptr 1
		.amdhsa_user_sgpr_dispatch_id 0
		.amdhsa_user_sgpr_kernarg_preload_length 0
		.amdhsa_user_sgpr_kernarg_preload_offset 0
		.amdhsa_user_sgpr_private_segment_size 0
		.amdhsa_uses_dynamic_stack 0
		.amdhsa_enable_private_segment 0
		.amdhsa_system_sgpr_workgroup_id_x 1
		.amdhsa_system_sgpr_workgroup_id_y 0
		.amdhsa_system_sgpr_workgroup_id_z 0
		.amdhsa_system_sgpr_workgroup_info 0
		.amdhsa_system_vgpr_workitem_id 1
		.amdhsa_next_free_vgpr 105
		.amdhsa_next_free_sgpr 27
		.amdhsa_accum_offset 108
		.amdhsa_reserve_vcc 1
		.amdhsa_float_round_mode_32 0
		.amdhsa_float_round_mode_16_64 0
		.amdhsa_float_denorm_mode_32 3
		.amdhsa_float_denorm_mode_16_64 3
		.amdhsa_dx10_clamp 1
		.amdhsa_ieee_mode 1
		.amdhsa_fp16_overflow 0
		.amdhsa_tg_split 0
		.amdhsa_exception_fp_ieee_invalid_op 0
		.amdhsa_exception_fp_denorm_src 0
		.amdhsa_exception_fp_ieee_div_zero 0
		.amdhsa_exception_fp_ieee_overflow 0
		.amdhsa_exception_fp_ieee_underflow 0
		.amdhsa_exception_fp_ieee_inexact 0
		.amdhsa_exception_int_div_zero 0
	.end_amdhsa_kernel
	.section	.text._ZN5aiter17wvSplitKQ_hf_sml_I14__hip_bfloat16hLi64ELi2ELi16ELi16ELi2ELi2EEEviiiPKT0_S4_PT_PKfS8_ii,"axG",@progbits,_ZN5aiter17wvSplitKQ_hf_sml_I14__hip_bfloat16hLi64ELi2ELi16ELi16ELi2ELi2EEEviiiPKT0_S4_PT_PKfS8_ii,comdat
.Lfunc_end76:
	.size	_ZN5aiter17wvSplitKQ_hf_sml_I14__hip_bfloat16hLi64ELi2ELi16ELi16ELi2ELi2EEEviiiPKT0_S4_PT_PKfS8_ii, .Lfunc_end76-_ZN5aiter17wvSplitKQ_hf_sml_I14__hip_bfloat16hLi64ELi2ELi16ELi16ELi2ELi2EEEviiiPKT0_S4_PT_PKfS8_ii
                                        ; -- End function
	.section	.AMDGPU.csdata,"",@progbits
; Kernel info:
; codeLenInByte = 2428
; NumSgprs: 33
; NumVgprs: 105
; NumAgprs: 0
; TotalNumVgprs: 105
; ScratchSize: 0
; MemoryBound: 1
; FloatMode: 240
; IeeeMode: 1
; LDSByteSize: 65536 bytes/workgroup (compile time only)
; SGPRBlocks: 4
; VGPRBlocks: 13
; NumSGPRsForWavesPerEU: 33
; NumVGPRsForWavesPerEU: 105
; AccumOffset: 108
; Occupancy: 4
; WaveLimiterHint : 0
; COMPUTE_PGM_RSRC2:SCRATCH_EN: 0
; COMPUTE_PGM_RSRC2:USER_SGPR: 2
; COMPUTE_PGM_RSRC2:TRAP_HANDLER: 0
; COMPUTE_PGM_RSRC2:TGID_X_EN: 1
; COMPUTE_PGM_RSRC2:TGID_Y_EN: 0
; COMPUTE_PGM_RSRC2:TGID_Z_EN: 0
; COMPUTE_PGM_RSRC2:TIDIG_COMP_CNT: 1
; COMPUTE_PGM_RSRC3_GFX90A:ACCUM_OFFSET: 26
; COMPUTE_PGM_RSRC3_GFX90A:TG_SPLIT: 0
	.section	.text._ZN5aiter13wvSplitKQ_hf_I14__hip_bfloat16hLi64ELi2ELi16ELi16ELi2ELi2EEEviiiPKT0_S4_PT_PKfS8_ii,"axG",@progbits,_ZN5aiter13wvSplitKQ_hf_I14__hip_bfloat16hLi64ELi2ELi16ELi16ELi2ELi2EEEviiiPKT0_S4_PT_PKfS8_ii,comdat
	.protected	_ZN5aiter13wvSplitKQ_hf_I14__hip_bfloat16hLi64ELi2ELi16ELi16ELi2ELi2EEEviiiPKT0_S4_PT_PKfS8_ii ; -- Begin function _ZN5aiter13wvSplitKQ_hf_I14__hip_bfloat16hLi64ELi2ELi16ELi16ELi2ELi2EEEviiiPKT0_S4_PT_PKfS8_ii
	.globl	_ZN5aiter13wvSplitKQ_hf_I14__hip_bfloat16hLi64ELi2ELi16ELi16ELi2ELi2EEEviiiPKT0_S4_PT_PKfS8_ii
	.p2align	8
	.type	_ZN5aiter13wvSplitKQ_hf_I14__hip_bfloat16hLi64ELi2ELi16ELi16ELi2ELi2EEEviiiPKT0_S4_PT_PKfS8_ii,@function
_ZN5aiter13wvSplitKQ_hf_I14__hip_bfloat16hLi64ELi2ELi16ELi16ELi2ELi2EEEviiiPKT0_S4_PT_PKfS8_ii: ; @_ZN5aiter13wvSplitKQ_hf_I14__hip_bfloat16hLi64ELi2ELi16ELi16ELi2ELi2EEEviiiPKT0_S4_PT_PKfS8_ii
; %bb.0:
	s_load_dwordx4 s[12:15], s[0:1], 0x0
	s_load_dwordx2 s[10:11], s[0:1], 0x18
	s_load_dwordx4 s[4:7], s[0:1], 0x28
	v_bfe_u32 v1, v0, 10, 10
	v_and_b32_e32 v0, 0x3ff, v0
	v_lshlrev_b32_e32 v100, 4, v0
	s_waitcnt lgkmcnt(0)
	s_lshl_b32 s3, s12, 1
	v_lshl_add_u32 v2, v1, 10, v100
	s_min_i32 s3, s3, 0x10000
	v_cmp_gt_u32_e32 vcc, s3, v2
	s_and_saveexec_b64 s[8:9], vcc
	s_cbranch_execz .LBB77_3
; %bb.1:
	s_mov_b64 s[16:17], 0
.LBB77_2:                               ; =>This Inner Loop Header: Depth=1
	global_load_dwordx4 v[4:7], v2, s[10:11]
	s_waitcnt vmcnt(0)
	ds_write_b128 v2, v[4:7]
	v_add_u32_e32 v2, 0x4000, v2
	v_cmp_le_u32_e32 vcc, s3, v2
	s_or_b64 s[16:17], vcc, s[16:17]
	s_andn2_b64 exec, exec, s[16:17]
	s_cbranch_execnz .LBB77_2
.LBB77_3:
	s_or_b64 exec, exec, s[8:9]
	s_load_dwordx2 s[8:9], s[0:1], 0x38
	s_waitcnt lgkmcnt(0)
	s_barrier
	v_cmp_gt_u32_e32 vcc, s8, v1
	s_and_saveexec_b64 s[16:17], vcc
	s_cbranch_execz .LBB77_62
; %bb.4:
	s_mul_i32 s2, s2, s8
	v_add_u32_e32 v1, s2, v1
	v_lshlrev_b32_e32 v96, 1, v1
	v_cmp_gt_u32_e32 vcc, s14, v96
	s_and_b64 exec, exec, vcc
	s_cbranch_execz .LBB77_62
; %bb.5:
	s_load_dword s15, s[4:5], 0x0
	s_load_dword s28, s[6:7], 0x0
	s_load_dwordx2 s[16:17], s[0:1], 0x10
	s_load_dwordx2 s[18:19], s[0:1], 0x20
	s_cmp_lg_u32 s12, 0
	v_cmp_eq_u32_e64 s[0:1], 0, v0
	s_cselect_b64 s[2:3], -1, 0
	v_mul_lo_u32 v0, s13, v1
	v_lshl_add_u32 v102, v0, 1, v100
	v_cndmask_b32_e64 v0, 0, 1, s[2:3]
	v_cmp_ne_u32_e64 s[2:3], 1, v0
	v_mbcnt_lo_u32_b32 v0, -1, 0
	s_mul_i32 s4, s8, s9
	v_mbcnt_hi_u32_b32 v0, -1, v0
	s_lshl_b32 s29, s4, 1
	s_mul_i32 s4, s4, s13
	v_lshlrev_b32_e32 v0, 2, v0
	s_ashr_i32 s21, s13, 31
	s_mov_b32 s20, s13
	v_add_u32_e32 v101, s12, v100
	s_lshl_b32 s13, s4, 1
	s_mov_b64 s[22:23], 0
	v_mov_b32_e32 v99, 0
	s_mov_b32 s30, 0xffff
	v_and_b32_e32 v103, 0x100, v0
	s_mov_b32 s31, 0x7f800000
	s_movk_i32 s33, 0x7fff
                                        ; implicit-def: $vgpr68_vgpr69_vgpr70_vgpr71
                                        ; implicit-def: $vgpr76_vgpr77_vgpr78_vgpr79
                                        ; implicit-def: $vgpr64_vgpr65_vgpr66_vgpr67
                                        ; implicit-def: $vgpr72_vgpr73_vgpr74_vgpr75
                                        ; implicit-def: $vgpr90_vgpr91
                                        ; implicit-def: $vgpr94_vgpr95
                                        ; implicit-def: $vgpr82_vgpr83
                                        ; implicit-def: $vgpr86_vgpr87
	s_branch .LBB77_8
.LBB77_6:                               ;   in Loop: Header=BB77_8 Depth=1
	s_or_b64 exec, exec, s[4:5]
	v_add_u32_e32 v98, s14, v104
	v_lshl_add_u64 v[2:3], v[98:99], 1, s[18:19]
	global_store_short_d16_hi v[2:3], v0, off
.LBB77_7:                               ;   in Loop: Header=BB77_8 Depth=1
	s_or_b64 exec, exec, s[6:7]
	v_add_u32_e32 v96, s29, v96
	v_cmp_le_u32_e32 vcc, s14, v96
	s_or_b64 s[22:23], vcc, s[22:23]
	v_add_u32_e32 v102, s13, v102
	s_andn2_b64 exec, exec, s[22:23]
	s_cbranch_execz .LBB77_62
.LBB77_8:                               ; =>This Loop Header: Depth=1
                                        ;     Child Loop BB77_12 Depth 2
	v_or_b32_e32 v104, 1, v96
	s_and_b64 vcc, exec, s[2:3]
	v_cmp_gt_u32_e64 s[4:5], s14, v104
	s_cbranch_vccnz .LBB77_41
; %bb.9:                                ;   in Loop: Header=BB77_8 Depth=1
	v_mov_b32_e32 v0, 0
	s_mov_b32 s34, 0
	s_waitcnt lgkmcnt(0)
	v_mov_b32_e32 v1, v0
	v_mov_b32_e32 v2, v0
	;; [unrolled: 1-line block ×63, first 2 shown]
	s_branch .LBB77_12
.LBB77_10:                              ;   in Loop: Header=BB77_12 Depth=2
	s_or_b64 exec, exec, s[8:9]
.LBB77_11:                              ;   in Loop: Header=BB77_12 Depth=2
	s_or_b64 exec, exec, s[6:7]
	s_addk_i32 s34, 0x800
	s_cmp_ge_u32 s34, s12
	s_cbranch_scc1 .LBB77_42
.LBB77_12:                              ;   Parent Loop BB77_8 Depth=1
                                        ; =>  This Inner Loop Header: Depth=2
	v_add_u32_e32 v97, s34, v100
	v_cmp_gt_u32_e32 vcc, s12, v97
	s_and_saveexec_b64 s[24:25], vcc
	s_cbranch_execz .LBB77_38
; %bb.13:                               ;   in Loop: Header=BB77_12 Depth=2
	v_add_u32_e32 v98, s34, v102
	s_waitcnt lgkmcnt(0)
	global_load_dwordx4 v[72:75], v98, s[16:17] nt
	s_and_saveexec_b64 s[6:7], s[4:5]
	s_cbranch_execz .LBB77_15
; %bb.14:                               ;   in Loop: Header=BB77_12 Depth=2
	s_waitcnt vmcnt(1)
	v_lshl_add_u64 v[76:77], s[16:17], 0, v[98:99]
	v_lshl_add_u64 v[76:77], v[76:77], 0, s[20:21]
	global_load_dwordx4 v[76:79], v[76:77], off nt
.LBB77_15:                              ;   in Loop: Header=BB77_12 Depth=2
	s_or_b64 exec, exec, s[6:7]
	v_add_u32_e32 v105, 0x400, v97
	v_cmp_gt_u32_e64 s[6:7], s12, v105
	s_and_saveexec_b64 s[8:9], s[6:7]
	s_cbranch_execz .LBB77_19
; %bb.16:                               ;   in Loop: Header=BB77_12 Depth=2
	v_add_u32_e32 v98, 0x400, v98
	global_load_dwordx4 v[64:67], v98, s[16:17] nt
	s_and_saveexec_b64 s[26:27], s[4:5]
	s_cbranch_execz .LBB77_18
; %bb.17:                               ;   in Loop: Header=BB77_12 Depth=2
	s_waitcnt vmcnt(2)
	v_lshl_add_u64 v[68:69], s[16:17], 0, v[98:99]
	v_lshl_add_u64 v[68:69], v[68:69], 0, s[20:21]
	global_load_dwordx4 v[68:71], v[68:69], off nt
.LBB77_18:                              ;   in Loop: Header=BB77_12 Depth=2
	s_or_b64 exec, exec, s[26:27]
.LBB77_19:                              ;   in Loop: Header=BB77_12 Depth=2
	s_or_b64 exec, exec, s[8:9]
	v_cmp_lt_u32_e64 s[8:9], s30, v97
                                        ; implicit-def: $vgpr84_vgpr85
	s_and_saveexec_b64 s[26:27], s[8:9]
	s_xor_b64 s[8:9], exec, s[26:27]
	s_cbranch_execz .LBB77_21
; %bb.20:                               ;   in Loop: Header=BB77_12 Depth=2
	global_load_dwordx4 v[84:87], v97, s[10:11]
.LBB77_21:                              ;   in Loop: Header=BB77_12 Depth=2
	s_andn2_saveexec_b64 s[8:9], s[8:9]
	s_cbranch_execz .LBB77_23
; %bb.22:                               ;   in Loop: Header=BB77_12 Depth=2
	s_waitcnt vmcnt(0)
	ds_read_b128 v[84:87], v97
.LBB77_23:                              ;   in Loop: Header=BB77_12 Depth=2
	s_or_b64 exec, exec, s[8:9]
	v_add_u32_e32 v98, s34, v101
	v_cmp_lt_u32_e64 s[8:9], s30, v98
                                        ; implicit-def: $vgpr92_vgpr93
	s_and_saveexec_b64 s[26:27], s[8:9]
	s_xor_b64 s[8:9], exec, s[26:27]
	s_cbranch_execnz .LBB77_26
; %bb.24:                               ;   in Loop: Header=BB77_12 Depth=2
	s_andn2_saveexec_b64 s[8:9], s[8:9]
	s_cbranch_execnz .LBB77_27
.LBB77_25:                              ;   in Loop: Header=BB77_12 Depth=2
	s_or_b64 exec, exec, s[8:9]
	s_and_saveexec_b64 s[8:9], s[6:7]
	s_cbranch_execnz .LBB77_28
	s_branch .LBB77_37
.LBB77_26:                              ;   in Loop: Header=BB77_12 Depth=2
	global_load_dwordx4 v[92:95], v98, s[10:11]
	s_andn2_saveexec_b64 s[8:9], s[8:9]
	s_cbranch_execz .LBB77_25
.LBB77_27:                              ;   in Loop: Header=BB77_12 Depth=2
	s_waitcnt vmcnt(0)
	ds_read_b128 v[92:95], v98
	s_or_b64 exec, exec, s[8:9]
	s_and_saveexec_b64 s[8:9], s[6:7]
	s_cbranch_execz .LBB77_37
.LBB77_28:                              ;   in Loop: Header=BB77_12 Depth=2
	v_cmp_lt_u32_e64 s[6:7], s30, v105
                                        ; implicit-def: $vgpr80_vgpr81
	s_and_saveexec_b64 s[26:27], s[6:7]
	s_xor_b64 s[6:7], exec, s[26:27]
	s_cbranch_execz .LBB77_30
; %bb.29:                               ;   in Loop: Header=BB77_12 Depth=2
	global_load_dwordx4 v[80:83], v105, s[10:11]
.LBB77_30:                              ;   in Loop: Header=BB77_12 Depth=2
	s_andn2_saveexec_b64 s[6:7], s[6:7]
	s_cbranch_execz .LBB77_32
; %bb.31:                               ;   in Loop: Header=BB77_12 Depth=2
	s_waitcnt vmcnt(0)
	ds_read_b128 v[80:83], v97 offset:1024
.LBB77_32:                              ;   in Loop: Header=BB77_12 Depth=2
	s_or_b64 exec, exec, s[6:7]
	s_waitcnt vmcnt(1)
	v_add_u32_e32 v90, 0x400, v98
	v_cmp_lt_u32_e64 s[6:7], s30, v90
                                        ; implicit-def: $vgpr88_vgpr89
	s_and_saveexec_b64 s[26:27], s[6:7]
	s_xor_b64 s[6:7], exec, s[26:27]
	s_cbranch_execz .LBB77_34
; %bb.33:                               ;   in Loop: Header=BB77_12 Depth=2
	global_load_dwordx4 v[88:91], v90, s[10:11]
                                        ; implicit-def: $vgpr98
.LBB77_34:                              ;   in Loop: Header=BB77_12 Depth=2
	s_andn2_saveexec_b64 s[6:7], s[6:7]
	s_cbranch_execz .LBB77_36
; %bb.35:                               ;   in Loop: Header=BB77_12 Depth=2
	s_waitcnt vmcnt(0)
	ds_read_b128 v[88:91], v98 offset:1024
.LBB77_36:                              ;   in Loop: Header=BB77_12 Depth=2
	s_or_b64 exec, exec, s[6:7]
.LBB77_37:                              ;   in Loop: Header=BB77_12 Depth=2
	s_or_b64 exec, exec, s[8:9]
.LBB77_38:                              ;   in Loop: Header=BB77_12 Depth=2
	s_or_b64 exec, exec, s[24:25]
	s_and_saveexec_b64 s[6:7], vcc
	s_cbranch_execz .LBB77_11
; %bb.39:                               ;   in Loop: Header=BB77_12 Depth=2
	s_waitcnt vmcnt(0) lgkmcnt(0)
	v_mfma_f32_32x32x16_fp8_fp8 v[48:63], v[84:85], v[72:73], v[48:63]
	v_add_u32_e32 v97, 0x400, v97
	v_cmp_gt_u32_e32 vcc, s12, v97
	v_mfma_f32_32x32x16_fp8_fp8 v[32:47], v[84:85], v[76:77], v[32:47]
	v_mfma_f32_32x32x16_fp8_fp8 v[16:31], v[92:93], v[72:73], v[16:31]
	;; [unrolled: 1-line block ×7, first 2 shown]
	s_and_saveexec_b64 s[8:9], vcc
	s_cbranch_execz .LBB77_10
; %bb.40:                               ;   in Loop: Header=BB77_12 Depth=2
	v_mfma_f32_32x32x16_fp8_fp8 v[48:63], v[80:81], v[64:65], v[48:63]
	v_mfma_f32_32x32x16_fp8_fp8 v[32:47], v[80:81], v[68:69], v[32:47]
	;; [unrolled: 1-line block ×8, first 2 shown]
	s_branch .LBB77_10
.LBB77_41:                              ;   in Loop: Header=BB77_8 Depth=1
	v_mov_b32_e32 v63, v99
	v_mov_b32_e32 v62, v99
	;; [unrolled: 1-line block ×13, first 2 shown]
	s_waitcnt lgkmcnt(0)
	v_mov_b32_e32 v50, v99
	v_mov_b32_e32 v49, v99
	;; [unrolled: 1-line block ×51, first 2 shown]
.LBB77_42:                              ;   in Loop: Header=BB77_8 Depth=1
	;;#ASMSTART
	v_add_f32 v56, v57, v56 row_shl:1 bound_ctrl:0 
	;;#ASMEND
	;;#ASMSTART
	v_add_f32 v40, v41, v40 row_shl:1 bound_ctrl:0 
	;;#ASMEND
	;;#ASMSTART
	v_add_f32 v24, v25, v24 row_shl:1 bound_ctrl:0 
	;;#ASMEND
	;;#ASMSTART
	v_add_f32 v8, v9, v8 row_shl:1 bound_ctrl:0 
	;;#ASMEND
	;;#ASMSTART
	v_add_f32 v48, v49, v48 row_shl:1 bound_ctrl:0 
	;;#ASMEND
	;;#ASMSTART
	v_add_f32 v32, v33, v32 row_shl:1 bound_ctrl:0 
	;;#ASMEND
	s_nop 0
	;;#ASMSTART
	v_add_f32 v56, v58, v56 row_shl:2 bound_ctrl:0 
	;;#ASMEND
	;;#ASMSTART
	v_add_f32 v40, v42, v40 row_shl:2 bound_ctrl:0 
	;;#ASMEND
	;;#ASMSTART
	v_add_f32 v24, v26, v24 row_shl:2 bound_ctrl:0 
	;;#ASMEND
	;;#ASMSTART
	v_add_f32 v8, v10, v8 row_shl:2 bound_ctrl:0 
	;;#ASMEND
	;;#ASMSTART
	v_add_f32 v16, v17, v16 row_shl:1 bound_ctrl:0 
	;;#ASMEND
	;;#ASMSTART
	v_add_f32 v0, v1, v0 row_shl:1 bound_ctrl:0 
	;;#ASMEND
	s_nop 0
	;; [unrolled: 19-line block ×6, first 2 shown]
	;;#ASMSTART
	v_add_f32 v56, v63, v56 row_shl:11 bound_ctrl:0 
	;;#ASMEND
	ds_bpermute_b32 v50, v103, v56 offset:208
	;;#ASMSTART
	v_add_f32 v40, v47, v40 row_shl:11 bound_ctrl:0 
	;;#ASMEND
	ds_bpermute_b32 v34, v103, v40 offset:208
	;; [unrolled: 4-line block ×4, first 2 shown]
	;;#ASMSTART
	v_add_f32 v48, v52, v48 row_shl:8 bound_ctrl:0 
	;;#ASMEND
	;;#ASMSTART
	v_add_f32 v32, v36, v32 row_shl:8 bound_ctrl:0 
	;;#ASMEND
	;; [unrolled: 3-line block ×4, first 2 shown]
	s_waitcnt lgkmcnt(0)
	v_add_f32_e32 v50, v56, v50
	;;#ASMSTART
	v_add_f32 v48, v53, v48 row_shl:9 bound_ctrl:0 
	;;#ASMEND
	;;#ASMSTART
	v_add_f32 v32, v37, v32 row_shl:9 bound_ctrl:0 
	;;#ASMEND
	;; [unrolled: 3-line block ×4, first 2 shown]
	v_add_f32_e32 v34, v40, v34
	;;#ASMSTART
	v_add_f32 v48, v54, v48 row_shl:10 bound_ctrl:0 
	;;#ASMEND
	;;#ASMSTART
	v_add_f32 v32, v38, v32 row_shl:10 bound_ctrl:0 
	;;#ASMEND
	;; [unrolled: 3-line block ×3, first 2 shown]
	v_add_f32_e32 v18, v24, v18
	;;#ASMSTART
	v_add_f32 v0, v6, v0 row_shl:10 bound_ctrl:0 
	;;#ASMEND
	v_add_f32_e32 v2, v8, v2
	;;#ASMSTART
	v_add_f32 v48, v55, v48 row_shl:11 bound_ctrl:0 
	;;#ASMEND
	ds_bpermute_b32 v49, v103, v48 offset:144
	ds_bpermute_b32 v50, v103, v50 offset:64
	;;#ASMSTART
	v_add_f32 v32, v39, v32 row_shl:11 bound_ctrl:0 
	;;#ASMEND
	ds_bpermute_b32 v33, v103, v32 offset:144
	ds_bpermute_b32 v34, v103, v34 offset:64
	;; [unrolled: 5-line block ×4, first 2 shown]
	s_and_saveexec_b64 s[6:7], s[0:1]
	s_cbranch_execz .LBB77_7
; %bb.43:                               ;   in Loop: Header=BB77_8 Depth=1
	s_waitcnt lgkmcnt(7)
	v_add_f32_e32 v2, v48, v49
	s_waitcnt lgkmcnt(6)
	v_add_f32_e32 v2, v2, v50
	v_mul_f32_e32 v2, s15, v2
	v_mul_f32_e32 v2, s28, v2
	v_and_b32_e32 v3, 0x7f800000, v2
	v_cmp_ne_u32_e32 vcc, s31, v3
                                        ; implicit-def: $vgpr5
	s_and_saveexec_b64 s[4:5], vcc
	s_xor_b64 s[4:5], exec, s[4:5]
; %bb.44:                               ;   in Loop: Header=BB77_8 Depth=1
	v_bfe_u32 v3, v2, 16, 1
	v_add3_u32 v5, v2, v3, s33
                                        ; implicit-def: $vgpr2
; %bb.45:                               ;   in Loop: Header=BB77_8 Depth=1
	s_andn2_saveexec_b64 s[4:5], s[4:5]
; %bb.46:                               ;   in Loop: Header=BB77_8 Depth=1
	v_or_b32_e32 v3, 0x10000, v2
	v_cmp_eq_u32_sdwa vcc, v2, v99 src0_sel:WORD_0 src1_sel:DWORD
	s_nop 1
	v_cndmask_b32_e32 v5, v3, v2, vcc
; %bb.47:                               ;   in Loop: Header=BB77_8 Depth=1
	s_or_b64 exec, exec, s[4:5]
	v_mov_b32_e32 v97, v99
	v_lshl_add_u64 v[2:3], v[96:97], 1, s[18:19]
	v_cmp_gt_u32_e32 vcc, s14, v104
	global_store_short_d16_hi v[2:3], v5, off
	s_and_saveexec_b64 s[8:9], vcc
	s_cbranch_execz .LBB77_53
; %bb.48:                               ;   in Loop: Header=BB77_8 Depth=1
	s_waitcnt lgkmcnt(5)
	v_add_f32_e32 v5, v32, v33
	s_waitcnt lgkmcnt(4)
	v_add_f32_e32 v5, v5, v34
	v_mul_f32_e32 v5, s15, v5
	v_mul_f32_e32 v5, s28, v5
	v_and_b32_e32 v6, 0x7f800000, v5
	v_cmp_ne_u32_e64 s[4:5], s31, v6
                                        ; implicit-def: $vgpr6
	s_and_saveexec_b64 s[24:25], s[4:5]
	s_xor_b64 s[4:5], exec, s[24:25]
; %bb.49:                               ;   in Loop: Header=BB77_8 Depth=1
	v_bfe_u32 v6, v5, 16, 1
	v_add3_u32 v6, v5, v6, s33
                                        ; implicit-def: $vgpr5
; %bb.50:                               ;   in Loop: Header=BB77_8 Depth=1
	s_andn2_saveexec_b64 s[24:25], s[4:5]
; %bb.51:                               ;   in Loop: Header=BB77_8 Depth=1
	v_or_b32_e32 v6, 0x10000, v5
	v_cmp_eq_u32_sdwa s[4:5], v5, v99 src0_sel:WORD_0 src1_sel:DWORD
	s_nop 1
	v_cndmask_b32_e64 v6, v6, v5, s[4:5]
; %bb.52:                               ;   in Loop: Header=BB77_8 Depth=1
	s_or_b64 exec, exec, s[24:25]
	global_store_short_d16_hi v[2:3], v6, off offset:2
.LBB77_53:                              ;   in Loop: Header=BB77_8 Depth=1
	s_or_b64 exec, exec, s[8:9]
	s_waitcnt lgkmcnt(3)
	v_add_f32_e32 v2, v16, v17
	s_waitcnt lgkmcnt(2)
	v_add_f32_e32 v2, v2, v18
	v_mul_f32_e32 v2, s15, v2
	v_mul_f32_e32 v3, s28, v2
	v_and_b32_e32 v2, 0x7f800000, v3
	v_cmp_ne_u32_e64 s[4:5], s31, v2
                                        ; implicit-def: $vgpr2
	s_and_saveexec_b64 s[8:9], s[4:5]
	s_xor_b64 s[4:5], exec, s[8:9]
; %bb.54:                               ;   in Loop: Header=BB77_8 Depth=1
	v_bfe_u32 v2, v3, 16, 1
	v_add3_u32 v2, v3, v2, s33
                                        ; implicit-def: $vgpr3
; %bb.55:                               ;   in Loop: Header=BB77_8 Depth=1
	s_andn2_saveexec_b64 s[8:9], s[4:5]
; %bb.56:                               ;   in Loop: Header=BB77_8 Depth=1
	v_or_b32_e32 v2, 0x10000, v3
	v_cmp_eq_u32_sdwa s[4:5], v3, v99 src0_sel:WORD_0 src1_sel:DWORD
	s_nop 1
	v_cndmask_b32_e64 v2, v2, v3, s[4:5]
; %bb.57:                               ;   in Loop: Header=BB77_8 Depth=1
	s_or_b64 exec, exec, s[8:9]
	v_add_u32_e32 v98, s14, v96
	v_lshl_add_u64 v[6:7], v[98:99], 1, s[18:19]
	global_store_short_d16_hi v[6:7], v2, off
	s_and_b64 exec, exec, vcc
	s_cbranch_execz .LBB77_7
; %bb.58:                               ;   in Loop: Header=BB77_8 Depth=1
	s_waitcnt lgkmcnt(1)
	v_add_f32_e32 v0, v0, v1
	s_waitcnt lgkmcnt(0)
	v_add_f32_e32 v0, v0, v4
	v_mul_f32_e32 v0, s15, v0
	v_mul_f32_e32 v1, s28, v0
	v_and_b32_e32 v0, 0x7f800000, v1
	v_cmp_ne_u32_e32 vcc, s31, v0
                                        ; implicit-def: $vgpr0
	s_and_saveexec_b64 s[4:5], vcc
	s_xor_b64 s[4:5], exec, s[4:5]
; %bb.59:                               ;   in Loop: Header=BB77_8 Depth=1
	v_bfe_u32 v0, v1, 16, 1
	v_add3_u32 v0, v1, v0, s33
                                        ; implicit-def: $vgpr1
; %bb.60:                               ;   in Loop: Header=BB77_8 Depth=1
	s_andn2_saveexec_b64 s[4:5], s[4:5]
	s_cbranch_execz .LBB77_6
; %bb.61:                               ;   in Loop: Header=BB77_8 Depth=1
	v_or_b32_e32 v0, 0x10000, v1
	v_cmp_eq_u32_sdwa vcc, v1, v99 src0_sel:WORD_0 src1_sel:DWORD
	s_nop 1
	v_cndmask_b32_e32 v0, v0, v1, vcc
	s_branch .LBB77_6
.LBB77_62:
	s_endpgm
	.section	.rodata,"a",@progbits
	.p2align	6, 0x0
	.amdhsa_kernel _ZN5aiter13wvSplitKQ_hf_I14__hip_bfloat16hLi64ELi2ELi16ELi16ELi2ELi2EEEviiiPKT0_S4_PT_PKfS8_ii
		.amdhsa_group_segment_fixed_size 65536
		.amdhsa_private_segment_fixed_size 0
		.amdhsa_kernarg_size 64
		.amdhsa_user_sgpr_count 2
		.amdhsa_user_sgpr_dispatch_ptr 0
		.amdhsa_user_sgpr_queue_ptr 0
		.amdhsa_user_sgpr_kernarg_segment_ptr 1
		.amdhsa_user_sgpr_dispatch_id 0
		.amdhsa_user_sgpr_kernarg_preload_length 0
		.amdhsa_user_sgpr_kernarg_preload_offset 0
		.amdhsa_user_sgpr_private_segment_size 0
		.amdhsa_uses_dynamic_stack 0
		.amdhsa_enable_private_segment 0
		.amdhsa_system_sgpr_workgroup_id_x 1
		.amdhsa_system_sgpr_workgroup_id_y 0
		.amdhsa_system_sgpr_workgroup_id_z 0
		.amdhsa_system_sgpr_workgroup_info 0
		.amdhsa_system_vgpr_workitem_id 1
		.amdhsa_next_free_vgpr 106
		.amdhsa_next_free_sgpr 35
		.amdhsa_accum_offset 108
		.amdhsa_reserve_vcc 1
		.amdhsa_float_round_mode_32 0
		.amdhsa_float_round_mode_16_64 0
		.amdhsa_float_denorm_mode_32 3
		.amdhsa_float_denorm_mode_16_64 3
		.amdhsa_dx10_clamp 1
		.amdhsa_ieee_mode 1
		.amdhsa_fp16_overflow 0
		.amdhsa_tg_split 0
		.amdhsa_exception_fp_ieee_invalid_op 0
		.amdhsa_exception_fp_denorm_src 0
		.amdhsa_exception_fp_ieee_div_zero 0
		.amdhsa_exception_fp_ieee_overflow 0
		.amdhsa_exception_fp_ieee_underflow 0
		.amdhsa_exception_fp_ieee_inexact 0
		.amdhsa_exception_int_div_zero 0
	.end_amdhsa_kernel
	.section	.text._ZN5aiter13wvSplitKQ_hf_I14__hip_bfloat16hLi64ELi2ELi16ELi16ELi2ELi2EEEviiiPKT0_S4_PT_PKfS8_ii,"axG",@progbits,_ZN5aiter13wvSplitKQ_hf_I14__hip_bfloat16hLi64ELi2ELi16ELi16ELi2ELi2EEEviiiPKT0_S4_PT_PKfS8_ii,comdat
.Lfunc_end77:
	.size	_ZN5aiter13wvSplitKQ_hf_I14__hip_bfloat16hLi64ELi2ELi16ELi16ELi2ELi2EEEviiiPKT0_S4_PT_PKfS8_ii, .Lfunc_end77-_ZN5aiter13wvSplitKQ_hf_I14__hip_bfloat16hLi64ELi2ELi16ELi16ELi2ELi2EEEviiiPKT0_S4_PT_PKfS8_ii
                                        ; -- End function
	.section	.AMDGPU.csdata,"",@progbits
; Kernel info:
; codeLenInByte = 2616
; NumSgprs: 41
; NumVgprs: 106
; NumAgprs: 0
; TotalNumVgprs: 106
; ScratchSize: 0
; MemoryBound: 1
; FloatMode: 240
; IeeeMode: 1
; LDSByteSize: 65536 bytes/workgroup (compile time only)
; SGPRBlocks: 5
; VGPRBlocks: 13
; NumSGPRsForWavesPerEU: 41
; NumVGPRsForWavesPerEU: 106
; AccumOffset: 108
; Occupancy: 4
; WaveLimiterHint : 0
; COMPUTE_PGM_RSRC2:SCRATCH_EN: 0
; COMPUTE_PGM_RSRC2:USER_SGPR: 2
; COMPUTE_PGM_RSRC2:TRAP_HANDLER: 0
; COMPUTE_PGM_RSRC2:TGID_X_EN: 1
; COMPUTE_PGM_RSRC2:TGID_Y_EN: 0
; COMPUTE_PGM_RSRC2:TGID_Z_EN: 0
; COMPUTE_PGM_RSRC2:TIDIG_COMP_CNT: 1
; COMPUTE_PGM_RSRC3_GFX90A:ACCUM_OFFSET: 26
; COMPUTE_PGM_RSRC3_GFX90A:TG_SPLIT: 0
	.section	.text._ZN5aiter17wvSplitKQ_hf_sml_I14__hip_bfloat16hLi64ELi4ELi16ELi16ELi1ELi3EEEviiiPKT0_S4_PT_PKfS8_ii,"axG",@progbits,_ZN5aiter17wvSplitKQ_hf_sml_I14__hip_bfloat16hLi64ELi4ELi16ELi16ELi1ELi3EEEviiiPKT0_S4_PT_PKfS8_ii,comdat
	.protected	_ZN5aiter17wvSplitKQ_hf_sml_I14__hip_bfloat16hLi64ELi4ELi16ELi16ELi1ELi3EEEviiiPKT0_S4_PT_PKfS8_ii ; -- Begin function _ZN5aiter17wvSplitKQ_hf_sml_I14__hip_bfloat16hLi64ELi4ELi16ELi16ELi1ELi3EEEviiiPKT0_S4_PT_PKfS8_ii
	.globl	_ZN5aiter17wvSplitKQ_hf_sml_I14__hip_bfloat16hLi64ELi4ELi16ELi16ELi1ELi3EEEviiiPKT0_S4_PT_PKfS8_ii
	.p2align	8
	.type	_ZN5aiter17wvSplitKQ_hf_sml_I14__hip_bfloat16hLi64ELi4ELi16ELi16ELi1ELi3EEEviiiPKT0_S4_PT_PKfS8_ii,@function
_ZN5aiter17wvSplitKQ_hf_sml_I14__hip_bfloat16hLi64ELi4ELi16ELi16ELi1ELi3EEEviiiPKT0_S4_PT_PKfS8_ii: ; @_ZN5aiter17wvSplitKQ_hf_sml_I14__hip_bfloat16hLi64ELi4ELi16ELi16ELi1ELi3EEEviiiPKT0_S4_PT_PKfS8_ii
; %bb.0:
	s_load_dwordx4 s[4:7], s[0:1], 0x0
	s_load_dwordx4 s[8:11], s[0:1], 0x28
	v_bfe_u32 v1, v0, 10, 10
	v_and_b32_e32 v0, 0x3ff, v0
	v_lshlrev_b32_e32 v2, 4, v0
	s_waitcnt lgkmcnt(0)
	s_mul_i32 s3, s4, 3
	scratch_store_dword off, v2, off offset:640 ; 4-byte Folded Spill
	v_lshl_add_u32 v2, v1, 10, v2
	s_min_i32 s3, s3, 0x10000
	v_cmp_gt_u32_e32 vcc, s3, v2
	s_and_saveexec_b64 s[12:13], vcc
	s_cbranch_execz .LBB78_3
; %bb.1:
	s_load_dwordx2 s[14:15], s[0:1], 0x18
	s_mov_b64 s[16:17], 0
.LBB78_2:                               ; =>This Inner Loop Header: Depth=1
	s_waitcnt lgkmcnt(0)
	global_load_dwordx4 v[4:7], v2, s[14:15]
	s_waitcnt vmcnt(0)
	ds_write_b128 v2, v[4:7]
	v_add_u32_e32 v2, 0x4000, v2
	v_cmp_le_u32_e32 vcc, s3, v2
	s_or_b64 s[16:17], vcc, s[16:17]
	s_andn2_b64 exec, exec, s[16:17]
	s_cbranch_execnz .LBB78_2
.LBB78_3:
	s_or_b64 exec, exec, s[12:13]
	s_load_dwordx2 s[16:17], s[0:1], 0x38
	s_waitcnt lgkmcnt(0)
	s_barrier
	v_cmp_gt_u32_e32 vcc, s16, v1
	s_and_saveexec_b64 s[12:13], vcc
	s_cbranch_execz .LBB78_64
; %bb.4:
	s_mul_i32 s2, s2, s16
	v_add_u32_e32 v1, s2, v1
	v_lshlrev_b32_e32 v26, 2, v1
	v_cmp_gt_u32_e32 vcc, s6, v26
	s_and_b64 exec, exec, vcc
	s_cbranch_execz .LBB78_64
; %bb.5:
	s_load_dword s7, s[8:9], 0x0
	s_load_dword s24, s[10:11], 0x0
	s_load_dwordx2 s[12:13], s[0:1], 0x10
	s_load_dwordx2 s[14:15], s[0:1], 0x20
	scratch_load_dword v2, off, off offset:640 ; 4-byte Folded Reload
	v_cmp_eq_u32_e64 s[0:1], 0, v0
	s_cmp_lg_u32 s4, 0
	s_cselect_b64 s[2:3], -1, 0
	s_mul_i32 s18, s16, s17
	s_mov_b32 s9, 0
	s_lshl_b32 s25, s18, 2
	s_mul_i32 s18, s18, s5
	s_mov_b32 s8, s5
	s_lshl_b32 s10, s5, 1
	s_mov_b32 s11, s9
	s_mul_i32 s16, s5, 3
	s_mov_b32 s17, s9
	v_mov_b32_e32 v125, 0
	s_mov_b32 s26, 0x7f800000
	s_movk_i32 s27, 0x7fff
	s_waitcnt vmcnt(0)
	v_lshl_add_u32 v0, s4, 1, v2
	scratch_store_dword off, v0, off offset:648 ; 4-byte Folded Spill
	v_add_u32_e32 v0, s4, v2
	scratch_store_dword off, v0, off offset:652 ; 4-byte Folded Spill
	v_mul_lo_u32 v0, s5, v1
	v_lshl_add_u32 v0, v0, 2, v2
	scratch_store_dword off, v0, off offset:644 ; 4-byte Folded Spill
	v_cndmask_b32_e64 v0, 0, 1, s[2:3]
	v_cmp_ne_u32_e64 s[2:3], 1, v0
	v_mbcnt_lo_u32_b32 v0, -1, 0
	v_mbcnt_hi_u32_b32 v0, -1, v0
	v_lshlrev_b32_e32 v0, 2, v0
	s_lshl_b32 s5, s18, 2
	s_mov_b64 s[18:19], 0
	v_and_b32_e32 v126, 0x100, v0
	s_branch .LBB78_8
.LBB78_6:                               ;   in Loop: Header=BB78_8 Depth=1
	s_or_b64 exec, exec, s[22:23]
	v_add_u32_e32 v124, 3, v124
	v_lshl_add_u64 v[2:3], v[124:125], 1, s[14:15]
	global_store_short_d16_hi v[2:3], v0, off
.LBB78_7:                               ;   in Loop: Header=BB78_8 Depth=1
	s_or_b64 exec, exec, s[20:21]
	scratch_load_dword v0, off, off offset:644 ; 4-byte Folded Reload
	s_waitcnt vmcnt(1)
	v_add_u32_e32 v26, s25, v26
	v_cmp_le_u32_e32 vcc, s6, v26
	s_or_b64 s[18:19], vcc, s[18:19]
	s_waitcnt vmcnt(0)
	v_add_u32_e32 v0, s5, v0
	scratch_store_dword off, v0, off offset:644 ; 4-byte Folded Spill
	s_andn2_b64 exec, exec, s[18:19]
	s_cbranch_execz .LBB78_64
.LBB78_8:                               ; =>This Loop Header: Depth=1
                                        ;     Child Loop BB78_10 Depth 2
	v_mov_b32_e32 v15, v125
	v_mov_b32_e32 v14, v125
	s_waitcnt lgkmcnt(0)
	v_mov_b32_e32 v13, v125
	v_mov_b32_e32 v12, v125
	;; [unrolled: 1-line block ×14, first 2 shown]
	scratch_store_dwordx2 off, v[26:27], off offset:656 ; 8-byte Folded Spill
	scratch_store_dwordx4 off, v[0:3], off offset:320 ; 16-byte Folded Spill
	s_nop 0
	scratch_store_dwordx4 off, v[4:7], off offset:336 ; 16-byte Folded Spill
	scratch_store_dwordx4 off, v[8:11], off offset:352 ; 16-byte Folded Spill
	;; [unrolled: 1-line block ×3, first 2 shown]
	s_and_b64 vcc, exec, s[2:3]
	v_mov_b32_e32 v79, v125
	v_mov_b32_e32 v78, v125
	v_mov_b32_e32 v77, v125
	v_mov_b32_e32 v76, v125
	v_mov_b32_e32 v75, v125
	v_mov_b32_e32 v74, v125
	v_mov_b32_e32 v73, v125
	v_mov_b32_e32 v72, v125
	v_mov_b32_e32 v71, v125
	v_mov_b32_e32 v70, v125
	v_mov_b32_e32 v69, v125
	v_mov_b32_e32 v68, v125
	v_mov_b32_e32 v67, v125
	v_mov_b32_e32 v66, v125
	v_mov_b32_e32 v65, v125
	v_mov_b32_e32 v64, v125
	v_mov_b32_e32 v63, v125
	v_mov_b32_e32 v62, v125
	v_mov_b32_e32 v61, v125
	v_mov_b32_e32 v60, v125
	v_mov_b32_e32 v59, v125
	v_mov_b32_e32 v58, v125
	v_mov_b32_e32 v57, v125
	v_mov_b32_e32 v56, v125
	v_mov_b32_e32 v55, v125
	v_mov_b32_e32 v54, v125
	v_mov_b32_e32 v53, v125
	v_mov_b32_e32 v52, v125
	v_mov_b32_e32 v51, v125
	v_mov_b32_e32 v50, v125
	v_mov_b32_e32 v49, v125
	v_mov_b32_e32 v48, v125
	v_mov_b32_e32 v111, v125
	v_mov_b32_e32 v110, v125
	v_mov_b32_e32 v109, v125
	v_mov_b32_e32 v108, v125
	v_mov_b32_e32 v107, v125
	v_mov_b32_e32 v106, v125
	v_mov_b32_e32 v105, v125
	v_mov_b32_e32 v104, v125
	v_mov_b32_e32 v103, v125
	v_mov_b32_e32 v102, v125
	v_mov_b32_e32 v101, v125
	v_mov_b32_e32 v100, v125
	v_mov_b32_e32 v99, v125
	v_mov_b32_e32 v98, v125
	v_mov_b32_e32 v97, v125
	v_mov_b32_e32 v96, v125
	v_mov_b32_e32 v47, v125
	v_mov_b32_e32 v46, v125
	v_mov_b32_e32 v45, v125
	v_mov_b32_e32 v44, v125
	v_mov_b32_e32 v43, v125
	v_mov_b32_e32 v42, v125
	v_mov_b32_e32 v41, v125
	v_mov_b32_e32 v40, v125
	v_mov_b32_e32 v39, v125
	v_mov_b32_e32 v38, v125
	v_mov_b32_e32 v37, v125
	scratch_store_dwordx4 off, v[0:3], off offset:256 ; 16-byte Folded Spill
	s_nop 0
	scratch_store_dwordx4 off, v[4:7], off offset:272 ; 16-byte Folded Spill
	scratch_store_dwordx4 off, v[8:11], off offset:288 ; 16-byte Folded Spill
	;; [unrolled: 1-line block ×4, first 2 shown]
	s_nop 0
	scratch_store_dwordx4 off, v[4:7], off offset:208 ; 16-byte Folded Spill
	scratch_store_dwordx4 off, v[8:11], off offset:224 ; 16-byte Folded Spill
	;; [unrolled: 1-line block ×3, first 2 shown]
	v_mov_b32_e32 v36, v125
	v_mov_b32_e32 v35, v125
	;; [unrolled: 1-line block ×37, first 2 shown]
	scratch_store_dwordx4 off, v[0:3], off offset:128 ; 16-byte Folded Spill
	s_nop 0
	scratch_store_dwordx4 off, v[4:7], off offset:144 ; 16-byte Folded Spill
	scratch_store_dwordx4 off, v[8:11], off offset:160 ; 16-byte Folded Spill
	;; [unrolled: 1-line block ×4, first 2 shown]
	s_nop 0
	scratch_store_dwordx4 off, v[4:7], off offset:80 ; 16-byte Folded Spill
	scratch_store_dwordx4 off, v[8:11], off offset:96 ; 16-byte Folded Spill
	;; [unrolled: 1-line block ×3, first 2 shown]
	s_cbranch_vccnz .LBB78_15
; %bb.9:                                ;   in Loop: Header=BB78_8 Depth=1
	v_mov_b32_e32 v0, 0
	s_mov_b32 s22, 0
	v_mov_b32_e32 v1, v0
	v_mov_b32_e32 v2, v0
	;; [unrolled: 1-line block ×79, first 2 shown]
	scratch_store_dwordx4 off, v[16:19], off ; 16-byte Folded Spill
	s_nop 0
	scratch_store_dwordx4 off, v[20:23], off offset:16 ; 16-byte Folded Spill
	scratch_store_dwordx4 off, v[24:27], off offset:32 ; 16-byte Folded Spill
	scratch_store_dwordx4 off, v[28:31], off offset:48 ; 16-byte Folded Spill
	scratch_store_dwordx4 off, v[16:19], off offset:64 ; 16-byte Folded Spill
	s_nop 0
	scratch_store_dwordx4 off, v[20:23], off offset:80 ; 16-byte Folded Spill
	scratch_store_dwordx4 off, v[24:27], off offset:96 ; 16-byte Folded Spill
	scratch_store_dwordx4 off, v[28:31], off offset:112 ; 16-byte Folded Spill
	scratch_store_dwordx4 off, v[16:19], off offset:128 ; 16-byte Folded Spill
	;; [unrolled: 5-line block ×6, first 2 shown]
	s_nop 0
	scratch_store_dwordx4 off, v[52:55], off offset:336 ; 16-byte Folded Spill
	scratch_store_dwordx4 off, v[56:59], off offset:352 ; 16-byte Folded Spill
	;; [unrolled: 1-line block ×3, first 2 shown]
.LBB78_10:                              ;   Parent Loop BB78_8 Depth=1
                                        ; =>  This Inner Loop Header: Depth=2
	s_nop 3
	scratch_store_dwordx4 off, v[32:35], off offset:512 ; 16-byte Folded Spill
	s_nop 0
	scratch_store_dwordx4 off, v[36:39], off offset:528 ; 16-byte Folded Spill
	scratch_store_dwordx4 off, v[40:43], off offset:544 ; 16-byte Folded Spill
	;; [unrolled: 1-line block ×4, first 2 shown]
	s_nop 0
	scratch_store_dwordx4 off, v[20:23], off offset:400 ; 16-byte Folded Spill
	scratch_store_dwordx4 off, v[24:27], off offset:416 ; 16-byte Folded Spill
	;; [unrolled: 1-line block ×3, first 2 shown]
	scratch_load_dword v80, off, off offset:640 ; 4-byte Folded Reload
	v_mov_b64_e32 v[104:105], 0
	v_mov_b64_e32 v[106:107], v[104:105]
	v_mov_b64_e32 v[84:85], v[104:105]
	v_mov_b64_e32 v[86:87], v[104:105]
	v_mov_b64_e32 v[100:101], v[104:105]
	v_mov_b64_e32 v[102:103], v[104:105]
	v_mov_b64_e32 v[82:83], v[104:105]
	v_mov_b64_e32 v[88:89], v[104:105]
	v_mov_b64_e32 v[90:91], v[104:105]
	v_mov_b64_e32 v[96:97], v[104:105]
	v_mov_b64_e32 v[98:99], v[104:105]
	v_mov_b64_e32 v[92:93], v[104:105]
	v_mov_b64_e32 v[94:95], v[104:105]
	s_waitcnt vmcnt(0)
	v_add_u32_e32 v109, s22, v80
	v_cmp_gt_u32_e32 vcc, s4, v109
	v_mov_b64_e32 v[80:81], v[104:105]
	s_and_saveexec_b64 s[20:21], vcc
	s_cbranch_execz .LBB78_12
; %bb.11:                               ;   in Loop: Header=BB78_10 Depth=2
	scratch_load_dword v80, off, off offset:644 ; 4-byte Folded Reload
	s_waitcnt vmcnt(0)
	v_add_u32_e32 v124, s22, v80
	s_waitcnt lgkmcnt(0)
	v_lshl_add_u64 v[80:81], s[12:13], 0, v[124:125]
	v_lshl_add_u64 v[82:83], v[80:81], 0, s[8:9]
	;; [unrolled: 1-line block ×3, first 2 shown]
	global_load_dwordx4 v[92:95], v124, s[12:13] nt
	global_load_dwordx4 v[96:99], v[82:83], off nt
	global_load_dwordx4 v[88:91], v[84:85], off nt
	v_lshl_add_u64 v[80:81], v[80:81], 0, s[16:17]
	scratch_load_dword v84, off, off offset:652 ; 4-byte Folded Reload
	scratch_load_dword v85, off, off offset:648 ; 4-byte Folded Reload
	ds_read_b128 v[100:103], v109
	global_load_dwordx4 v[80:83], v[80:81], off nt
	s_waitcnt vmcnt(2)
	v_add_u32_e32 v84, s22, v84
	s_waitcnt vmcnt(1)
	v_add_u32_e32 v104, s22, v85
	ds_read_b128 v[84:87], v84
	ds_read_b128 v[104:107], v104
.LBB78_12:                              ;   in Loop: Header=BB78_10 Depth=2
	s_or_b64 exec, exec, s[20:21]
	scratch_load_dwordx4 v[32:35], off, off offset:128 ; 16-byte Folded Reload
	scratch_load_dwordx4 v[36:39], off, off offset:144 ; 16-byte Folded Reload
	;; [unrolled: 1-line block ×8, first 2 shown]
	scratch_load_dwordx4 v[108:111], off, off ; 16-byte Folded Reload
	scratch_load_dwordx4 v[112:115], off, off offset:16 ; 16-byte Folded Reload
	scratch_load_dwordx4 v[116:119], off, off offset:32 ; 16-byte Folded Reload
	;; [unrolled: 1-line block ×3, first 2 shown]
	s_waitcnt lgkmcnt(0)
	v_mfma_f32_32x32x16_fp8_fp8 v[48:63], v[100:101], v[96:97], v[48:63]
	s_addk_i32 s22, 0x400
	s_cmp_ge_u32 s22, s4
	v_mfma_f32_32x32x16_fp8_fp8 v[48:63], v[102:103], v[98:99], v[48:63]
	s_waitcnt vmcnt(12)
	v_mfma_f32_32x32x16_fp8_fp8 v[0:15], v[104:105], v[80:81], v[0:15]
	v_mfma_f32_32x32x16_fp8_fp8 v[64:79], v[100:101], v[92:93], v[64:79]
	;; [unrolled: 1-line block ×4, first 2 shown]
	s_waitcnt vmcnt(8)
	v_mfma_f32_32x32x16_fp8_fp8 v[32:47], v[104:105], v[92:93], v[32:47]
	s_waitcnt vmcnt(4)
	v_mfma_f32_32x32x16_fp8_fp8 v[16:31], v[104:105], v[96:97], v[16:31]
	;; [unrolled: 2-line block ×3, first 2 shown]
	v_mfma_f32_32x32x16_fp8_fp8 v[32:47], v[106:107], v[94:95], v[32:47]
	s_nop 7
	s_nop 2
	scratch_store_dwordx4 off, v[32:35], off offset:128 ; 16-byte Folded Spill
	s_nop 0
	scratch_store_dwordx4 off, v[36:39], off offset:144 ; 16-byte Folded Spill
	scratch_store_dwordx4 off, v[40:43], off offset:160 ; 16-byte Folded Spill
	;; [unrolled: 1-line block ×3, first 2 shown]
	v_mfma_f32_32x32x16_fp8_fp8 v[16:31], v[106:107], v[98:99], v[16:31]
	s_nop 7
	s_nop 2
	scratch_store_dwordx4 off, v[16:19], off offset:64 ; 16-byte Folded Spill
	s_nop 0
	scratch_store_dwordx4 off, v[20:23], off offset:80 ; 16-byte Folded Spill
	scratch_store_dwordx4 off, v[24:27], off offset:96 ; 16-byte Folded Spill
	;; [unrolled: 1-line block ×3, first 2 shown]
	v_mfma_f32_32x32x16_fp8_fp8 v[108:123], v[106:107], v[90:91], v[108:123]
	s_nop 7
	s_nop 2
	scratch_store_dwordx4 off, v[108:111], off ; 16-byte Folded Spill
	s_nop 0
	scratch_store_dwordx4 off, v[112:115], off offset:16 ; 16-byte Folded Spill
	scratch_store_dwordx4 off, v[116:119], off offset:32 ; 16-byte Folded Spill
	;; [unrolled: 1-line block ×3, first 2 shown]
	scratch_load_dwordx4 v[32:35], off, off offset:320 ; 16-byte Folded Reload
	scratch_load_dwordx4 v[36:39], off, off offset:336 ; 16-byte Folded Reload
	;; [unrolled: 1-line block ×8, first 2 shown]
	s_nop 0
	scratch_store_dwordx4 off, v[48:51], off offset:576 ; 16-byte Folded Spill
	s_nop 0
	scratch_store_dwordx4 off, v[52:55], off offset:592 ; 16-byte Folded Spill
	scratch_store_dwordx4 off, v[56:59], off offset:608 ; 16-byte Folded Spill
	;; [unrolled: 1-line block ×3, first 2 shown]
	s_waitcnt vmcnt(8)
	v_mfma_f32_32x32x16_fp8_fp8 v[32:47], v[100:101], v[88:89], v[32:47]
	s_waitcnt vmcnt(4)
	v_mfma_f32_32x32x16_fp8_fp8 v[16:31], v[100:101], v[80:81], v[16:31]
	v_mfma_f32_32x32x16_fp8_fp8 v[32:47], v[102:103], v[90:91], v[32:47]
	s_nop 7
	s_nop 2
	scratch_store_dwordx4 off, v[32:35], off offset:320 ; 16-byte Folded Spill
	s_nop 0
	scratch_store_dwordx4 off, v[36:39], off offset:336 ; 16-byte Folded Spill
	scratch_store_dwordx4 off, v[40:43], off offset:352 ; 16-byte Folded Spill
	;; [unrolled: 1-line block ×3, first 2 shown]
	v_mfma_f32_32x32x16_fp8_fp8 v[16:31], v[102:103], v[82:83], v[16:31]
	s_nop 7
	s_nop 2
	scratch_store_dwordx4 off, v[16:19], off offset:448 ; 16-byte Folded Spill
	s_nop 0
	scratch_store_dwordx4 off, v[20:23], off offset:464 ; 16-byte Folded Spill
	scratch_store_dwordx4 off, v[24:27], off offset:480 ; 16-byte Folded Spill
	;; [unrolled: 1-line block ×3, first 2 shown]
	scratch_load_dwordx4 v[48:51], off, off offset:256 ; 16-byte Folded Reload
	scratch_load_dwordx4 v[52:55], off, off offset:272 ; 16-byte Folded Reload
	;; [unrolled: 1-line block ×16, first 2 shown]
	s_waitcnt vmcnt(12)
	v_mfma_f32_32x32x16_fp8_fp8 v[48:63], v[84:85], v[92:93], v[48:63]
	s_waitcnt vmcnt(8)
	v_mfma_f32_32x32x16_fp8_fp8 v[100:115], v[84:85], v[96:97], v[100:115]
	;; [unrolled: 2-line block ×4, first 2 shown]
	v_mfma_f32_32x32x16_fp8_fp8 v[48:63], v[86:87], v[94:95], v[48:63]
	s_nop 7
	s_nop 2
	scratch_store_dwordx4 off, v[48:51], off offset:256 ; 16-byte Folded Spill
	s_nop 0
	scratch_store_dwordx4 off, v[52:55], off offset:272 ; 16-byte Folded Spill
	scratch_store_dwordx4 off, v[56:59], off offset:288 ; 16-byte Folded Spill
	;; [unrolled: 1-line block ×3, first 2 shown]
	v_mfma_f32_32x32x16_fp8_fp8 v[100:115], v[86:87], v[98:99], v[100:115]
	s_nop 7
	s_nop 2
	scratch_store_dwordx4 off, v[100:103], off offset:192 ; 16-byte Folded Spill
	s_nop 0
	scratch_store_dwordx4 off, v[104:107], off offset:208 ; 16-byte Folded Spill
	scratch_store_dwordx4 off, v[108:111], off offset:224 ; 16-byte Folded Spill
	;; [unrolled: 1-line block ×3, first 2 shown]
	v_mfma_f32_32x32x16_fp8_fp8 v[32:47], v[86:87], v[90:91], v[32:47]
	v_mfma_f32_32x32x16_fp8_fp8 v[16:31], v[86:87], v[82:83], v[16:31]
	s_cbranch_scc1 .LBB78_14
; %bb.13:                               ;   in Loop: Header=BB78_10 Depth=2
	scratch_load_dwordx4 v[48:51], off, off offset:576 ; 16-byte Folded Reload
	scratch_load_dwordx4 v[52:55], off, off offset:592 ; 16-byte Folded Reload
	;; [unrolled: 1-line block ×4, first 2 shown]
	s_branch .LBB78_10
.LBB78_14:                              ;   in Loop: Header=BB78_8 Depth=1
	scratch_load_dwordx4 v[80:83], off, off ; 16-byte Folded Reload
	scratch_load_dwordx4 v[84:87], off, off offset:16 ; 16-byte Folded Reload
	scratch_load_dwordx4 v[88:91], off, off offset:32 ; 16-byte Folded Reload
	;; [unrolled: 1-line block ×11, first 2 shown]
.LBB78_15:                              ;   in Loop: Header=BB78_8 Depth=1
	s_waitcnt vmcnt(8)
	scratch_store_dwordx4 off, v[80:83], off ; 16-byte Folded Spill
	s_nop 0
	scratch_store_dwordx4 off, v[84:87], off offset:16 ; 16-byte Folded Spill
	scratch_store_dwordx4 off, v[88:91], off offset:32 ; 16-byte Folded Spill
	;; [unrolled: 1-line block ×4, first 2 shown]
	s_nop 0
	scratch_store_dwordx4 off, v[20:23], off offset:400 ; 16-byte Folded Spill
	scratch_store_dwordx4 off, v[24:27], off offset:416 ; 16-byte Folded Spill
	;; [unrolled: 1-line block ×3, first 2 shown]
	v_mov_b64_e32 v[94:95], v[46:47]
	v_mov_b64_e32 v[92:93], v[44:45]
	;; [unrolled: 1-line block ×8, first 2 shown]
	scratch_load_dwordx4 v[24:27], off, off offset:320 ; 16-byte Folded Reload
	scratch_load_dwordx4 v[28:31], off, off offset:336 ; 16-byte Folded Reload
	;; [unrolled: 1-line block ×4, first 2 shown]
	s_waitcnt vmcnt(17)
	;;#ASMSTART
	v_add_f32 v104, v105, v104 row_shl:1 bound_ctrl:0 
	;;#ASMEND
	;;#ASMSTART
	v_add_f32 v96, v97, v96 row_shl:1 bound_ctrl:0 
	;;#ASMEND
	;; [unrolled: 3-line block ×5, first 2 shown]
	s_waitcnt vmcnt(13)
	;;#ASMSTART
	v_add_f32 v56, v57, v56 row_shl:1 bound_ctrl:0 
	;;#ASMEND
	;;#ASMSTART
	v_add_f32 v104, v106, v104 row_shl:2 bound_ctrl:0 
	;;#ASMEND
	;; [unrolled: 3-line block ×7, first 2 shown]
	s_nop 0
	;;#ASMSTART
	v_add_f32 v104, v107, v104 row_shl:3 bound_ctrl:0 
	;;#ASMEND
	;;#ASMSTART
	v_add_f32 v96, v99, v96 row_shl:3 bound_ctrl:0 
	;;#ASMEND
	;;#ASMSTART
	v_add_f32 v72, v75, v72 row_shl:3 bound_ctrl:0 
	;;#ASMEND
	;;#ASMSTART
	v_add_f32 v80, v83, v80 row_shl:3 bound_ctrl:0 
	;;#ASMEND
	;;#ASMSTART
	v_add_f32 v64, v67, v64 row_shl:3 bound_ctrl:0 
	;;#ASMEND
	;;#ASMSTART
	v_add_f32 v8, v9, v8 row_shl:1 bound_ctrl:0 
	;;#ASMEND
	s_nop 0
	;;#ASMSTART
	v_add_f32 v104, v108, v104 row_shl:8 bound_ctrl:0 
	;;#ASMEND
	;;#ASMSTART
	v_add_f32 v96, v100, v96 row_shl:8 bound_ctrl:0 
	;;#ASMEND
	;;#ASMSTART
	v_add_f32 v72, v76, v72 row_shl:8 bound_ctrl:0 
	;;#ASMEND
	;;#ASMSTART
	v_add_f32 v80, v84, v80 row_shl:8 bound_ctrl:0 
	;;#ASMEND
	;;#ASMSTART
	v_add_f32 v64, v68, v64 row_shl:8 bound_ctrl:0 
	;;#ASMEND
	;;#ASMSTART
	v_add_f32 v56, v58, v56 row_shl:2 bound_ctrl:0 
	;;#ASMEND
	;; [unrolled: 19-line block ×4, first 2 shown]
	s_nop 0
	;;#ASMSTART
	v_add_f32 v104, v111, v104 row_shl:11 bound_ctrl:0 
	;;#ASMEND
	ds_bpermute_b32 v17, v126, v104 offset:208
	;;#ASMSTART
	v_add_f32 v96, v103, v96 row_shl:11 bound_ctrl:0 
	;;#ASMEND
	;;#ASMSTART
	v_add_f32 v72, v79, v72 row_shl:11 bound_ctrl:0 
	;;#ASMEND
	ds_bpermute_b32 v65, v126, v72 offset:208
	v_mov_b32_e32 v44, v96
	s_waitcnt lgkmcnt(0)
	v_add_f32_e32 v17, v104, v17
	scratch_load_dwordx4 v[96:99], off, off offset:256 ; 16-byte Folded Reload
	scratch_load_dwordx4 v[100:103], off, off offset:272 ; 16-byte Folded Reload
	;; [unrolled: 1-line block ×4, first 2 shown]
	;;#ASMSTART
	v_add_f32 v80, v87, v80 row_shl:11 bound_ctrl:0 
	;;#ASMEND
	;;#ASMSTART
	v_add_f32 v64, v71, v64 row_shl:11 bound_ctrl:0 
	;;#ASMEND
	v_add_f32_e32 v65, v72, v65
	;;#ASMSTART
	v_add_f32 v56, v59, v56 row_shl:3 bound_ctrl:0 
	;;#ASMEND
	;;#ASMSTART
	v_add_f32 v88, v91, v88 row_shl:3 bound_ctrl:0 
	;;#ASMEND
	;; [unrolled: 3-line block ×5, first 2 shown]
	ds_bpermute_b32 v65, v126, v65 offset:64
	s_waitcnt vmcnt(16)
	;;#ASMSTART
	v_add_f32 v56, v60, v56 row_shl:8 bound_ctrl:0 
	;;#ASMEND
	;;#ASMSTART
	v_add_f32 v88, v92, v88 row_shl:8 bound_ctrl:0 
	;;#ASMEND
	;;#ASMSTART
	v_add_f32 v8, v12, v8 row_shl:8 bound_ctrl:0 
	;;#ASMEND
	;;#ASMSTART
	v_add_f32 v48, v50, v48 row_shl:2 bound_ctrl:0 
	;;#ASMEND
	;;#ASMSTART
	v_add_f32 v0, v2, v0 row_shl:2 bound_ctrl:0 
	;;#ASMEND
	ds_bpermute_b32 v17, v126, v17 offset:64
	;;#ASMSTART
	v_add_f32 v56, v61, v56 row_shl:9 bound_ctrl:0 
	;;#ASMEND
	;;#ASMSTART
	v_add_f32 v88, v93, v88 row_shl:9 bound_ctrl:0 
	;;#ASMEND
	;;#ASMSTART
	v_add_f32 v8, v13, v8 row_shl:9 bound_ctrl:0 
	;;#ASMEND
	;;#ASMSTART
	v_add_f32 v48, v51, v48 row_shl:3 bound_ctrl:0 
	;;#ASMEND
	;;#ASMSTART
	v_add_f32 v0, v3, v0 row_shl:3 bound_ctrl:0 
	;;#ASMEND
	ds_bpermute_b32 v3, v126, v64 offset:144
	;; [unrolled: 16-line block ×3, first 2 shown]
	;;#ASMSTART
	v_add_f32 v56, v63, v56 row_shl:11 bound_ctrl:0 
	;;#ASMEND
	s_waitcnt vmcnt(5)
	;;#ASMSTART
	v_add_f32 v32, v33, v32 row_shl:1 bound_ctrl:0 
	;;#ASMEND
	s_nop 0
	;;#ASMSTART
	v_add_f32 v32, v34, v32 row_shl:2 bound_ctrl:0 
	;;#ASMEND
	;;#ASMSTART
	v_add_f32 v24, v25, v24 row_shl:1 bound_ctrl:0 
	;;#ASMEND
	s_waitcnt vmcnt(1)
	;;#ASMSTART
	v_add_f32 v104, v105, v104 row_shl:1 bound_ctrl:0 
	;;#ASMEND
	;;#ASMSTART
	v_add_f32 v32, v35, v32 row_shl:3 bound_ctrl:0 
	;;#ASMEND
	;; [unrolled: 3-line block ×3, first 2 shown]
	s_nop 0
	;;#ASMSTART
	v_add_f32 v104, v106, v104 row_shl:2 bound_ctrl:0 
	;;#ASMEND
	;;#ASMSTART
	v_add_f32 v96, v97, v96 row_shl:1 bound_ctrl:0 
	;;#ASMEND
	ds_bpermute_b32 v49, v126, v56 offset:208
	;;#ASMSTART
	v_add_f32 v32, v36, v32 row_shl:8 bound_ctrl:0 
	;;#ASMEND
	;;#ASMSTART
	v_add_f32 v24, v27, v24 row_shl:3 bound_ctrl:0 
	;;#ASMEND
	;; [unrolled: 3-line block ×5, first 2 shown]
	ds_bpermute_b32 v20, v126, v88 offset:208
	;;#ASMSTART
	v_add_f32 v32, v37, v32 row_shl:9 bound_ctrl:0 
	;;#ASMEND
	;;#ASMSTART
	v_add_f32 v24, v28, v24 row_shl:8 bound_ctrl:0 
	;;#ASMEND
	s_waitcnt vmcnt(0)
	;;#ASMSTART
	v_add_f32 v104, v108, v104 row_shl:8 bound_ctrl:0 
	;;#ASMEND
	;;#ASMSTART
	v_add_f32 v96, v99, v96 row_shl:3 bound_ctrl:0 
	;;#ASMEND
	;; [unrolled: 3-line block ×3, first 2 shown]
	ds_bpermute_b32 v1, v126, v8 offset:208
	;;#ASMSTART
	v_add_f32 v32, v38, v32 row_shl:10 bound_ctrl:0 
	;;#ASMEND
	;;#ASMSTART
	v_add_f32 v24, v29, v24 row_shl:9 bound_ctrl:0 
	;;#ASMEND
	;; [unrolled: 3-line block ×6, first 2 shown]
	s_nop 0
	;;#ASMSTART
	v_add_f32 v32, v39, v32 row_shl:11 bound_ctrl:0 
	;;#ASMEND
	ds_bpermute_b32 v33, v126, v32 offset:208
	;;#ASMSTART
	v_add_f32 v24, v30, v24 row_shl:10 bound_ctrl:0 
	;;#ASMEND
	;;#ASMSTART
	v_add_f32 v104, v110, v104 row_shl:10 bound_ctrl:0 
	;;#ASMEND
	;; [unrolled: 3-line block ×4, first 2 shown]
	s_waitcnt lgkmcnt(0)
	v_add_f32_e32 v33, v32, v33
	;;#ASMSTART
	v_add_f32 v24, v31, v24 row_shl:11 bound_ctrl:0 
	;;#ASMEND
	ds_bpermute_b32 v25, v126, v33 offset:64
	scratch_load_dwordx4 v[26:29], off, off offset:192 ; 16-byte Folded Reload
	scratch_load_dwordx4 v[30:33], off, off offset:208 ; 16-byte Folded Reload
	;; [unrolled: 1-line block ×4, first 2 shown]
	;;#ASMSTART
	v_add_f32 v104, v111, v104 row_shl:11 bound_ctrl:0 
	;;#ASMEND
	ds_bpermute_b32 v18, v126, v104 offset:208
	;;#ASMSTART
	v_add_f32 v96, v102, v96 row_shl:10 bound_ctrl:0 
	;;#ASMEND
	v_add_f32_e32 v49, v56, v49
	;;#ASMSTART
	v_add_f32 v96, v103, v96 row_shl:11 bound_ctrl:0 
	;;#ASMEND
	v_add_f32_e32 v20, v88, v20
	s_waitcnt lgkmcnt(0)
	v_add_f32_e32 v18, v104, v18
	s_waitcnt vmcnt(1)
	;;#ASMSTART
	v_add_f32 v34, v35, v34 row_shl:1 bound_ctrl:0 
	;;#ASMEND
	s_nop 0
	;;#ASMSTART
	v_add_f32 v34, v36, v34 row_shl:2 bound_ctrl:0 
	;;#ASMEND
	;;#ASMSTART
	v_add_f32 v26, v27, v26 row_shl:1 bound_ctrl:0 
	;;#ASMEND
	;; [unrolled: 3-line block ×3, first 2 shown]
	v_add_f32_e32 v1, v8, v1
	;;#ASMSTART
	v_add_f32 v34, v37, v34 row_shl:3 bound_ctrl:0 
	;;#ASMEND
	;;#ASMSTART
	v_add_f32 v26, v28, v26 row_shl:2 bound_ctrl:0 
	;;#ASMEND
	;; [unrolled: 3-line block ×3, first 2 shown]
	ds_bpermute_b32 v49, v126, v49 offset:64
	s_waitcnt vmcnt(0)
	;;#ASMSTART
	v_add_f32 v34, v38, v34 row_shl:8 bound_ctrl:0 
	;;#ASMEND
	;;#ASMSTART
	v_add_f32 v26, v29, v26 row_shl:3 bound_ctrl:0 
	;;#ASMEND
	ds_bpermute_b32 v18, v126, v18 offset:64
	;;#ASMSTART
	v_add_f32 v34, v39, v34 row_shl:9 bound_ctrl:0 
	;;#ASMEND
	;;#ASMSTART
	v_add_f32 v26, v30, v26 row_shl:8 bound_ctrl:0 
	;;#ASMEND
	ds_bpermute_b32 v20, v126, v20 offset:64
	;;#ASMSTART
	v_add_f32 v34, v40, v34 row_shl:10 bound_ctrl:0 
	;;#ASMEND
	;;#ASMSTART
	v_add_f32 v26, v31, v26 row_shl:9 bound_ctrl:0 
	;;#ASMEND
	;; [unrolled: 3-line block ×3, first 2 shown]
	ds_bpermute_b32 v1, v126, v1 offset:64
	;;#ASMSTART
	v_add_f32 v34, v41, v34 row_shl:11 bound_ctrl:0 
	;;#ASMEND
	ds_bpermute_b32 v19, v126, v34 offset:208
	;;#ASMSTART
	v_add_f32 v26, v32, v26 row_shl:10 bound_ctrl:0 
	;;#ASMEND
	;; [unrolled: 4-line block ×3, first 2 shown]
	ds_bpermute_b32 v11, v126, v96 offset:144
	s_waitcnt lgkmcnt(2)
	v_add_f32_e32 v19, v34, v19
	scratch_load_dwordx4 v[28:31], off, off offset:384 ; 16-byte Folded Reload
	scratch_load_dwordx4 v[32:35], off, off offset:400 ; 16-byte Folded Reload
	scratch_load_dwordx4 v[36:39], off, off offset:416 ; 16-byte Folded Reload
	scratch_load_dwordx4 v[40:43], off, off offset:432 ; 16-byte Folded Reload
	s_waitcnt vmcnt(3)
	;;#ASMSTART
	v_add_f32 v28, v29, v28 row_shl:1 bound_ctrl:0 
	;;#ASMEND
	s_nop 0
	;;#ASMSTART
	v_add_f32 v28, v30, v28 row_shl:2 bound_ctrl:0 
	;;#ASMEND
	s_waitcnt vmcnt(1)
	;;#ASMSTART
	v_add_f32 v36, v37, v36 row_shl:1 bound_ctrl:0 
	;;#ASMEND
	ds_bpermute_b32 v19, v126, v19 offset:64
	;;#ASMSTART
	v_add_f32 v28, v31, v28 row_shl:3 bound_ctrl:0 
	;;#ASMEND
	;;#ASMSTART
	v_add_f32 v36, v38, v36 row_shl:2 bound_ctrl:0 
	;;#ASMEND
	ds_bpermute_b32 v10, v126, v26 offset:144
	;;#ASMSTART
	v_add_f32 v28, v32, v28 row_shl:8 bound_ctrl:0 
	;;#ASMEND
	v_mov_b32_e32 v32, v80
	scratch_load_dwordx4 v[66:69], off, off offset:128 ; 16-byte Folded Reload
	scratch_load_dwordx4 v[70:73], off, off offset:144 ; 16-byte Folded Reload
	;; [unrolled: 1-line block ×4, first 2 shown]
	s_waitcnt vmcnt(1)
	;;#ASMSTART
	v_add_f32 v74, v75, v74 row_shl:1 bound_ctrl:0 
	;;#ASMEND
	s_nop 0
	;;#ASMSTART
	v_add_f32 v74, v76, v74 row_shl:2 bound_ctrl:0 
	;;#ASMEND
	;;#ASMSTART
	v_add_f32 v66, v67, v66 row_shl:1 bound_ctrl:0 
	;;#ASMEND
	scratch_load_dwordx4 v[98:101], off, off offset:64 ; 16-byte Folded Reload
	scratch_load_dwordx4 v[102:105], off, off offset:80 ; 16-byte Folded Reload
	;; [unrolled: 1-line block ×4, first 2 shown]
	;;#ASMSTART
	v_add_f32 v74, v77, v74 row_shl:3 bound_ctrl:0 
	;;#ASMEND
	;;#ASMSTART
	v_add_f32 v66, v68, v66 row_shl:2 bound_ctrl:0 
	;;#ASMEND
	;; [unrolled: 3-line block ×3, first 2 shown]
	s_waitcnt vmcnt(1)
	;;#ASMSTART
	v_add_f32 v106, v107, v106 row_shl:1 bound_ctrl:0 
	;;#ASMEND
	;;#ASMSTART
	v_add_f32 v74, v78, v74 row_shl:8 bound_ctrl:0 
	;;#ASMEND
	;; [unrolled: 3-line block ×4, first 2 shown]
	s_nop 0
	;;#ASMSTART
	v_add_f32 v106, v108, v106 row_shl:2 bound_ctrl:0 
	;;#ASMEND
	;;#ASMSTART
	v_add_f32 v98, v99, v98 row_shl:1 bound_ctrl:0 
	;;#ASMEND
	;;#ASMSTART
	v_add_f32 v28, v33, v28 row_shl:9 bound_ctrl:0 
	;;#ASMEND
	;;#ASMSTART
	v_add_f32 v74, v79, v74 row_shl:9 bound_ctrl:0 
	;;#ASMEND
	;;#ASMSTART
	v_add_f32 v66, v70, v66 row_shl:8 bound_ctrl:0 
	;;#ASMEND
	;;#ASMSTART
	v_add_f32 v36, v41, v36 row_shl:9 bound_ctrl:0 
	;;#ASMEND
	s_nop 0
	;;#ASMSTART
	v_add_f32 v106, v109, v106 row_shl:3 bound_ctrl:0 
	;;#ASMEND
	;;#ASMSTART
	v_add_f32 v98, v100, v98 row_shl:2 bound_ctrl:0 
	;;#ASMEND
	;;#ASMSTART
	v_add_f32 v28, v34, v28 row_shl:10 bound_ctrl:0 
	;;#ASMEND
	;;#ASMSTART
	v_add_f32 v74, v80, v74 row_shl:10 bound_ctrl:0 
	;;#ASMEND
	;;#ASMSTART
	v_add_f32 v66, v71, v66 row_shl:9 bound_ctrl:0 
	;;#ASMEND
	;;#ASMSTART
	v_add_f32 v36, v42, v36 row_shl:10 bound_ctrl:0 
	;;#ASMEND
	s_waitcnt vmcnt(0)
	;;#ASMSTART
	v_add_f32 v106, v110, v106 row_shl:8 bound_ctrl:0 
	;;#ASMEND
	;;#ASMSTART
	v_add_f32 v98, v101, v98 row_shl:3 bound_ctrl:0 
	;;#ASMEND
	;; [unrolled: 3-line block ×4, first 2 shown]
	ds_bpermute_b32 v22, v126, v74 offset:208
	;;#ASMSTART
	v_add_f32 v66, v72, v66 row_shl:10 bound_ctrl:0 
	;;#ASMEND
	;;#ASMSTART
	v_add_f32 v36, v43, v36 row_shl:11 bound_ctrl:0 
	;;#ASMEND
	ds_bpermute_b32 v21, v126, v36 offset:208
	;;#ASMSTART
	v_add_f32 v66, v73, v66 row_shl:11 bound_ctrl:0 
	;;#ASMEND
	s_waitcnt lgkmcnt(1)
	v_add_f32_e32 v22, v74, v22
	v_mov_b32_e32 v16, v66
	scratch_load_dwordx4 v[66:69], off, off ; 16-byte Folded Reload
	scratch_load_dwordx4 v[70:73], off, off offset:16 ; 16-byte Folded Reload
	scratch_load_dwordx4 v[74:77], off, off offset:32 ; 16-byte Folded Reload
	;; [unrolled: 1-line block ×3, first 2 shown]
	s_waitcnt vmcnt(1)
	;;#ASMSTART
	v_add_f32 v74, v75, v74 row_shl:1 bound_ctrl:0 
	;;#ASMEND
	s_nop 0
	;;#ASMSTART
	v_add_f32 v74, v76, v74 row_shl:2 bound_ctrl:0 
	;;#ASMEND
	;;#ASMSTART
	v_add_f32 v106, v111, v106 row_shl:9 bound_ctrl:0 
	;;#ASMEND
	s_waitcnt lgkmcnt(0)
	v_add_f32_e32 v21, v36, v21
	;;#ASMSTART
	v_add_f32 v74, v77, v74 row_shl:3 bound_ctrl:0 
	;;#ASMEND
	;;#ASMSTART
	v_add_f32 v106, v112, v106 row_shl:10 bound_ctrl:0 
	;;#ASMEND
	v_mov_b32_e32 v36, v24
	s_waitcnt vmcnt(0)
	;;#ASMSTART
	v_add_f32 v74, v78, v74 row_shl:8 bound_ctrl:0 
	;;#ASMEND
	;;#ASMSTART
	v_add_f32 v106, v113, v106 row_shl:11 bound_ctrl:0 
	;;#ASMEND
	ds_bpermute_b32 v23, v126, v106 offset:208
	;;#ASMSTART
	v_add_f32 v74, v79, v74 row_shl:9 bound_ctrl:0 
	;;#ASMEND
	;;#ASMSTART
	v_add_f32 v66, v67, v66 row_shl:1 bound_ctrl:0 
	;;#ASMEND
	;; [unrolled: 3-line block ×3, first 2 shown]
	ds_bpermute_b32 v21, v126, v21 offset:64
	;;#ASMSTART
	v_add_f32 v74, v80, v74 row_shl:10 bound_ctrl:0 
	;;#ASMEND
	;;#ASMSTART
	v_add_f32 v66, v68, v66 row_shl:2 bound_ctrl:0 
	;;#ASMEND
	;; [unrolled: 3-line block ×3, first 2 shown]
	s_waitcnt lgkmcnt(1)
	v_add_f32_e32 v23, v106, v23
	;;#ASMSTART
	v_add_f32 v74, v81, v74 row_shl:11 bound_ctrl:0 
	;;#ASMEND
	ds_bpermute_b32 v24, v126, v74 offset:208
	;;#ASMSTART
	v_add_f32 v66, v69, v66 row_shl:3 bound_ctrl:0 
	;;#ASMEND
	;;#ASMSTART
	v_add_f32 v98, v104, v98 row_shl:10 bound_ctrl:0 
	;;#ASMEND
	ds_bpermute_b32 v22, v126, v22 offset:64
	;;#ASMSTART
	v_add_f32 v66, v70, v66 row_shl:8 bound_ctrl:0 
	;;#ASMEND
	s_waitcnt lgkmcnt(1)
	v_add_f32_e32 v24, v74, v24
	;;#ASMSTART
	v_add_f32 v66, v71, v66 row_shl:9 bound_ctrl:0 
	;;#ASMEND
	;;#ASMSTART
	v_add_f32 v98, v105, v98 row_shl:11 bound_ctrl:0 
	;;#ASMEND
	ds_bpermute_b32 v23, v126, v23 offset:64
	;;#ASMSTART
	v_add_f32 v66, v72, v66 row_shl:10 bound_ctrl:0 
	;;#ASMEND
	ds_bpermute_b32 v24, v126, v24 offset:64
	;; [unrolled: 4-line block ×3, first 2 shown]
	ds_bpermute_b32 v9, v126, v32 offset:144
	ds_bpermute_b32 v8, v126, v28 offset:144
	;; [unrolled: 1-line block ×6, first 2 shown]
	v_mov_b32_e32 v34, v26
	v_mov_b32_e32 v38, v48
	;; [unrolled: 1-line block ×3, first 2 shown]
	s_mov_b64 s[20:21], exec
	scratch_load_dwordx2 v[26:27], off, off offset:656 ; 8-byte Folded Reload
	s_and_b64 s[22:23], s[20:21], s[0:1]
	s_mov_b64 exec, s[22:23]
	s_cbranch_execz .LBB78_7
; %bb.16:                               ;   in Loop: Header=BB78_8 Depth=1
	v_add_f32_e32 v3, v64, v3
	v_add_f32_e32 v3, v3, v65
	v_mul_f32_e32 v3, s7, v3
	v_mul_f32_e32 v3, s24, v3
	v_and_b32_e32 v14, 0x7f800000, v3
	v_cmp_ne_u32_e32 vcc, s26, v14
                                        ; implicit-def: $vgpr14
	s_and_saveexec_b64 s[22:23], vcc
	s_xor_b64 s[22:23], exec, s[22:23]
; %bb.17:                               ;   in Loop: Header=BB78_8 Depth=1
	v_bfe_u32 v14, v3, 16, 1
	v_add3_u32 v14, v3, v14, s27
                                        ; implicit-def: $vgpr3
; %bb.18:                               ;   in Loop: Header=BB78_8 Depth=1
	s_andn2_saveexec_b64 s[22:23], s[22:23]
; %bb.19:                               ;   in Loop: Header=BB78_8 Depth=1
	v_or_b32_e32 v14, 0x10000, v3
	v_cmp_eq_u32_sdwa vcc, v3, v125 src0_sel:WORD_0 src1_sel:DWORD
	s_nop 1
	v_cndmask_b32_e32 v14, v14, v3, vcc
; %bb.20:                               ;   in Loop: Header=BB78_8 Depth=1
	s_or_b64 exec, exec, s[22:23]
	v_add_f32_e32 v2, v38, v2
	s_waitcnt vmcnt(0)
	v_mov_b32_e32 v27, v125
	v_add_f32_e32 v15, v2, v49
	v_lshl_add_u64 v[2:3], v[26:27], 1, s[14:15]
	global_store_short_d16_hi v[2:3], v14, off
	v_mul_f32_e32 v14, s7, v15
	v_mul_f32_e32 v14, s24, v14
	v_and_b32_e32 v15, 0x7f800000, v14
	v_cmp_ne_u32_e32 vcc, s26, v15
                                        ; implicit-def: $vgpr15
	s_and_saveexec_b64 s[22:23], vcc
	s_xor_b64 s[22:23], exec, s[22:23]
; %bb.21:                               ;   in Loop: Header=BB78_8 Depth=1
	v_bfe_u32 v15, v14, 16, 1
	v_add3_u32 v15, v14, v15, s27
                                        ; implicit-def: $vgpr14
; %bb.22:                               ;   in Loop: Header=BB78_8 Depth=1
	s_andn2_saveexec_b64 s[22:23], s[22:23]
; %bb.23:                               ;   in Loop: Header=BB78_8 Depth=1
	v_or_b32_e32 v15, 0x10000, v14
	v_cmp_eq_u32_sdwa vcc, v14, v125 src0_sel:WORD_0 src1_sel:DWORD
	s_nop 1
	v_cndmask_b32_e32 v15, v15, v14, vcc
; %bb.24:                               ;   in Loop: Header=BB78_8 Depth=1
	s_or_b64 exec, exec, s[22:23]
	s_waitcnt lgkmcnt(6)
	v_add_f32_e32 v13, v36, v13
	v_add_f32_e32 v13, v13, v25
	v_mul_f32_e32 v13, s7, v13
	v_mul_f32_e32 v13, s24, v13
	v_and_b32_e32 v14, 0x7f800000, v13
	v_cmp_ne_u32_e32 vcc, s26, v14
	global_store_short_d16_hi v[2:3], v15, off offset:2
                                        ; implicit-def: $vgpr14
	s_and_saveexec_b64 s[22:23], vcc
	s_xor_b64 s[22:23], exec, s[22:23]
; %bb.25:                               ;   in Loop: Header=BB78_8 Depth=1
	v_bfe_u32 v14, v13, 16, 1
	v_add3_u32 v14, v13, v14, s27
                                        ; implicit-def: $vgpr13
; %bb.26:                               ;   in Loop: Header=BB78_8 Depth=1
	s_andn2_saveexec_b64 s[22:23], s[22:23]
; %bb.27:                               ;   in Loop: Header=BB78_8 Depth=1
	v_or_b32_e32 v14, 0x10000, v13
	v_cmp_eq_u32_sdwa vcc, v13, v125 src0_sel:WORD_0 src1_sel:DWORD
	s_nop 1
	v_cndmask_b32_e32 v14, v14, v13, vcc
; %bb.28:                               ;   in Loop: Header=BB78_8 Depth=1
	s_or_b64 exec, exec, s[22:23]
	v_add_f32_e32 v12, v44, v12
	v_add_f32_e32 v12, v12, v17
	v_mul_f32_e32 v12, s7, v12
	v_mul_f32_e32 v12, s24, v12
	v_and_b32_e32 v13, 0x7f800000, v12
	v_cmp_ne_u32_e32 vcc, s26, v13
	global_store_short_d16_hi v[2:3], v14, off offset:4
                                        ; implicit-def: $vgpr13
	s_and_saveexec_b64 s[22:23], vcc
	s_xor_b64 s[22:23], exec, s[22:23]
; %bb.29:                               ;   in Loop: Header=BB78_8 Depth=1
	v_bfe_u32 v13, v12, 16, 1
	v_add3_u32 v13, v12, v13, s27
                                        ; implicit-def: $vgpr12
; %bb.30:                               ;   in Loop: Header=BB78_8 Depth=1
	s_andn2_saveexec_b64 s[22:23], s[22:23]
; %bb.31:                               ;   in Loop: Header=BB78_8 Depth=1
	v_or_b32_e32 v13, 0x10000, v12
	v_cmp_eq_u32_sdwa vcc, v12, v125 src0_sel:WORD_0 src1_sel:DWORD
	s_nop 1
	v_cndmask_b32_e32 v13, v13, v12, vcc
; %bb.32:                               ;   in Loop: Header=BB78_8 Depth=1
	s_or_b64 exec, exec, s[22:23]
	v_add_f32_e32 v11, v96, v11
	v_add_f32_e32 v11, v11, v18
	global_store_short_d16_hi v[2:3], v13, off offset:6
	v_mul_f32_e32 v2, s7, v11
	v_mul_f32_e32 v3, s24, v2
	v_and_b32_e32 v2, 0x7f800000, v3
	v_cmp_ne_u32_e32 vcc, s26, v2
                                        ; implicit-def: $vgpr2
	s_and_saveexec_b64 s[22:23], vcc
	s_xor_b64 s[22:23], exec, s[22:23]
; %bb.33:                               ;   in Loop: Header=BB78_8 Depth=1
	v_bfe_u32 v2, v3, 16, 1
	v_add3_u32 v2, v3, v2, s27
                                        ; implicit-def: $vgpr3
; %bb.34:                               ;   in Loop: Header=BB78_8 Depth=1
	s_andn2_saveexec_b64 s[22:23], s[22:23]
; %bb.35:                               ;   in Loop: Header=BB78_8 Depth=1
	v_or_b32_e32 v2, 0x10000, v3
	v_cmp_eq_u32_sdwa vcc, v3, v125 src0_sel:WORD_0 src1_sel:DWORD
	s_nop 1
	v_cndmask_b32_e32 v2, v2, v3, vcc
; %bb.36:                               ;   in Loop: Header=BB78_8 Depth=1
	s_or_b64 exec, exec, s[22:23]
	v_add_u32_e32 v124, s6, v26
	v_add_f32_e32 v3, v34, v10
	v_add_f32_e32 v3, v3, v19
	v_lshl_add_u64 v[10:11], v[124:125], 1, s[14:15]
	global_store_short_d16_hi v[10:11], v2, off
	v_mul_f32_e32 v2, s7, v3
	v_mul_f32_e32 v3, s24, v2
	v_and_b32_e32 v2, 0x7f800000, v3
	v_cmp_ne_u32_e32 vcc, s26, v2
                                        ; implicit-def: $vgpr2
	s_and_saveexec_b64 s[22:23], vcc
	s_xor_b64 s[22:23], exec, s[22:23]
; %bb.37:                               ;   in Loop: Header=BB78_8 Depth=1
	v_bfe_u32 v2, v3, 16, 1
	v_add3_u32 v2, v3, v2, s27
                                        ; implicit-def: $vgpr3
; %bb.38:                               ;   in Loop: Header=BB78_8 Depth=1
	s_andn2_saveexec_b64 s[22:23], s[22:23]
; %bb.39:                               ;   in Loop: Header=BB78_8 Depth=1
	v_or_b32_e32 v2, 0x10000, v3
	v_cmp_eq_u32_sdwa vcc, v3, v125 src0_sel:WORD_0 src1_sel:DWORD
	s_nop 1
	v_cndmask_b32_e32 v2, v2, v3, vcc
; %bb.40:                               ;   in Loop: Header=BB78_8 Depth=1
	s_or_b64 exec, exec, s[22:23]
	s_waitcnt lgkmcnt(5)
	v_add_f32_e32 v3, v32, v9
	v_add_u32_e32 v10, 1, v124
	v_mov_b32_e32 v11, v125
	v_add_f32_e32 v3, v3, v20
	v_lshl_add_u64 v[10:11], v[10:11], 1, s[14:15]
	global_store_short_d16_hi v[10:11], v2, off
	v_mul_f32_e32 v2, s7, v3
	v_mul_f32_e32 v3, s24, v2
	v_and_b32_e32 v2, 0x7f800000, v3
	v_cmp_ne_u32_e32 vcc, s26, v2
                                        ; implicit-def: $vgpr2
	s_and_saveexec_b64 s[22:23], vcc
	s_xor_b64 s[22:23], exec, s[22:23]
; %bb.41:                               ;   in Loop: Header=BB78_8 Depth=1
	v_bfe_u32 v2, v3, 16, 1
	v_add3_u32 v2, v3, v2, s27
                                        ; implicit-def: $vgpr3
; %bb.42:                               ;   in Loop: Header=BB78_8 Depth=1
	s_andn2_saveexec_b64 s[22:23], s[22:23]
; %bb.43:                               ;   in Loop: Header=BB78_8 Depth=1
	v_or_b32_e32 v2, 0x10000, v3
	v_cmp_eq_u32_sdwa vcc, v3, v125 src0_sel:WORD_0 src1_sel:DWORD
	s_nop 1
	v_cndmask_b32_e32 v2, v2, v3, vcc
; %bb.44:                               ;   in Loop: Header=BB78_8 Depth=1
	s_or_b64 exec, exec, s[22:23]
	s_waitcnt lgkmcnt(4)
	v_add_f32_e32 v3, v30, v8
	v_add_u32_e32 v8, 2, v124
	v_mov_b32_e32 v9, v125
	;; [unrolled: 27-line block ×3, first 2 shown]
	v_add_f32_e32 v3, v3, v22
	v_lshl_add_u64 v[8:9], v[8:9], 1, s[14:15]
	global_store_short_d16_hi v[8:9], v2, off
	v_mul_f32_e32 v2, s7, v3
	v_mul_f32_e32 v2, s24, v2
	v_and_b32_e32 v3, 0x7f800000, v2
	v_cmp_ne_u32_e32 vcc, s26, v3
                                        ; implicit-def: $vgpr7
	s_and_saveexec_b64 s[22:23], vcc
	s_xor_b64 s[22:23], exec, s[22:23]
; %bb.49:                               ;   in Loop: Header=BB78_8 Depth=1
	v_bfe_u32 v3, v2, 16, 1
	v_add3_u32 v7, v2, v3, s27
                                        ; implicit-def: $vgpr2
; %bb.50:                               ;   in Loop: Header=BB78_8 Depth=1
	s_andn2_saveexec_b64 s[22:23], s[22:23]
; %bb.51:                               ;   in Loop: Header=BB78_8 Depth=1
	v_or_b32_e32 v3, 0x10000, v2
	v_cmp_eq_u32_sdwa vcc, v2, v125 src0_sel:WORD_0 src1_sel:DWORD
	s_nop 1
	v_cndmask_b32_e32 v7, v3, v2, vcc
; %bb.52:                               ;   in Loop: Header=BB78_8 Depth=1
	s_or_b64 exec, exec, s[22:23]
	s_waitcnt lgkmcnt(2)
	v_add_f32_e32 v2, v98, v6
	v_add_f32_e32 v6, v2, v23
	v_add_u32_e32 v124, s6, v124
	v_mul_f32_e32 v6, s7, v6
	v_lshl_add_u64 v[2:3], v[124:125], 1, s[14:15]
	v_mul_f32_e32 v6, s24, v6
	global_store_short_d16_hi v[2:3], v7, off
	v_and_b32_e32 v7, 0x7f800000, v6
	v_cmp_ne_u32_e32 vcc, s26, v7
                                        ; implicit-def: $vgpr7
	s_and_saveexec_b64 s[22:23], vcc
	s_xor_b64 s[22:23], exec, s[22:23]
; %bb.53:                               ;   in Loop: Header=BB78_8 Depth=1
	v_bfe_u32 v7, v6, 16, 1
	v_add3_u32 v7, v6, v7, s27
                                        ; implicit-def: $vgpr6
; %bb.54:                               ;   in Loop: Header=BB78_8 Depth=1
	s_andn2_saveexec_b64 s[22:23], s[22:23]
; %bb.55:                               ;   in Loop: Header=BB78_8 Depth=1
	v_or_b32_e32 v7, 0x10000, v6
	v_cmp_eq_u32_sdwa vcc, v6, v125 src0_sel:WORD_0 src1_sel:DWORD
	s_nop 1
	v_cndmask_b32_e32 v7, v7, v6, vcc
; %bb.56:                               ;   in Loop: Header=BB78_8 Depth=1
	s_or_b64 exec, exec, s[22:23]
	s_waitcnt lgkmcnt(1)
	v_add_f32_e32 v5, v66, v5
	v_add_f32_e32 v5, v5, v24
	global_store_short_d16_hi v[2:3], v7, off offset:2
	v_mul_f32_e32 v2, s7, v5
	v_mul_f32_e32 v3, s24, v2
	v_and_b32_e32 v2, 0x7f800000, v3
	v_cmp_ne_u32_e32 vcc, s26, v2
                                        ; implicit-def: $vgpr2
	s_and_saveexec_b64 s[22:23], vcc
	s_xor_b64 s[22:23], exec, s[22:23]
; %bb.57:                               ;   in Loop: Header=BB78_8 Depth=1
	v_bfe_u32 v2, v3, 16, 1
	v_add3_u32 v2, v3, v2, s27
                                        ; implicit-def: $vgpr3
; %bb.58:                               ;   in Loop: Header=BB78_8 Depth=1
	s_andn2_saveexec_b64 s[22:23], s[22:23]
; %bb.59:                               ;   in Loop: Header=BB78_8 Depth=1
	v_or_b32_e32 v2, 0x10000, v3
	v_cmp_eq_u32_sdwa vcc, v3, v125 src0_sel:WORD_0 src1_sel:DWORD
	s_nop 1
	v_cndmask_b32_e32 v2, v2, v3, vcc
; %bb.60:                               ;   in Loop: Header=BB78_8 Depth=1
	s_or_b64 exec, exec, s[22:23]
	s_waitcnt lgkmcnt(0)
	v_add_f32_e32 v0, v0, v4
	v_add_f32_e32 v3, v0, v1
	v_add_u32_e32 v0, 2, v124
	v_mov_b32_e32 v1, v125
	v_lshl_add_u64 v[0:1], v[0:1], 1, s[14:15]
	global_store_short_d16_hi v[0:1], v2, off
	v_mul_f32_e32 v0, s7, v3
	v_mul_f32_e32 v1, s24, v0
	v_and_b32_e32 v0, 0x7f800000, v1
	v_cmp_ne_u32_e32 vcc, s26, v0
                                        ; implicit-def: $vgpr0
	s_and_saveexec_b64 s[22:23], vcc
	s_xor_b64 s[22:23], exec, s[22:23]
; %bb.61:                               ;   in Loop: Header=BB78_8 Depth=1
	v_bfe_u32 v0, v1, 16, 1
	v_add3_u32 v0, v1, v0, s27
                                        ; implicit-def: $vgpr1
; %bb.62:                               ;   in Loop: Header=BB78_8 Depth=1
	s_andn2_saveexec_b64 s[22:23], s[22:23]
	s_cbranch_execz .LBB78_6
; %bb.63:                               ;   in Loop: Header=BB78_8 Depth=1
	v_or_b32_e32 v0, 0x10000, v1
	v_cmp_eq_u32_sdwa vcc, v1, v125 src0_sel:WORD_0 src1_sel:DWORD
	s_nop 1
	v_cndmask_b32_e32 v0, v0, v1, vcc
	s_branch .LBB78_6
.LBB78_64:
	s_endpgm
	.section	.rodata,"a",@progbits
	.p2align	6, 0x0
	.amdhsa_kernel _ZN5aiter17wvSplitKQ_hf_sml_I14__hip_bfloat16hLi64ELi4ELi16ELi16ELi1ELi3EEEviiiPKT0_S4_PT_PKfS8_ii
		.amdhsa_group_segment_fixed_size 65536
		.amdhsa_private_segment_fixed_size 668
		.amdhsa_kernarg_size 64
		.amdhsa_user_sgpr_count 2
		.amdhsa_user_sgpr_dispatch_ptr 0
		.amdhsa_user_sgpr_queue_ptr 0
		.amdhsa_user_sgpr_kernarg_segment_ptr 1
		.amdhsa_user_sgpr_dispatch_id 0
		.amdhsa_user_sgpr_kernarg_preload_length 0
		.amdhsa_user_sgpr_kernarg_preload_offset 0
		.amdhsa_user_sgpr_private_segment_size 0
		.amdhsa_uses_dynamic_stack 0
		.amdhsa_enable_private_segment 1
		.amdhsa_system_sgpr_workgroup_id_x 1
		.amdhsa_system_sgpr_workgroup_id_y 0
		.amdhsa_system_sgpr_workgroup_id_z 0
		.amdhsa_system_sgpr_workgroup_info 0
		.amdhsa_system_vgpr_workitem_id 1
		.amdhsa_next_free_vgpr 127
		.amdhsa_next_free_sgpr 28
		.amdhsa_accum_offset 128
		.amdhsa_reserve_vcc 1
		.amdhsa_float_round_mode_32 0
		.amdhsa_float_round_mode_16_64 0
		.amdhsa_float_denorm_mode_32 3
		.amdhsa_float_denorm_mode_16_64 3
		.amdhsa_dx10_clamp 1
		.amdhsa_ieee_mode 1
		.amdhsa_fp16_overflow 0
		.amdhsa_tg_split 0
		.amdhsa_exception_fp_ieee_invalid_op 0
		.amdhsa_exception_fp_denorm_src 0
		.amdhsa_exception_fp_ieee_div_zero 0
		.amdhsa_exception_fp_ieee_overflow 0
		.amdhsa_exception_fp_ieee_underflow 0
		.amdhsa_exception_fp_ieee_inexact 0
		.amdhsa_exception_int_div_zero 0
	.end_amdhsa_kernel
	.section	.text._ZN5aiter17wvSplitKQ_hf_sml_I14__hip_bfloat16hLi64ELi4ELi16ELi16ELi1ELi3EEEviiiPKT0_S4_PT_PKfS8_ii,"axG",@progbits,_ZN5aiter17wvSplitKQ_hf_sml_I14__hip_bfloat16hLi64ELi4ELi16ELi16ELi1ELi3EEEviiiPKT0_S4_PT_PKfS8_ii,comdat
.Lfunc_end78:
	.size	_ZN5aiter17wvSplitKQ_hf_sml_I14__hip_bfloat16hLi64ELi4ELi16ELi16ELi1ELi3EEEviiiPKT0_S4_PT_PKfS8_ii, .Lfunc_end78-_ZN5aiter17wvSplitKQ_hf_sml_I14__hip_bfloat16hLi64ELi4ELi16ELi16ELi1ELi3EEEviiiPKT0_S4_PT_PKfS8_ii
                                        ; -- End function
	.section	.AMDGPU.csdata,"",@progbits
; Kernel info:
; codeLenInByte = 6484
; NumSgprs: 34
; NumVgprs: 127
; NumAgprs: 0
; TotalNumVgprs: 127
; ScratchSize: 668
; MemoryBound: 1
; FloatMode: 240
; IeeeMode: 1
; LDSByteSize: 65536 bytes/workgroup (compile time only)
; SGPRBlocks: 4
; VGPRBlocks: 15
; NumSGPRsForWavesPerEU: 34
; NumVGPRsForWavesPerEU: 127
; AccumOffset: 128
; Occupancy: 4
; WaveLimiterHint : 0
; COMPUTE_PGM_RSRC2:SCRATCH_EN: 1
; COMPUTE_PGM_RSRC2:USER_SGPR: 2
; COMPUTE_PGM_RSRC2:TRAP_HANDLER: 0
; COMPUTE_PGM_RSRC2:TGID_X_EN: 1
; COMPUTE_PGM_RSRC2:TGID_Y_EN: 0
; COMPUTE_PGM_RSRC2:TGID_Z_EN: 0
; COMPUTE_PGM_RSRC2:TIDIG_COMP_CNT: 1
; COMPUTE_PGM_RSRC3_GFX90A:ACCUM_OFFSET: 31
; COMPUTE_PGM_RSRC3_GFX90A:TG_SPLIT: 0
	.section	.text._ZN5aiter13wvSplitKQ_hf_I14__hip_bfloat16hLi64ELi7ELi16ELi16ELi1ELi3EEEviiiPKT0_S4_PT_PKfS8_ii,"axG",@progbits,_ZN5aiter13wvSplitKQ_hf_I14__hip_bfloat16hLi64ELi7ELi16ELi16ELi1ELi3EEEviiiPKT0_S4_PT_PKfS8_ii,comdat
	.protected	_ZN5aiter13wvSplitKQ_hf_I14__hip_bfloat16hLi64ELi7ELi16ELi16ELi1ELi3EEEviiiPKT0_S4_PT_PKfS8_ii ; -- Begin function _ZN5aiter13wvSplitKQ_hf_I14__hip_bfloat16hLi64ELi7ELi16ELi16ELi1ELi3EEEviiiPKT0_S4_PT_PKfS8_ii
	.globl	_ZN5aiter13wvSplitKQ_hf_I14__hip_bfloat16hLi64ELi7ELi16ELi16ELi1ELi3EEEviiiPKT0_S4_PT_PKfS8_ii
	.p2align	8
	.type	_ZN5aiter13wvSplitKQ_hf_I14__hip_bfloat16hLi64ELi7ELi16ELi16ELi1ELi3EEEviiiPKT0_S4_PT_PKfS8_ii,@function
_ZN5aiter13wvSplitKQ_hf_I14__hip_bfloat16hLi64ELi7ELi16ELi16ELi1ELi3EEEviiiPKT0_S4_PT_PKfS8_ii: ; @_ZN5aiter13wvSplitKQ_hf_I14__hip_bfloat16hLi64ELi7ELi16ELi16ELi1ELi3EEEviiiPKT0_S4_PT_PKfS8_ii
; %bb.0:
	s_load_dwordx4 s[20:23], s[0:1], 0x0
	s_load_dwordx2 s[24:25], s[0:1], 0x18
	s_load_dwordx4 s[4:7], s[0:1], 0x28
	v_bfe_u32 v1, v0, 10, 10
	v_and_b32_e32 v0, 0x3ff, v0
	v_lshlrev_b32_e32 v4, 4, v0
	v_mov_b32_e32 v2, v4
	s_waitcnt lgkmcnt(0)
	s_mul_i32 s3, s20, 3
	scratch_store_dwordx2 off, v[2:3], off offset:2816 ; 8-byte Folded Spill
	v_lshl_add_u32 v2, v1, 10, v4
	s_min_i32 s3, s3, 0x10000
	v_cmp_gt_u32_e32 vcc, s3, v2
	s_and_saveexec_b64 s[8:9], vcc
	s_cbranch_execz .LBB79_3
; %bb.1:
	s_mov_b64 s[10:11], 0
.LBB79_2:                               ; =>This Inner Loop Header: Depth=1
	global_load_dwordx4 v[4:7], v2, s[24:25]
	s_waitcnt vmcnt(0)
	ds_write_b128 v2, v[4:7]
	v_add_u32_e32 v2, 0x4000, v2
	v_cmp_le_u32_e32 vcc, s3, v2
	s_or_b64 s[10:11], vcc, s[10:11]
	s_andn2_b64 exec, exec, s[10:11]
	s_cbranch_execnz .LBB79_2
.LBB79_3:
	s_or_b64 exec, exec, s[8:9]
	s_load_dwordx2 s[8:9], s[0:1], 0x38
	s_waitcnt lgkmcnt(0)
	s_barrier
	v_cmp_gt_u32_e32 vcc, s8, v1
	s_and_saveexec_b64 s[10:11], vcc
	s_cbranch_execz .LBB79_139
; %bb.4:
	s_mul_i32 s2, s2, s8
	v_add_u32_e32 v1, s2, v1
	v_mul_lo_u32 v20, v1, 7
	v_cmp_gt_u32_e32 vcc, s22, v20
	s_and_b64 exec, exec, vcc
	s_cbranch_execz .LBB79_139
; %bb.5:
	s_load_dword s23, s[4:5], 0x0
	s_load_dword s33, s[6:7], 0x0
	s_load_dwordx2 s[26:27], s[0:1], 0x10
	s_load_dwordx2 s[28:29], s[0:1], 0x20
	scratch_load_dwordx2 v[2:3], off, off offset:2816 ; 8-byte Folded Reload
	s_mov_b32 s4, 0
	v_cmp_eq_u32_e64 s[0:1], 0, v0
	v_mul_lo_u32 v0, s21, v1
	s_mov_b32 s5, s4
	s_mov_b32 s6, s4
	;; [unrolled: 1-line block ×3, first 2 shown]
	s_mul_i32 s38, s8, s9
	s_cmp_lg_u32 s20, 0
	s_mul_i32 s38, s38, 7
	s_cselect_b64 s[30:31], -1, 0
	s_lshl_b32 s39, s22, 1
	s_mul_i32 s40, s38, s21
	s_ashr_i32 s35, s21, 31
	s_mov_b32 s34, s21
	s_mov_b64 s[36:37], 0
	s_mov_b32 s21, 0xffff
	s_mov_b32 s41, 0x7f800000
	s_movk_i32 s42, 0x7fff
	s_waitcnt vmcnt(0)
	v_mad_u64_u32 v[0:1], s[2:3], v0, 7, v[2:3]
	scratch_store_dwordx2 off, v[0:1], off offset:2924 ; 8-byte Folded Spill
	v_mov_b64_e32 v[0:1], s[4:5]
	v_mov_b64_e32 v[2:3], s[6:7]
	scratch_store_dwordx4 off, v[0:3], off offset:2932 ; 16-byte Folded Spill
	s_nop 1
	v_mov_b32_e32 v1, 0
	scratch_store_dwordx2 off, v[0:1], off offset:1456 ; 8-byte Folded Spill
	v_mbcnt_lo_u32_b32 v0, -1, 0
	v_mbcnt_hi_u32_b32 v0, -1, v0
	v_lshlrev_b32_e32 v0, 2, v0
	v_and_b32_e32 v22, 0x100, v0
	scratch_store_dword off, v22, off offset:2824 ; 4-byte Folded Spill
	s_branch .LBB79_8
.LBB79_6:                               ;   in Loop: Header=BB79_8 Depth=1
	s_or_b64 exec, exec, s[2:3]
	scratch_load_dwordx2 v[2:3], off, off offset:1456 ; 8-byte Folded Reload
	v_add_u32_e32 v4, s39, v0
	s_waitcnt vmcnt(0)
	v_mov_b32_e32 v5, v3
	scratch_store_dwordx2 off, v[2:3], off offset:1456 ; 8-byte Folded Spill
	v_lshl_add_u64 v[2:3], v[4:5], 1, s[28:29]
	global_store_short_d16_hi v[2:3], v1, off
.LBB79_7:                               ;   in Loop: Header=BB79_8 Depth=1
	s_or_b64 exec, exec, s[6:7]
	scratch_load_dwordx2 v[0:1], off, off offset:2924 ; 8-byte Folded Reload
	v_add_u32_e32 v20, s38, v20
	v_cmp_le_u32_e32 vcc, s22, v20
	s_or_b64 s[36:37], vcc, s[36:37]
	s_waitcnt vmcnt(0)
	v_add_u32_e32 v0, s40, v0
	scratch_store_dwordx2 off, v[0:1], off offset:2924 ; 8-byte Folded Spill
	s_andn2_b64 exec, exec, s[36:37]
	s_cbranch_execz .LBB79_139
.LBB79_8:                               ; =>This Loop Header: Depth=1
                                        ;     Child Loop BB79_12 Depth 2
                                        ;       Child Loop BB79_14 Depth 3
                                        ;     Child Loop BB79_29 Depth 2
                                        ;     Child Loop BB79_31 Depth 2
	;; [unrolled: 1-line block ×3, first 2 shown]
	scratch_load_dwordx4 v[0:3], off, off offset:2932 ; 16-byte Folded Reload
	s_and_b64 vcc, exec, s[30:31]
	s_waitcnt vmcnt(0)
	scratch_store_dwordx4 off, v[0:3], off offset:48
	scratch_store_dwordx4 off, v[0:3], off offset:32
	;; [unrolled: 1-line block ×3, first 2 shown]
	scratch_store_dwordx4 off, v[0:3], off
	scratch_store_dwordx4 off, v[0:3], off offset:496
	scratch_store_dwordx4 off, v[0:3], off offset:480
	;; [unrolled: 1-line block ×80, first 2 shown]
	s_cbranch_vccz .LBB79_28
; %bb.9:                                ;   in Loop: Header=BB79_8 Depth=1
	scratch_store_dwordx2 off, v[20:21], off offset:1848 ; 8-byte Folded Spill
	scratch_load_dwordx2 v[0:1], off, off offset:2924 ; 8-byte Folded Reload
	scratch_load_dwordx2 v[2:3], off, off offset:1456 ; 8-byte Folded Reload
	s_mov_b32 s18, s4
	s_mov_b32 s19, s4
	;; [unrolled: 1-line block ×15, first 2 shown]
	v_mov_b64_e32 v[78:79], s[18:19]
	v_mov_b64_e32 v[76:77], s[16:17]
	;; [unrolled: 1-line block ×8, first 2 shown]
	s_mov_b32 s43, 0
	s_waitcnt vmcnt(0)
	v_mov_b32_e32 v2, v0
	scratch_store_dwordx2 off, v[2:3], off offset:1456 ; 8-byte Folded Spill
	scratch_store_dwordx4 off, v[64:67], off offset:2240 ; 16-byte Folded Spill
	s_nop 0
	scratch_store_dwordx4 off, v[68:71], off offset:2256 ; 16-byte Folded Spill
	scratch_store_dwordx4 off, v[72:75], off offset:2272 ; 16-byte Folded Spill
	scratch_store_dwordx4 off, v[76:79], off offset:2288 ; 16-byte Folded Spill
	scratch_store_dwordx4 off, v[64:67], off offset:2304 ; 16-byte Folded Spill
	s_nop 0
	scratch_store_dwordx4 off, v[68:71], off offset:2320 ; 16-byte Folded Spill
	scratch_store_dwordx4 off, v[72:75], off offset:2336 ; 16-byte Folded Spill
	scratch_store_dwordx4 off, v[76:79], off offset:2352 ; 16-byte Folded Spill
	;; [unrolled: 5-line block ×4, first 2 shown]
	v_mov_b64_e32 v[40:41], v[64:65]
	v_mov_b64_e32 v[24:25], v[64:65]
	;; [unrolled: 1-line block ×24, first 2 shown]
	scratch_store_dwordx4 off, v[64:67], off offset:2496 ; 16-byte Folded Spill
	s_nop 0
	scratch_store_dwordx4 off, v[68:71], off offset:2512 ; 16-byte Folded Spill
	scratch_store_dwordx4 off, v[72:75], off offset:2528 ; 16-byte Folded Spill
	scratch_store_dwordx4 off, v[76:79], off offset:2544 ; 16-byte Folded Spill
	scratch_store_dwordx4 off, v[64:67], off offset:2560 ; 16-byte Folded Spill
	s_nop 0
	scratch_store_dwordx4 off, v[68:71], off offset:2576 ; 16-byte Folded Spill
	scratch_store_dwordx4 off, v[72:75], off offset:2592 ; 16-byte Folded Spill
	scratch_store_dwordx4 off, v[76:79], off offset:2608 ; 16-byte Folded Spill
	;; [unrolled: 5-line block ×14, first 2 shown]
	s_branch .LBB79_12
.LBB79_10:                              ;   in Loop: Header=BB79_12 Depth=2
	s_or_b64 exec, exec, s[6:7]
	scratch_load_dwordx4 v[4:7], off, off offset:1344
	scratch_load_dwordx4 v[0:3], off, off offset:1360
	s_waitcnt vmcnt(1)
	scratch_store_dwordx4 off, v[4:7], off offset:2892 ; 16-byte Folded Spill
	s_waitcnt vmcnt(1)
	scratch_store_dwordx4 off, v[0:3], off offset:2908 ; 16-byte Folded Spill
	scratch_load_dwordx4 v[80:83], off, off offset:2176 ; 16-byte Folded Reload
	scratch_load_dwordx4 v[84:87], off, off offset:2192 ; 16-byte Folded Reload
	;; [unrolled: 1-line block ×4, first 2 shown]
	s_waitcnt vmcnt(0) lgkmcnt(0)
	v_mfma_f32_32x32x16_fp8_fp8 v[80:95], v[120:121], v[4:5], v[80:95]
	scratch_load_dwordx4 v[2:5], off, off offset:1376
	s_waitcnt vmcnt(0)
	scratch_store_dwordx4 off, v[2:5], off offset:2096 ; 16-byte Folded Spill
	scratch_load_dwordx4 v[48:51], off, off offset:2112 ; 16-byte Folded Reload
	scratch_load_dwordx4 v[52:55], off, off offset:2128 ; 16-byte Folded Reload
	;; [unrolled: 1-line block ×4, first 2 shown]
	scratch_load_dwordx4 v[22:25], off, off offset:1392
	s_waitcnt vmcnt(1)
	v_mfma_f32_32x32x16_fp8_fp8 v[48:63], v[120:121], v[0:1], v[48:63]
	s_waitcnt vmcnt(0)
	scratch_store_dwordx4 off, v[22:25], off offset:2080 ; 16-byte Folded Spill
	scratch_load_dwordx4 v[32:35], off, off offset:2432 ; 16-byte Folded Reload
	scratch_load_dwordx4 v[36:39], off, off offset:2448 ; 16-byte Folded Reload
	;; [unrolled: 1-line block ×4, first 2 shown]
	s_waitcnt vmcnt(0)
	v_mfma_f32_32x32x16_fp8_fp8 v[32:47], v[120:121], v[2:3], v[32:47]
	scratch_load_dwordx4 v[116:119], off, off offset:1408
	scratch_load_dwordx4 v[0:3], off, off offset:2368 ; 16-byte Folded Reload
	scratch_load_dwordx4 v[4:7], off, off offset:2384 ; 16-byte Folded Reload
	;; [unrolled: 1-line block ×4, first 2 shown]
	scratch_load_dwordx4 v[124:127], off, off offset:1424
	scratch_load_dwordx4 v[64:67], off, off offset:2304 ; 16-byte Folded Reload
	scratch_load_dwordx4 v[68:71], off, off offset:2320 ; 16-byte Folded Reload
	;; [unrolled: 1-line block ×4, first 2 shown]
	s_waitcnt vmcnt(5)
	v_mfma_f32_32x32x16_fp8_fp8 v[0:15], v[120:121], v[22:23], v[0:15]
	scratch_load_dwordx4 v[16:19], off, off offset:2240 ; 16-byte Folded Reload
	scratch_load_dwordx4 v[20:23], off, off offset:2256 ; 16-byte Folded Reload
	;; [unrolled: 1-line block ×4, first 2 shown]
	scratch_load_dwordx4 v[96:99], off, off offset:1440
	scratch_load_dwordx4 v[100:103], off, off offset:1656 ; 16-byte Folded Reload
	scratch_load_dwordx4 v[104:107], off, off offset:1672 ; 16-byte Folded Reload
	scratch_load_dwordx4 v[108:111], off, off offset:1688 ; 16-byte Folded Reload
	scratch_load_dwordx4 v[112:115], off, off offset:1704 ; 16-byte Folded Reload
	s_waitcnt vmcnt(9)
	v_mfma_f32_32x32x16_fp8_fp8 v[64:79], v[120:121], v[116:117], v[64:79]
	v_mfma_f32_32x32x16_fp8_fp8 v[64:79], v[122:123], v[118:119], v[64:79]
	s_waitcnt vmcnt(0)
	v_mfma_f32_32x32x16_fp8_fp8 v[100:115], v[120:121], v[96:97], v[100:115]
	s_nop 7
	s_nop 2
	scratch_store_dwordx4 off, v[100:103], off offset:1656 ; 16-byte Folded Spill
	s_nop 0
	scratch_store_dwordx4 off, v[104:107], off offset:1672 ; 16-byte Folded Spill
	scratch_store_dwordx4 off, v[108:111], off offset:1688 ; 16-byte Folded Spill
	;; [unrolled: 1-line block ×3, first 2 shown]
	scratch_load_dwordx4 v[108:111], off, off offset:2892 ; 16-byte Folded Reload
	v_mfma_f32_32x32x16_fp8_fp8 v[16:31], v[120:121], v[124:125], v[16:31]
	v_mov_b64_e32 v[106:107], v[98:99]
	v_mov_b64_e32 v[104:105], v[96:97]
	;; [unrolled: 1-line block ×3, first 2 shown]
	v_mfma_f32_32x32x16_fp8_fp8 v[16:31], v[122:123], v[126:127], v[16:31]
	s_waitcnt vmcnt(0)
	v_mfma_f32_32x32x16_fp8_fp8 v[80:95], v[122:123], v[110:111], v[80:95]
	s_nop 7
	s_nop 2
	scratch_store_dwordx4 off, v[80:83], off offset:2176 ; 16-byte Folded Spill
	s_nop 0
	scratch_store_dwordx4 off, v[84:87], off offset:2192 ; 16-byte Folded Spill
	scratch_store_dwordx4 off, v[88:91], off offset:2208 ; 16-byte Folded Spill
	scratch_store_dwordx4 off, v[92:95], off offset:2224 ; 16-byte Folded Spill
	scratch_load_dwordx4 v[80:83], off, off offset:2908 ; 16-byte Folded Reload
	s_waitcnt vmcnt(0)
	v_mfma_f32_32x32x16_fp8_fp8 v[48:63], v[122:123], v[82:83], v[48:63]
	s_nop 7
	s_nop 2
	scratch_store_dwordx4 off, v[48:51], off offset:2112 ; 16-byte Folded Spill
	s_nop 0
	scratch_store_dwordx4 off, v[52:55], off offset:2128 ; 16-byte Folded Spill
	scratch_store_dwordx4 off, v[56:59], off offset:2144 ; 16-byte Folded Spill
	scratch_store_dwordx4 off, v[60:63], off offset:2160 ; 16-byte Folded Spill
	scratch_load_dwordx4 v[48:51], off, off offset:2096 ; 16-byte Folded Reload
	s_waitcnt vmcnt(0)
	v_mfma_f32_32x32x16_fp8_fp8 v[32:47], v[122:123], v[50:51], v[32:47]
	s_nop 7
	s_nop 2
	scratch_store_dwordx4 off, v[32:35], off offset:2432 ; 16-byte Folded Spill
	s_nop 0
	scratch_store_dwordx4 off, v[36:39], off offset:2448 ; 16-byte Folded Spill
	scratch_store_dwordx4 off, v[40:43], off offset:2464 ; 16-byte Folded Spill
	scratch_store_dwordx4 off, v[44:47], off offset:2480 ; 16-byte Folded Spill
	scratch_load_dwordx4 v[36:39], off, off offset:2080 ; 16-byte Folded Reload
	s_nop 0
	v_mov_b64_e32 v[44:45], v[116:117]
	v_mov_b64_e32 v[40:41], v[124:125]
	v_mov_b64_e32 v[46:47], v[118:119]
	v_mov_b64_e32 v[42:43], v[126:127]
	s_waitcnt vmcnt(0)
	v_mfma_f32_32x32x16_fp8_fp8 v[0:15], v[122:123], v[38:39], v[0:15]
	s_nop 7
	s_nop 2
	scratch_store_dwordx4 off, v[0:3], off offset:2368 ; 16-byte Folded Spill
	s_nop 0
	scratch_store_dwordx4 off, v[4:7], off offset:2384 ; 16-byte Folded Spill
	scratch_store_dwordx4 off, v[8:11], off offset:2400 ; 16-byte Folded Spill
	scratch_store_dwordx4 off, v[12:15], off offset:2416 ; 16-byte Folded Spill
	scratch_store_dwordx4 off, v[64:67], off offset:2304 ; 16-byte Folded Spill
	s_nop 0
	scratch_store_dwordx4 off, v[68:71], off offset:2320 ; 16-byte Folded Spill
	scratch_store_dwordx4 off, v[72:75], off offset:2336 ; 16-byte Folded Spill
	scratch_store_dwordx4 off, v[76:79], off offset:2352 ; 16-byte Folded Spill
	;; [unrolled: 5-line block ×3, first 2 shown]
	scratch_load_dwordx4 v[88:91], off, off offset:2624 ; 16-byte Folded Reload
	scratch_load_dwordx4 v[92:95], off, off offset:2640 ; 16-byte Folded Reload
	;; [unrolled: 1-line block ×17, first 2 shown]
	v_mov_b64_e32 v[68:69], v[108:109]
	v_mov_b64_e32 v[70:71], v[110:111]
	s_waitcnt vmcnt(0)
	v_mfma_f32_32x32x16_fp8_fp8 v[4:19], v[0:1], v[36:37], v[4:19]
	s_nop 7
	s_nop 2
	scratch_store_dwordx4 off, v[4:7], off offset:1464 ; 16-byte Folded Spill
	s_nop 0
	scratch_store_dwordx4 off, v[8:11], off offset:1480 ; 16-byte Folded Spill
	scratch_store_dwordx4 off, v[12:15], off offset:1496 ; 16-byte Folded Spill
	;; [unrolled: 1-line block ×3, first 2 shown]
	scratch_load_dwordx4 v[4:7], off, off offset:1592 ; 16-byte Folded Reload
	s_nop 0
	scratch_load_dwordx4 v[8:11], off, off offset:1608 ; 16-byte Folded Reload
	scratch_load_dwordx4 v[12:15], off, off offset:1624 ; 16-byte Folded Reload
	;; [unrolled: 1-line block ×3, first 2 shown]
	v_mfma_f32_32x32x16_fp8_fp8 v[20:35], v[0:1], v[80:81], v[20:35]
	v_mfma_f32_32x32x16_fp8_fp8 v[52:67], v[0:1], v[48:49], v[52:67]
	;; [unrolled: 1-line block ×6, first 2 shown]
	s_waitcnt vmcnt(0)
	v_mfma_f32_32x32x16_fp8_fp8 v[4:19], v[0:1], v[116:117], v[4:19]
	s_nop 7
	s_nop 2
	scratch_store_dwordx4 off, v[4:7], off offset:1592 ; 16-byte Folded Spill
	s_nop 0
	scratch_store_dwordx4 off, v[8:11], off offset:1608 ; 16-byte Folded Spill
	scratch_store_dwordx4 off, v[12:15], off offset:1624 ; 16-byte Folded Spill
	;; [unrolled: 1-line block ×3, first 2 shown]
	scratch_load_dwordx4 v[4:7], off, off offset:1528 ; 16-byte Folded Reload
	s_nop 0
	scratch_load_dwordx4 v[8:11], off, off offset:1544 ; 16-byte Folded Reload
	scratch_load_dwordx4 v[12:15], off, off offset:1560 ; 16-byte Folded Reload
	;; [unrolled: 1-line block ×3, first 2 shown]
	s_waitcnt vmcnt(0)
	v_mfma_f32_32x32x16_fp8_fp8 v[4:19], v[0:1], v[124:125], v[4:19]
	s_nop 7
	s_nop 2
	scratch_store_dwordx4 off, v[4:7], off offset:1528 ; 16-byte Folded Spill
	s_nop 0
	scratch_store_dwordx4 off, v[8:11], off offset:1544 ; 16-byte Folded Spill
	scratch_store_dwordx4 off, v[12:15], off offset:1560 ; 16-byte Folded Spill
	;; [unrolled: 1-line block ×3, first 2 shown]
	scratch_load_dwordx4 v[4:7], off, off offset:1984 ; 16-byte Folded Reload
	s_nop 0
	scratch_load_dwordx4 v[8:11], off, off offset:2000 ; 16-byte Folded Reload
	scratch_load_dwordx4 v[12:15], off, off offset:2016 ; 16-byte Folded Reload
	;; [unrolled: 1-line block ×3, first 2 shown]
	s_nop 0
	scratch_store_dwordx4 off, v[20:23], off offset:1920 ; 16-byte Folded Spill
	s_nop 0
	scratch_store_dwordx4 off, v[24:27], off offset:1936 ; 16-byte Folded Spill
	scratch_store_dwordx4 off, v[28:31], off offset:1952 ; 16-byte Folded Spill
	;; [unrolled: 1-line block ×4, first 2 shown]
	s_nop 0
	scratch_store_dwordx4 off, v[56:59], off offset:1872 ; 16-byte Folded Spill
	scratch_store_dwordx4 off, v[60:63], off offset:1888 ; 16-byte Folded Spill
	;; [unrolled: 1-line block ×3, first 2 shown]
	scratch_load_dwordx4 v[20:23], off, off offset:1464 ; 16-byte Folded Reload
	scratch_load_dwordx4 v[24:27], off, off offset:1480 ; 16-byte Folded Reload
	;; [unrolled: 1-line block ×4, first 2 shown]
	v_mov_b64_e32 v[52:53], v[38:39]
	v_mov_b64_e32 v[50:51], v[36:37]
	s_waitcnt vmcnt(12)
	v_mfma_f32_32x32x16_fp8_fp8 v[4:19], v[0:1], v[104:105], v[4:19]
	s_waitcnt vmcnt(0)
	v_mfma_f32_32x32x16_fp8_fp8 v[20:35], v[2:3], v[38:39], v[20:35]
	s_nop 7
	s_nop 2
	scratch_store_dwordx4 off, v[20:23], off offset:1464 ; 16-byte Folded Spill
	s_nop 0
	scratch_store_dwordx4 off, v[24:27], off offset:1480 ; 16-byte Folded Spill
	scratch_store_dwordx4 off, v[28:31], off offset:1496 ; 16-byte Folded Spill
	scratch_store_dwordx4 off, v[32:35], off offset:1512 ; 16-byte Folded Spill
	scratch_load_dwordx4 v[20:23], off, off offset:1592 ; 16-byte Folded Reload
	s_nop 0
	scratch_load_dwordx4 v[24:27], off, off offset:1608 ; 16-byte Folded Reload
	scratch_load_dwordx4 v[28:31], off, off offset:1624 ; 16-byte Folded Reload
	;; [unrolled: 1-line block ×3, first 2 shown]
	v_mov_b64_e32 v[36:37], v[80:81]
	v_mov_b64_e32 v[38:39], v[82:83]
	s_waitcnt vmcnt(0)
	v_mfma_f32_32x32x16_fp8_fp8 v[20:35], v[2:3], v[118:119], v[20:35]
	s_nop 7
	s_nop 2
	scratch_store_dwordx4 off, v[20:23], off offset:1592 ; 16-byte Folded Spill
	s_nop 0
	scratch_store_dwordx4 off, v[24:27], off offset:1608 ; 16-byte Folded Spill
	scratch_store_dwordx4 off, v[28:31], off offset:1624 ; 16-byte Folded Spill
	;; [unrolled: 1-line block ×3, first 2 shown]
	scratch_load_dwordx4 v[20:23], off, off offset:1528 ; 16-byte Folded Reload
	s_nop 0
	scratch_load_dwordx4 v[24:27], off, off offset:1544 ; 16-byte Folded Reload
	scratch_load_dwordx4 v[28:31], off, off offset:1560 ; 16-byte Folded Reload
	;; [unrolled: 1-line block ×3, first 2 shown]
	s_waitcnt vmcnt(0)
	v_mfma_f32_32x32x16_fp8_fp8 v[20:35], v[2:3], v[126:127], v[20:35]
	s_nop 7
	s_nop 2
	scratch_store_dwordx4 off, v[20:23], off offset:1528 ; 16-byte Folded Spill
	s_nop 0
	scratch_store_dwordx4 off, v[24:27], off offset:1544 ; 16-byte Folded Spill
	scratch_store_dwordx4 off, v[28:31], off offset:1560 ; 16-byte Folded Spill
	;; [unrolled: 1-line block ×3, first 2 shown]
	s_nop 1
	v_mov_b64_e32 v[32:33], v[104:105]
	v_mov_b64_e32 v[34:35], v[106:107]
	;; [unrolled: 1-line block ×3, first 2 shown]
	s_nop 0
	v_mfma_f32_32x32x16_fp8_fp8 v[4:19], v[2:3], v[34:35], v[4:19]
	s_nop 7
	s_nop 2
	scratch_store_dwordx4 off, v[4:7], off offset:1984 ; 16-byte Folded Spill
	s_nop 0
	scratch_store_dwordx4 off, v[8:11], off offset:2000 ; 16-byte Folded Spill
	scratch_store_dwordx4 off, v[12:15], off offset:2016 ; 16-byte Folded Spill
	;; [unrolled: 1-line block ×3, first 2 shown]
	scratch_load_dwordx4 v[0:3], off, off offset:2752 ; 16-byte Folded Reload
	s_nop 0
	scratch_load_dwordx4 v[4:7], off, off offset:2768 ; 16-byte Folded Reload
	scratch_load_dwordx4 v[8:11], off, off offset:2784 ; 16-byte Folded Reload
	;; [unrolled: 1-line block ×16, first 2 shown]
	s_waitcnt vmcnt(4)
	v_mfma_f32_32x32x16_fp8_fp8 v[72:87], v[122:123], v[48:49], v[72:87]
	s_waitcnt vmcnt(0)
	v_mfma_f32_32x32x16_fp8_fp8 v[104:119], v[122:123], v[50:51], v[104:119]
	scratch_load_dwordx4 v[48:51], off, off offset:1784 ; 16-byte Folded Reload
	scratch_load_dwordx4 v[52:55], off, off offset:1800 ; 16-byte Folded Reload
	;; [unrolled: 1-line block ×4, first 2 shown]
	v_mfma_f32_32x32x16_fp8_fp8 v[16:31], v[122:123], v[36:37], v[16:31]
	v_mov_b64_e32 v[36:37], v[46:47]
	v_mfma_f32_32x32x16_fp8_fp8 v[0:15], v[122:123], v[68:69], v[0:15]
	v_mfma_f32_32x32x16_fp8_fp8 v[0:15], v[124:125], v[70:71], v[0:15]
	;; [unrolled: 1-line block ×3, first 2 shown]
	s_waitcnt vmcnt(0)
	v_mfma_f32_32x32x16_fp8_fp8 v[48:63], v[122:123], v[44:45], v[48:63]
	s_nop 7
	s_nop 2
	scratch_store_dwordx4 off, v[48:51], off offset:1784 ; 16-byte Folded Spill
	s_nop 0
	scratch_store_dwordx4 off, v[52:55], off offset:1800 ; 16-byte Folded Spill
	scratch_store_dwordx4 off, v[56:59], off offset:1816 ; 16-byte Folded Spill
	;; [unrolled: 1-line block ×3, first 2 shown]
	scratch_load_dwordx4 v[44:47], off, off offset:1720 ; 16-byte Folded Reload
	s_nop 0
	scratch_load_dwordx4 v[48:51], off, off offset:1736 ; 16-byte Folded Reload
	scratch_load_dwordx4 v[52:55], off, off offset:1752 ; 16-byte Folded Reload
	;; [unrolled: 1-line block ×3, first 2 shown]
	s_waitcnt vmcnt(0)
	v_mfma_f32_32x32x16_fp8_fp8 v[44:59], v[122:123], v[40:41], v[44:59]
	s_nop 7
	s_nop 2
	scratch_store_dwordx4 off, v[44:47], off offset:1720 ; 16-byte Folded Spill
	s_nop 0
	scratch_store_dwordx4 off, v[48:51], off offset:1736 ; 16-byte Folded Spill
	scratch_store_dwordx4 off, v[52:55], off offset:1752 ; 16-byte Folded Spill
	;; [unrolled: 1-line block ×3, first 2 shown]
	scratch_load_dwordx4 v[40:43], off, off offset:2828 ; 16-byte Folded Reload
	s_nop 0
	scratch_load_dwordx4 v[44:47], off, off offset:2844 ; 16-byte Folded Reload
	scratch_load_dwordx4 v[48:51], off, off offset:2860 ; 16-byte Folded Reload
	;; [unrolled: 1-line block ×3, first 2 shown]
	s_nop 0
	scratch_store_dwordx4 off, v[100:103], off offset:496
	scratch_store_dwordx4 off, v[96:99], off offset:480
	scratch_store_dwordx4 off, v[92:95], off offset:464
	scratch_store_dwordx4 off, v[88:91], off offset:2624 ; 16-byte Folded Spill
	s_nop 0
	scratch_store_dwordx4 off, v[92:95], off offset:2640 ; 16-byte Folded Spill
	scratch_store_dwordx4 off, v[96:99], off offset:2656 ; 16-byte Folded Spill
	;; [unrolled: 1-line block ×3, first 2 shown]
	scratch_store_dwordx4 off, v[88:91], off offset:448
	scratch_load_dwordx4 v[88:91], off, off offset:1920 ; 16-byte Folded Reload
	s_nop 0
	scratch_load_dwordx4 v[92:95], off, off offset:1936 ; 16-byte Folded Reload
	scratch_load_dwordx4 v[96:99], off, off offset:1952 ; 16-byte Folded Reload
	;; [unrolled: 1-line block ×3, first 2 shown]
	s_waitcnt vmcnt(12)
	v_mfma_f32_32x32x16_fp8_fp8 v[40:55], v[122:123], v[32:33], v[40:55]
	s_waitcnt vmcnt(0)
	scratch_store_dwordx4 off, v[100:103], off offset:560
	scratch_store_dwordx4 off, v[96:99], off offset:544
	;; [unrolled: 1-line block ×4, first 2 shown]
	scratch_load_dwordx4 v[56:59], off, off offset:1856 ; 16-byte Folded Reload
	scratch_load_dwordx4 v[60:63], off, off offset:1872 ; 16-byte Folded Reload
	;; [unrolled: 1-line block ×4, first 2 shown]
	v_mov_b64_e32 v[122:123], v[34:35]
	s_waitcnt vmcnt(0)
	scratch_store_dwordx4 off, v[68:71], off offset:624
	scratch_store_dwordx4 off, v[64:67], off offset:608
	;; [unrolled: 1-line block ×4, first 2 shown]
	scratch_load_dwordx4 v[88:91], off, off offset:1464 ; 16-byte Folded Reload
	scratch_load_dwordx4 v[92:95], off, off offset:1480 ; 16-byte Folded Reload
	;; [unrolled: 1-line block ×4, first 2 shown]
	s_waitcnt vmcnt(0)
	scratch_store_dwordx4 off, v[100:103], off offset:688
	scratch_store_dwordx4 off, v[96:99], off offset:672
	scratch_store_dwordx4 off, v[92:95], off offset:656
	scratch_store_dwordx4 off, v[88:91], off offset:640
	scratch_load_dwordx4 v[56:59], off, off offset:1592 ; 16-byte Folded Reload
	scratch_load_dwordx4 v[60:63], off, off offset:1608 ; 16-byte Folded Reload
	;; [unrolled: 1-line block ×4, first 2 shown]
	s_waitcnt vmcnt(0)
	scratch_store_dwordx4 off, v[68:71], off offset:752
	scratch_store_dwordx4 off, v[64:67], off offset:736
	;; [unrolled: 1-line block ×4, first 2 shown]
	scratch_load_dwordx4 v[56:59], off, off offset:1528 ; 16-byte Folded Reload
	s_nop 0
	scratch_load_dwordx4 v[60:63], off, off offset:1544 ; 16-byte Folded Reload
	scratch_load_dwordx4 v[64:67], off, off offset:1560 ; 16-byte Folded Reload
	;; [unrolled: 1-line block ×4, first 2 shown]
	s_waitcnt vmcnt(0)
	v_mfma_f32_32x32x16_fp8_fp8 v[72:87], v[124:125], v[34:35], v[72:87]
	scratch_store_dwordx4 off, v[68:71], off offset:816
	scratch_store_dwordx4 off, v[64:67], off offset:800
	;; [unrolled: 1-line block ×4, first 2 shown]
	scratch_load_dwordx4 v[56:59], off, off offset:1984 ; 16-byte Folded Reload
	s_nop 0
	scratch_load_dwordx4 v[60:63], off, off offset:2000 ; 16-byte Folded Reload
	scratch_load_dwordx4 v[64:67], off, off offset:2016 ; 16-byte Folded Reload
	scratch_load_dwordx4 v[68:71], off, off offset:2032 ; 16-byte Folded Reload
	s_waitcnt vmcnt(0)
	scratch_store_dwordx4 off, v[68:71], off offset:880
	scratch_store_dwordx4 off, v[64:67], off offset:864
	;; [unrolled: 1-line block ×4, first 2 shown]
	scratch_load_dwordx4 v[32:35], off, off offset:2080 ; 16-byte Folded Reload
	s_nop 0
	scratch_store_dwordx4 off, v[12:15], off offset:944
	scratch_store_dwordx4 off, v[8:11], off offset:928
	;; [unrolled: 1-line block ×3, first 2 shown]
	scratch_store_dwordx4 off, v[0:3], off offset:2752 ; 16-byte Folded Spill
	s_nop 0
	scratch_store_dwordx4 off, v[4:7], off offset:2768 ; 16-byte Folded Spill
	scratch_store_dwordx4 off, v[8:11], off offset:2784 ; 16-byte Folded Spill
	;; [unrolled: 1-line block ×3, first 2 shown]
	scratch_store_dwordx4 off, v[0:3], off offset:896
	scratch_store_dwordx4 off, v[28:31], off offset:1008
	;; [unrolled: 1-line block ×4, first 2 shown]
	scratch_load_dwordx4 v[0:3], off, off offset:1784 ; 16-byte Folded Reload
	s_nop 0
	scratch_load_dwordx4 v[4:7], off, off offset:1800 ; 16-byte Folded Reload
	scratch_load_dwordx4 v[8:11], off, off offset:1816 ; 16-byte Folded Reload
	scratch_load_dwordx4 v[12:15], off, off offset:1832 ; 16-byte Folded Reload
	s_nop 0
	scratch_store_dwordx4 off, v[16:19], off offset:2688 ; 16-byte Folded Spill
	s_nop 0
	scratch_store_dwordx4 off, v[20:23], off offset:2704 ; 16-byte Folded Spill
	scratch_store_dwordx4 off, v[24:27], off offset:2720 ; 16-byte Folded Spill
	;; [unrolled: 1-line block ×3, first 2 shown]
	s_waitcnt vmcnt(19)
	v_mfma_f32_32x32x16_fp8_fp8 v[104:119], v[124:125], v[34:35], v[104:119]
	s_waitcnt vmcnt(4)
	v_mfma_f32_32x32x16_fp8_fp8 v[0:15], v[124:125], v[36:37], v[0:15]
	scratch_load_dwordx4 v[24:27], off, off offset:1720 ; 16-byte Folded Reload
	scratch_load_dwordx4 v[28:31], off, off offset:1736 ; 16-byte Folded Reload
	;; [unrolled: 1-line block ×4, first 2 shown]
	s_nop 0
	scratch_store_dwordx4 off, v[16:19], off offset:960
	scratch_store_dwordx4 off, v[84:87], off offset:1072
	;; [unrolled: 1-line block ×4, first 2 shown]
	scratch_store_dwordx4 off, v[72:75], off offset:2560 ; 16-byte Folded Spill
	s_nop 0
	scratch_store_dwordx4 off, v[76:79], off offset:2576 ; 16-byte Folded Spill
	scratch_store_dwordx4 off, v[80:83], off offset:2592 ; 16-byte Folded Spill
	;; [unrolled: 1-line block ×3, first 2 shown]
	scratch_store_dwordx4 off, v[72:75], off offset:1024
	scratch_store_dwordx4 off, v[116:119], off offset:1136
	;; [unrolled: 1-line block ×3, first 2 shown]
	v_mov_b64_e32 v[18:19], v[122:123]
	v_mov_b64_e32 v[16:17], v[14:15]
	s_nop 0
	v_mfma_f32_32x32x16_fp8_fp8 v[40:55], v[124:125], v[18:19], v[40:55]
	v_mov_b64_e32 v[14:15], v[12:13]
	v_mov_b64_e32 v[12:13], v[10:11]
	;; [unrolled: 1-line block ×7, first 2 shown]
	s_waitcnt vmcnt(11)
	v_mfma_f32_32x32x16_fp8_fp8 v[24:39], v[124:125], v[126:127], v[24:39]
	scratch_store_dwordx4 off, v[108:111], off offset:1104
	scratch_store_dwordx4 off, v[104:107], off offset:2496 ; 16-byte Folded Spill
	s_nop 0
	scratch_store_dwordx4 off, v[108:111], off offset:2512 ; 16-byte Folded Spill
	scratch_store_dwordx4 off, v[112:115], off offset:2528 ; 16-byte Folded Spill
	;; [unrolled: 1-line block ×3, first 2 shown]
	scratch_store_dwordx4 off, v[104:107], off offset:1088
	scratch_store_dwordx4 off, v[14:17], off offset:1200
	;; [unrolled: 1-line block ×13, first 2 shown]
	scratch_load_dwordx4 v[56:59], off, off offset:1656 ; 16-byte Folded Reload
	scratch_load_dwordx4 v[60:63], off, off offset:1672 ; 16-byte Folded Reload
	;; [unrolled: 1-line block ×4, first 2 shown]
	s_waitcnt vmcnt(0)
	v_mfma_f32_32x32x16_fp8_fp8 v[56:71], v[120:121], v[18:19], v[56:71]
	s_nop 7
	s_nop 2
	scratch_store_dwordx4 off, v[56:59], off offset:1656 ; 16-byte Folded Spill
	s_nop 0
	scratch_store_dwordx4 off, v[60:63], off offset:1672 ; 16-byte Folded Spill
	scratch_store_dwordx4 off, v[64:67], off offset:1688 ; 16-byte Folded Spill
	;; [unrolled: 1-line block ×3, first 2 shown]
.LBB79_11:                              ;   in Loop: Header=BB79_12 Depth=2
	s_or_b64 exec, exec, s[2:3]
	scratch_load_dwordx2 v[0:1], off, off offset:1456 ; 8-byte Folded Reload
	s_addk_i32 s43, 0x400
	s_cmp_ge_u32 s43, s20
	s_waitcnt vmcnt(0)
	v_add_u32_e32 v0, 0x400, v0
	scratch_store_dwordx2 off, v[0:1], off offset:1456 ; 8-byte Folded Spill
	scratch_load_dwordx2 v[20:21], off, off offset:1848 ; 8-byte Folded Reload
	scratch_load_dword v22, off, off offset:2824 ; 4-byte Folded Reload
	s_cbranch_scc1 .LBB79_27
.LBB79_12:                              ;   Parent Loop BB79_8 Depth=1
                                        ; =>  This Loop Header: Depth=2
                                        ;       Child Loop BB79_14 Depth 3
	scratch_load_dwordx2 v[0:1], off, off offset:2816 ; 8-byte Folded Reload
	s_waitcnt vmcnt(0)
	v_add_u32_e32 v84, s43, v0
	v_cmp_gt_u32_e32 vcc, s20, v84
	s_and_saveexec_b64 s[2:3], vcc
	s_cbranch_execz .LBB79_11
; %bb.13:                               ;   in Loop: Header=BB79_12 Depth=2
	scratch_load_dwordx2 v[0:1], off, off offset:1456 ; 8-byte Folded Reload
	v_mov_b32_e32 v82, 0x540
	s_mov_b32 s5, 0
	s_mov_b64 s[6:7], 0
	s_waitcnt vmcnt(0) lgkmcnt(0)
	v_lshl_add_u64 v[80:81], s[26:27], 0, v[0:1]
	scratch_load_dwordx2 v[0:1], off, off offset:1848 ; 8-byte Folded Reload
.LBB79_14:                              ;   Parent Loop BB79_8 Depth=1
                                        ;     Parent Loop BB79_12 Depth=2
                                        ; =>    This Inner Loop Header: Depth=3
	global_load_dwordx4 v[86:89], v[80:81], off nt
	s_add_i32 s10, s5, 1
	s_cmp_gt_u32 s5, 5
	s_waitcnt vmcnt(1)
	v_add_u32_e32 v83, s10, v0
	s_cselect_b64 s[8:9], -1, 0
	v_cmp_le_u32_e32 vcc, s22, v83
	s_or_b64 s[8:9], s[8:9], vcc
	s_and_b64 s[8:9], exec, s[8:9]
	v_lshl_add_u64 v[80:81], v[80:81], 0, s[34:35]
	s_or_b64 s[6:7], s[8:9], s[6:7]
	s_mov_b32 s5, s10
	s_waitcnt vmcnt(0)
	scratch_store_dwordx4 v82, v[86:89], off
	v_add_u32_e32 v82, 16, v82
	s_andn2_b64 exec, exec, s[6:7]
	s_cbranch_execnz .LBB79_14
; %bb.15:                               ;   in Loop: Header=BB79_12 Depth=2
	s_or_b64 exec, exec, s[6:7]
	v_cmp_lt_u32_e32 vcc, s21, v84
                                        ; implicit-def: $vgpr120_vgpr121
	s_and_saveexec_b64 s[6:7], vcc
	s_xor_b64 s[6:7], exec, s[6:7]
	s_cbranch_execz .LBB79_17
; %bb.16:                               ;   in Loop: Header=BB79_12 Depth=2
	global_load_dwordx4 v[120:123], v84, s[24:25]
.LBB79_17:                              ;   in Loop: Header=BB79_12 Depth=2
	s_andn2_saveexec_b64 s[6:7], s[6:7]
	s_cbranch_execz .LBB79_19
; %bb.18:                               ;   in Loop: Header=BB79_12 Depth=2
	s_waitcnt vmcnt(0)
	ds_read_b128 v[120:123], v84
.LBB79_19:                              ;   in Loop: Header=BB79_12 Depth=2
	s_or_b64 exec, exec, s[6:7]
	v_add_u32_e32 v84, s20, v84
	v_cmp_lt_u32_e32 vcc, s21, v84
                                        ; implicit-def: $vgpr0_vgpr1
	scratch_store_dwordx4 off, v[0:3], off offset:2064 ; 16-byte Folded Spill
	s_and_saveexec_b64 s[6:7], vcc
	s_xor_b64 s[6:7], exec, s[6:7]
	s_cbranch_execz .LBB79_21
; %bb.20:                               ;   in Loop: Header=BB79_12 Depth=2
	global_load_dwordx4 v[56:59], v84, s[24:25]
	s_waitcnt vmcnt(0)
	scratch_store_dwordx4 off, v[56:59], off offset:2064 ; 16-byte Folded Spill
.LBB79_21:                              ;   in Loop: Header=BB79_12 Depth=2
	s_andn2_saveexec_b64 s[6:7], s[6:7]
	s_cbranch_execz .LBB79_23
; %bb.22:                               ;   in Loop: Header=BB79_12 Depth=2
	ds_read_b128 v[56:59], v84
	s_waitcnt lgkmcnt(0)
	scratch_store_dwordx4 off, v[56:59], off offset:2064 ; 16-byte Folded Spill
.LBB79_23:                              ;   in Loop: Header=BB79_12 Depth=2
	s_or_b64 exec, exec, s[6:7]
	v_add_u32_e32 v88, s20, v84
	v_cmp_lt_u32_e32 vcc, s21, v88
                                        ; implicit-def: $vgpr0_vgpr1
	scratch_store_dwordx4 off, v[0:3], off offset:2048 ; 16-byte Folded Spill
	s_and_saveexec_b64 s[6:7], vcc
	s_xor_b64 s[6:7], exec, s[6:7]
	s_cbranch_execz .LBB79_25
; %bb.24:                               ;   in Loop: Header=BB79_12 Depth=2
	global_load_dwordx4 v[56:59], v88, s[24:25]
                                        ; implicit-def: $vgpr88
	s_waitcnt vmcnt(0)
	scratch_store_dwordx4 off, v[56:59], off offset:2048 ; 16-byte Folded Spill
.LBB79_25:                              ;   in Loop: Header=BB79_12 Depth=2
	s_or_saveexec_b64 s[6:7], s[6:7]
	scratch_store_dwordx4 off, v[2:5], off offset:1784 ; 16-byte Folded Spill
	s_nop 0
	scratch_store_dwordx4 off, v[6:9], off offset:1800 ; 16-byte Folded Spill
	scratch_store_dwordx4 off, v[10:13], off offset:1816 ; 16-byte Folded Spill
	scratch_store_dwordx4 off, v[14:17], off offset:1832 ; 16-byte Folded Spill
	scratch_store_dwordx4 off, v[24:27], off offset:1720 ; 16-byte Folded Spill
	s_nop 0
	scratch_store_dwordx4 off, v[28:31], off offset:1736 ; 16-byte Folded Spill
	scratch_store_dwordx4 off, v[32:35], off offset:1752 ; 16-byte Folded Spill
	scratch_store_dwordx4 off, v[36:39], off offset:1768 ; 16-byte Folded Spill
	;; [unrolled: 5-line block ×3, first 2 shown]
	s_xor_b64 exec, exec, s[6:7]
	s_cbranch_execz .LBB79_10
; %bb.26:                               ;   in Loop: Header=BB79_12 Depth=2
	ds_read_b128 v[0:3], v88
	s_waitcnt lgkmcnt(0)
	scratch_store_dwordx4 off, v[0:3], off offset:2048 ; 16-byte Folded Spill
	s_branch .LBB79_10
.LBB79_27:                              ;   in Loop: Header=BB79_8 Depth=1
	scratch_load_dwordx4 v[0:3], off, off offset:2432 ; 16-byte Folded Reload
	scratch_load_dwordx4 v[4:7], off, off offset:2448 ; 16-byte Folded Reload
	scratch_load_dwordx4 v[8:11], off, off offset:2464 ; 16-byte Folded Reload
	scratch_load_dwordx4 v[12:15], off, off offset:2480 ; 16-byte Folded Reload
	s_waitcnt vmcnt(0)
	scratch_store_dwordx4 off, v[12:15], off offset:176
	scratch_store_dwordx4 off, v[8:11], off offset:160
	scratch_store_dwordx4 off, v[4:7], off offset:144
	scratch_store_dwordx4 off, v[0:3], off offset:128
	scratch_load_dwordx4 v[0:3], off, off offset:2368 ; 16-byte Folded Reload
	s_nop 0
	scratch_load_dwordx4 v[4:7], off, off offset:2384 ; 16-byte Folded Reload
	scratch_load_dwordx4 v[8:11], off, off offset:2400 ; 16-byte Folded Reload
	scratch_load_dwordx4 v[12:15], off, off offset:2416 ; 16-byte Folded Reload
	s_waitcnt vmcnt(0)
	scratch_store_dwordx4 off, v[12:15], off offset:240
	scratch_store_dwordx4 off, v[8:11], off offset:224
	scratch_store_dwordx4 off, v[4:7], off offset:208
	scratch_store_dwordx4 off, v[0:3], off offset:192
	scratch_load_dwordx4 v[0:3], off, off offset:2304 ; 16-byte Folded Reload
	s_nop 0
	scratch_load_dwordx4 v[4:7], off, off offset:2320 ; 16-byte Folded Reload
	scratch_load_dwordx4 v[8:11], off, off offset:2336 ; 16-byte Folded Reload
	scratch_load_dwordx4 v[12:15], off, off offset:2352 ; 16-byte Folded Reload
	;; [unrolled: 10-line block ×5, first 2 shown]
	s_waitcnt vmcnt(0)
	scratch_store_dwordx4 off, v[12:15], off offset:48
	scratch_store_dwordx4 off, v[8:11], off offset:32
	;; [unrolled: 1-line block ×3, first 2 shown]
	scratch_store_dwordx4 off, v[0:3], off
	scratch_load_dwordx4 v[0:3], off, off offset:2112 ; 16-byte Folded Reload
	s_nop 0
	scratch_load_dwordx4 v[4:7], off, off offset:2128 ; 16-byte Folded Reload
	scratch_load_dwordx4 v[8:11], off, off offset:2144 ; 16-byte Folded Reload
	;; [unrolled: 1-line block ×3, first 2 shown]
	s_waitcnt vmcnt(0)
	scratch_store_dwordx4 off, v[12:15], off offset:112
	scratch_store_dwordx4 off, v[8:11], off offset:96
	;; [unrolled: 1-line block ×4, first 2 shown]
.LBB79_28:                              ;   in Loop: Header=BB79_8 Depth=1
	s_mov_b32 s2, 0
.LBB79_29:                              ;   Parent Loop BB79_8 Depth=1
                                        ; =>  This Inner Loop Header: Depth=2
	s_add_i32 s3, s2, 0
	scratch_load_dwordx4 v[0:3], off, s3 offset:48
	scratch_load_dwordx4 v[4:7], off, s3 offset:32
	scratch_load_dwordx4 v[8:11], off, s3
	scratch_load_dwordx4 v[12:15], off, s3 offset:16
	s_add_i32 s2, s2, 64
	s_cmpk_lg_i32 s2, 0x1c0
	s_waitcnt vmcnt(2)
	;;#ASMSTART
	v_add_f32 v4, v5, v4 row_shl:1 bound_ctrl:0 
	;;#ASMEND
	s_nop 0
	;;#ASMSTART
	v_add_f32 v4, v6, v4 row_shl:2 bound_ctrl:0 
	;;#ASMEND
	s_waitcnt vmcnt(1)
	;;#ASMSTART
	v_add_f32 v8, v9, v8 row_shl:1 bound_ctrl:0 
	;;#ASMEND
	;;#ASMSTART
	v_add_f32 v4, v7, v4 row_shl:3 bound_ctrl:0 
	;;#ASMEND
	s_nop 0
	;;#ASMSTART
	v_add_f32 v8, v10, v8 row_shl:2 bound_ctrl:0 
	;;#ASMEND
	;;#ASMSTART
	v_add_f32 v4, v0, v4 row_shl:8 bound_ctrl:0 
	;;#ASMEND
	s_nop 0
	;;#ASMSTART
	v_add_f32 v8, v11, v8 row_shl:3 bound_ctrl:0 
	;;#ASMEND
	;;#ASMSTART
	v_add_f32 v4, v1, v4 row_shl:9 bound_ctrl:0 
	;;#ASMEND
	s_waitcnt vmcnt(0)
	;;#ASMSTART
	v_add_f32 v8, v12, v8 row_shl:8 bound_ctrl:0 
	;;#ASMEND
	;;#ASMSTART
	v_add_f32 v4, v2, v4 row_shl:10 bound_ctrl:0 
	;;#ASMEND
	s_nop 0
	;;#ASMSTART
	v_add_f32 v8, v13, v8 row_shl:9 bound_ctrl:0 
	;;#ASMEND
	;;#ASMSTART
	v_add_f32 v4, v3, v4 row_shl:11 bound_ctrl:0 
	;;#ASMEND
	ds_bpermute_b32 v0, v22, v4 offset:208
	;;#ASMSTART
	v_add_f32 v8, v14, v8 row_shl:10 bound_ctrl:0 
	;;#ASMEND
	s_waitcnt lgkmcnt(0)
	v_add_f32_e32 v0, v4, v0
	;;#ASMSTART
	v_add_f32 v8, v15, v8 row_shl:11 bound_ctrl:0 
	;;#ASMEND
	ds_bpermute_b32 v1, v22, v8 offset:144
	ds_bpermute_b32 v0, v22, v0 offset:64
	s_waitcnt lgkmcnt(1)
	v_add_f32_e32 v1, v8, v1
	s_waitcnt lgkmcnt(0)
	v_add_f32_e32 v0, v1, v0
	scratch_store_dword off, v0, s3
	s_cbranch_scc1 .LBB79_29
; %bb.30:                               ;   in Loop: Header=BB79_8 Depth=1
	v_or_b32_e32 v0, 0x90, v22
	v_or_b32_e32 v1, 0xd0, v22
	;; [unrolled: 1-line block ×3, first 2 shown]
	s_movk_i32 s2, 0x1c0
.LBB79_31:                              ;   Parent Loop BB79_8 Depth=1
                                        ; =>  This Inner Loop Header: Depth=2
	s_add_i32 s3, s2, 0
	scratch_load_dwordx4 v[4:7], off, s3 offset:48
	scratch_load_dwordx4 v[8:11], off, s3 offset:32
	scratch_load_dwordx4 v[12:15], off, s3
	scratch_load_dwordx4 v[16:19], off, s3 offset:16
	s_add_i32 s2, s2, 64
	s_cmpk_lg_i32 s2, 0x380
	s_waitcnt vmcnt(2)
	;;#ASMSTART
	v_add_f32 v8, v9, v8 row_shl:1 bound_ctrl:0 
	;;#ASMEND
	s_nop 0
	;;#ASMSTART
	v_add_f32 v8, v10, v8 row_shl:2 bound_ctrl:0 
	;;#ASMEND
	s_waitcnt vmcnt(1)
	;;#ASMSTART
	v_add_f32 v12, v13, v12 row_shl:1 bound_ctrl:0 
	;;#ASMEND
	;;#ASMSTART
	v_add_f32 v8, v11, v8 row_shl:3 bound_ctrl:0 
	;;#ASMEND
	s_nop 0
	;;#ASMSTART
	v_add_f32 v12, v14, v12 row_shl:2 bound_ctrl:0 
	;;#ASMEND
	;;#ASMSTART
	v_add_f32 v8, v4, v8 row_shl:8 bound_ctrl:0 
	;;#ASMEND
	s_nop 0
	;;#ASMSTART
	v_add_f32 v12, v15, v12 row_shl:3 bound_ctrl:0 
	;;#ASMEND
	;;#ASMSTART
	v_add_f32 v8, v5, v8 row_shl:9 bound_ctrl:0 
	;;#ASMEND
	s_waitcnt vmcnt(0)
	;;#ASMSTART
	v_add_f32 v12, v16, v12 row_shl:8 bound_ctrl:0 
	;;#ASMEND
	;;#ASMSTART
	v_add_f32 v8, v6, v8 row_shl:10 bound_ctrl:0 
	;;#ASMEND
	s_nop 0
	;;#ASMSTART
	v_add_f32 v12, v17, v12 row_shl:9 bound_ctrl:0 
	;;#ASMEND
	;;#ASMSTART
	v_add_f32 v8, v7, v8 row_shl:11 bound_ctrl:0 
	;;#ASMEND
	ds_bpermute_b32 v3, v1, v8
	;;#ASMSTART
	v_add_f32 v12, v18, v12 row_shl:10 bound_ctrl:0 
	;;#ASMEND
	s_waitcnt lgkmcnt(0)
	v_add_f32_e32 v3, v8, v3
	;;#ASMSTART
	v_add_f32 v12, v19, v12 row_shl:11 bound_ctrl:0 
	;;#ASMEND
	ds_bpermute_b32 v4, v0, v12
	ds_bpermute_b32 v3, v2, v3
	s_waitcnt lgkmcnt(1)
	v_add_f32_e32 v4, v12, v4
	s_waitcnt lgkmcnt(0)
	v_add_f32_e32 v3, v4, v3
	scratch_store_dword off, v3, s3
	s_cbranch_scc1 .LBB79_31
; %bb.32:                               ;   in Loop: Header=BB79_8 Depth=1
	s_movk_i32 s2, 0x380
.LBB79_33:                              ;   Parent Loop BB79_8 Depth=1
                                        ; =>  This Inner Loop Header: Depth=2
	s_add_i32 s3, s2, 0
	scratch_load_dwordx4 v[4:7], off, s3 offset:48
	scratch_load_dwordx4 v[8:11], off, s3 offset:32
	scratch_load_dwordx4 v[12:15], off, s3
	scratch_load_dwordx4 v[16:19], off, s3 offset:16
	s_add_i32 s2, s2, 64
	s_cmpk_lg_i32 s2, 0x540
	s_waitcnt vmcnt(2)
	;;#ASMSTART
	v_add_f32 v8, v9, v8 row_shl:1 bound_ctrl:0 
	;;#ASMEND
	s_nop 0
	;;#ASMSTART
	v_add_f32 v8, v10, v8 row_shl:2 bound_ctrl:0 
	;;#ASMEND
	s_waitcnt vmcnt(1)
	;;#ASMSTART
	v_add_f32 v12, v13, v12 row_shl:1 bound_ctrl:0 
	;;#ASMEND
	;;#ASMSTART
	v_add_f32 v8, v11, v8 row_shl:3 bound_ctrl:0 
	;;#ASMEND
	s_nop 0
	;;#ASMSTART
	v_add_f32 v12, v14, v12 row_shl:2 bound_ctrl:0 
	;;#ASMEND
	;;#ASMSTART
	v_add_f32 v8, v4, v8 row_shl:8 bound_ctrl:0 
	;;#ASMEND
	s_nop 0
	;;#ASMSTART
	v_add_f32 v12, v15, v12 row_shl:3 bound_ctrl:0 
	;;#ASMEND
	;;#ASMSTART
	v_add_f32 v8, v5, v8 row_shl:9 bound_ctrl:0 
	;;#ASMEND
	s_waitcnt vmcnt(0)
	;;#ASMSTART
	v_add_f32 v12, v16, v12 row_shl:8 bound_ctrl:0 
	;;#ASMEND
	;;#ASMSTART
	v_add_f32 v8, v6, v8 row_shl:10 bound_ctrl:0 
	;;#ASMEND
	s_nop 0
	;;#ASMSTART
	v_add_f32 v12, v17, v12 row_shl:9 bound_ctrl:0 
	;;#ASMEND
	;;#ASMSTART
	v_add_f32 v8, v7, v8 row_shl:11 bound_ctrl:0 
	;;#ASMEND
	ds_bpermute_b32 v3, v1, v8
	;;#ASMSTART
	v_add_f32 v12, v18, v12 row_shl:10 bound_ctrl:0 
	;;#ASMEND
	s_waitcnt lgkmcnt(0)
	v_add_f32_e32 v3, v8, v3
	;;#ASMSTART
	v_add_f32 v12, v19, v12 row_shl:11 bound_ctrl:0 
	;;#ASMEND
	ds_bpermute_b32 v4, v0, v12
	ds_bpermute_b32 v3, v2, v3
	s_waitcnt lgkmcnt(1)
	v_add_f32_e32 v4, v12, v4
	s_waitcnt lgkmcnt(0)
	v_add_f32_e32 v3, v4, v3
	scratch_store_dword off, v3, s3
	s_cbranch_scc1 .LBB79_33
; %bb.34:                               ;   in Loop: Header=BB79_8 Depth=1
	s_and_saveexec_b64 s[6:7], s[0:1]
	s_cbranch_execz .LBB79_7
; %bb.35:                               ;   in Loop: Header=BB79_8 Depth=1
	scratch_load_dwordx4 v[0:3], off, off
                                        ; implicit-def: $vgpr2
	s_waitcnt vmcnt(0)
	v_mul_f32_e32 v0, s23, v0
	v_mul_f32_e32 v0, s33, v0
	v_and_b32_e32 v1, 0x7f800000, v0
	v_cmp_ne_u32_e32 vcc, s41, v1
	s_and_saveexec_b64 s[2:3], vcc
	s_xor_b64 s[2:3], exec, s[2:3]
; %bb.36:                               ;   in Loop: Header=BB79_8 Depth=1
	v_bfe_u32 v1, v0, 16, 1
	v_add3_u32 v2, v0, v1, s42
                                        ; implicit-def: $vgpr0
; %bb.37:                               ;   in Loop: Header=BB79_8 Depth=1
	s_andn2_saveexec_b64 s[2:3], s[2:3]
	s_cbranch_execz .LBB79_39
; %bb.38:                               ;   in Loop: Header=BB79_8 Depth=1
	scratch_load_dwordx2 v[2:3], off, off offset:1456 ; 8-byte Folded Reload
	v_or_b32_e32 v1, 0x10000, v0
	s_waitcnt vmcnt(0)
	v_cmp_eq_u32_sdwa vcc, v0, v3 src0_sel:WORD_0 src1_sel:DWORD
	s_nop 1
	v_cndmask_b32_e32 v2, v1, v0, vcc
.LBB79_39:                              ;   in Loop: Header=BB79_8 Depth=1
	s_or_b64 exec, exec, s[2:3]
	scratch_load_dwordx2 v[0:1], off, off offset:1456 ; 8-byte Folded Reload
	s_waitcnt vmcnt(0)
	v_mov_b32_e32 v21, v1
	v_lshl_add_u64 v[0:1], v[20:21], 1, s[28:29]
	global_store_short_d16_hi v[0:1], v2, off
	v_add_u32_e32 v2, 1, v20
	v_cmp_gt_u32_e32 vcc, s22, v2
	s_and_saveexec_b64 s[8:9], vcc
	s_cbranch_execz .LBB79_70
; %bb.40:                               ;   in Loop: Header=BB79_8 Depth=1
	scratch_load_dwordx4 v[4:7], off, off offset:64
	s_waitcnt vmcnt(0)
	v_mul_f32_e32 v3, s23, v4
	v_mul_f32_e32 v3, s33, v3
	v_and_b32_e32 v4, 0x7f800000, v3
	v_cmp_ne_u32_e64 s[2:3], s41, v4
                                        ; implicit-def: $vgpr4
	s_and_saveexec_b64 s[10:11], s[2:3]
	s_xor_b64 s[2:3], exec, s[10:11]
; %bb.41:                               ;   in Loop: Header=BB79_8 Depth=1
	v_bfe_u32 v4, v3, 16, 1
	v_add3_u32 v4, v3, v4, s42
                                        ; implicit-def: $vgpr3
; %bb.42:                               ;   in Loop: Header=BB79_8 Depth=1
	s_andn2_saveexec_b64 s[10:11], s[2:3]
	s_cbranch_execz .LBB79_44
; %bb.43:                               ;   in Loop: Header=BB79_8 Depth=1
	scratch_load_dwordx2 v[6:7], off, off offset:1456 ; 8-byte Folded Reload
	v_or_b32_e32 v4, 0x10000, v3
	s_waitcnt vmcnt(0)
	v_cmp_eq_u32_sdwa s[2:3], v3, v7 src0_sel:WORD_0 src1_sel:DWORD
	s_nop 1
	v_cndmask_b32_e64 v4, v4, v3, s[2:3]
.LBB79_44:                              ;   in Loop: Header=BB79_8 Depth=1
	s_or_b64 exec, exec, s[10:11]
	v_add_u32_e32 v3, 2, v20
	v_cmp_gt_u32_e64 s[2:3], s22, v3
	global_store_short_d16_hi v[0:1], v4, off offset:2
	s_and_b64 exec, exec, s[2:3]
	s_cbranch_execz .LBB79_70
; %bb.45:                               ;   in Loop: Header=BB79_8 Depth=1
	scratch_load_dwordx4 v[4:7], off, off offset:128
	s_waitcnt vmcnt(0)
	v_mul_f32_e32 v3, s23, v4
	v_mul_f32_e32 v3, s33, v3
	v_and_b32_e32 v4, 0x7f800000, v3
	v_cmp_ne_u32_e64 s[2:3], s41, v4
                                        ; implicit-def: $vgpr4
	s_and_saveexec_b64 s[10:11], s[2:3]
	s_xor_b64 s[2:3], exec, s[10:11]
; %bb.46:                               ;   in Loop: Header=BB79_8 Depth=1
	v_bfe_u32 v4, v3, 16, 1
	v_add3_u32 v4, v3, v4, s42
                                        ; implicit-def: $vgpr3
; %bb.47:                               ;   in Loop: Header=BB79_8 Depth=1
	s_andn2_saveexec_b64 s[10:11], s[2:3]
	s_cbranch_execz .LBB79_49
; %bb.48:                               ;   in Loop: Header=BB79_8 Depth=1
	scratch_load_dwordx2 v[6:7], off, off offset:1456 ; 8-byte Folded Reload
	v_or_b32_e32 v4, 0x10000, v3
	s_waitcnt vmcnt(0)
	v_cmp_eq_u32_sdwa s[2:3], v3, v7 src0_sel:WORD_0 src1_sel:DWORD
	s_nop 1
	v_cndmask_b32_e64 v4, v4, v3, s[2:3]
.LBB79_49:                              ;   in Loop: Header=BB79_8 Depth=1
	s_or_b64 exec, exec, s[10:11]
	v_add_u32_e32 v3, 3, v20
	v_cmp_gt_u32_e64 s[2:3], s22, v3
	global_store_short_d16_hi v[0:1], v4, off offset:4
	s_and_b64 exec, exec, s[2:3]
	;; [unrolled: 31-line block ×5, first 2 shown]
	s_cbranch_execz .LBB79_70
; %bb.65:                               ;   in Loop: Header=BB79_8 Depth=1
	scratch_load_dwordx4 v[4:7], off, off offset:384
	s_waitcnt vmcnt(0)
	v_mul_f32_e32 v3, s23, v4
	v_mul_f32_e32 v3, s33, v3
	v_and_b32_e32 v4, 0x7f800000, v3
	v_cmp_ne_u32_e64 s[2:3], s41, v4
                                        ; implicit-def: $vgpr4
	s_and_saveexec_b64 s[10:11], s[2:3]
	s_xor_b64 s[2:3], exec, s[10:11]
; %bb.66:                               ;   in Loop: Header=BB79_8 Depth=1
	v_bfe_u32 v4, v3, 16, 1
	v_add3_u32 v4, v3, v4, s42
                                        ; implicit-def: $vgpr3
; %bb.67:                               ;   in Loop: Header=BB79_8 Depth=1
	s_andn2_saveexec_b64 s[10:11], s[2:3]
	s_cbranch_execz .LBB79_69
; %bb.68:                               ;   in Loop: Header=BB79_8 Depth=1
	scratch_load_dwordx2 v[6:7], off, off offset:1456 ; 8-byte Folded Reload
	v_or_b32_e32 v4, 0x10000, v3
	s_waitcnt vmcnt(0)
	v_cmp_eq_u32_sdwa s[2:3], v3, v7 src0_sel:WORD_0 src1_sel:DWORD
	s_nop 1
	v_cndmask_b32_e64 v4, v4, v3, s[2:3]
.LBB79_69:                              ;   in Loop: Header=BB79_8 Depth=1
	s_or_b64 exec, exec, s[10:11]
	global_store_short_d16_hi v[0:1], v4, off offset:12
.LBB79_70:                              ;   in Loop: Header=BB79_8 Depth=1
	s_or_b64 exec, exec, s[8:9]
	scratch_load_dwordx4 v[4:7], off, off offset:448
	s_waitcnt vmcnt(0)
	v_mul_f32_e32 v0, s23, v4
	v_mul_f32_e32 v1, s33, v0
	v_and_b32_e32 v0, 0x7f800000, v1
	v_cmp_ne_u32_e64 s[2:3], s41, v0
                                        ; implicit-def: $vgpr0
	s_and_saveexec_b64 s[8:9], s[2:3]
	s_xor_b64 s[2:3], exec, s[8:9]
; %bb.71:                               ;   in Loop: Header=BB79_8 Depth=1
	v_bfe_u32 v0, v1, 16, 1
	v_add3_u32 v0, v1, v0, s42
                                        ; implicit-def: $vgpr1
; %bb.72:                               ;   in Loop: Header=BB79_8 Depth=1
	s_andn2_saveexec_b64 s[8:9], s[2:3]
	s_cbranch_execz .LBB79_74
; %bb.73:                               ;   in Loop: Header=BB79_8 Depth=1
	scratch_load_dwordx2 v[4:5], off, off offset:1456 ; 8-byte Folded Reload
	v_or_b32_e32 v0, 0x10000, v1
	s_waitcnt vmcnt(0)
	v_cmp_eq_u32_sdwa s[2:3], v1, v5 src0_sel:WORD_0 src1_sel:DWORD
	s_nop 1
	v_cndmask_b32_e64 v0, v0, v1, s[2:3]
.LBB79_74:                              ;   in Loop: Header=BB79_8 Depth=1
	s_or_b64 exec, exec, s[8:9]
	scratch_load_dwordx2 v[4:5], off, off offset:1456 ; 8-byte Folded Reload
	s_waitcnt vmcnt(0)
	v_add_u32_e32 v4, s22, v20
	v_mov_b32_e32 v9, v5
	v_lshl_add_u64 v[4:5], v[4:5], 1, s[28:29]
	global_store_short_d16_hi v[4:5], v0, off
	s_and_saveexec_b64 s[8:9], vcc
	s_cbranch_execz .LBB79_105
; %bb.75:                               ;   in Loop: Header=BB79_8 Depth=1
	scratch_load_dwordx4 v[4:7], off, off offset:512
	s_waitcnt vmcnt(0)
	v_mul_f32_e32 v0, s23, v4
	v_mul_f32_e32 v1, s33, v0
	v_and_b32_e32 v0, 0x7f800000, v1
	v_cmp_ne_u32_e64 s[2:3], s41, v0
                                        ; implicit-def: $vgpr0
	s_and_saveexec_b64 s[10:11], s[2:3]
	s_xor_b64 s[2:3], exec, s[10:11]
; %bb.76:                               ;   in Loop: Header=BB79_8 Depth=1
	v_bfe_u32 v0, v1, 16, 1
	v_add3_u32 v0, v1, v0, s42
                                        ; implicit-def: $vgpr1
; %bb.77:                               ;   in Loop: Header=BB79_8 Depth=1
	s_andn2_saveexec_b64 s[10:11], s[2:3]
; %bb.78:                               ;   in Loop: Header=BB79_8 Depth=1
	v_mov_b32_e32 v3, v9
	v_or_b32_e32 v0, 0x10000, v1
	v_cmp_eq_u32_sdwa s[2:3], v1, v3 src0_sel:WORD_0 src1_sel:DWORD
	s_nop 1
	v_cndmask_b32_e64 v0, v0, v1, s[2:3]
; %bb.79:                               ;   in Loop: Header=BB79_8 Depth=1
	s_or_b64 exec, exec, s[10:11]
	v_mov_b32_e32 v5, v9
	v_add_u32_e32 v4, s22, v2
	v_lshl_add_u64 v[4:5], v[4:5], 1, s[28:29]
	global_store_short_d16_hi v[4:5], v0, off
	v_add_u32_e32 v0, 2, v20
	v_cmp_gt_u32_e64 s[2:3], s22, v0
	s_and_b64 exec, exec, s[2:3]
	s_cbranch_execz .LBB79_105
; %bb.80:                               ;   in Loop: Header=BB79_8 Depth=1
	scratch_load_dwordx4 v[4:7], off, off offset:576
	s_waitcnt vmcnt(0)
	v_mul_f32_e32 v1, s23, v4
	v_mul_f32_e32 v3, s33, v1
	v_and_b32_e32 v1, 0x7f800000, v3
	v_cmp_ne_u32_e64 s[2:3], s41, v1
                                        ; implicit-def: $vgpr1
	s_and_saveexec_b64 s[10:11], s[2:3]
	s_xor_b64 s[2:3], exec, s[10:11]
; %bb.81:                               ;   in Loop: Header=BB79_8 Depth=1
	v_bfe_u32 v1, v3, 16, 1
	v_add3_u32 v1, v3, v1, s42
                                        ; implicit-def: $vgpr3
; %bb.82:                               ;   in Loop: Header=BB79_8 Depth=1
	s_andn2_saveexec_b64 s[10:11], s[2:3]
; %bb.83:                               ;   in Loop: Header=BB79_8 Depth=1
	v_mov_b32_e32 v5, v9
	v_or_b32_e32 v1, 0x10000, v3
	v_cmp_eq_u32_sdwa s[2:3], v3, v5 src0_sel:WORD_0 src1_sel:DWORD
	s_nop 1
	v_cndmask_b32_e64 v1, v1, v3, s[2:3]
; %bb.84:                               ;   in Loop: Header=BB79_8 Depth=1
	s_or_b64 exec, exec, s[10:11]
	v_mov_b32_e32 v5, v9
	v_add_u32_e32 v4, s22, v0
	v_add_u32_e32 v0, 3, v20
	v_lshl_add_u64 v[4:5], v[4:5], 1, s[28:29]
	v_cmp_gt_u32_e64 s[2:3], s22, v0
	global_store_short_d16_hi v[4:5], v1, off
	s_and_b64 exec, exec, s[2:3]
	s_cbranch_execz .LBB79_105
; %bb.85:                               ;   in Loop: Header=BB79_8 Depth=1
	scratch_load_dwordx4 v[4:7], off, off offset:640
	s_waitcnt vmcnt(0)
	v_mul_f32_e32 v1, s23, v4
	v_mul_f32_e32 v3, s33, v1
	v_and_b32_e32 v1, 0x7f800000, v3
	v_cmp_ne_u32_e64 s[2:3], s41, v1
                                        ; implicit-def: $vgpr1
	s_and_saveexec_b64 s[10:11], s[2:3]
	s_xor_b64 s[2:3], exec, s[10:11]
; %bb.86:                               ;   in Loop: Header=BB79_8 Depth=1
	v_bfe_u32 v1, v3, 16, 1
	v_add3_u32 v1, v3, v1, s42
                                        ; implicit-def: $vgpr3
; %bb.87:                               ;   in Loop: Header=BB79_8 Depth=1
	s_andn2_saveexec_b64 s[10:11], s[2:3]
; %bb.88:                               ;   in Loop: Header=BB79_8 Depth=1
	v_mov_b32_e32 v5, v9
	v_or_b32_e32 v1, 0x10000, v3
	v_cmp_eq_u32_sdwa s[2:3], v3, v5 src0_sel:WORD_0 src1_sel:DWORD
	s_nop 1
	v_cndmask_b32_e64 v1, v1, v3, s[2:3]
; %bb.89:                               ;   in Loop: Header=BB79_8 Depth=1
	s_or_b64 exec, exec, s[10:11]
	v_mov_b32_e32 v5, v9
	v_add_u32_e32 v4, s22, v0
	v_add_u32_e32 v0, 4, v20
	v_lshl_add_u64 v[4:5], v[4:5], 1, s[28:29]
	v_cmp_gt_u32_e64 s[2:3], s22, v0
	global_store_short_d16_hi v[4:5], v1, off
	;; [unrolled: 32-line block ×4, first 2 shown]
	s_and_b64 exec, exec, s[2:3]
	s_cbranch_execz .LBB79_105
; %bb.100:                              ;   in Loop: Header=BB79_8 Depth=1
	scratch_load_dwordx4 v[4:7], off, off offset:832
	s_waitcnt vmcnt(0)
	v_mul_f32_e32 v1, s23, v4
	v_mul_f32_e32 v3, s33, v1
	v_and_b32_e32 v1, 0x7f800000, v3
	v_cmp_ne_u32_e64 s[2:3], s41, v1
                                        ; implicit-def: $vgpr1
	s_and_saveexec_b64 s[10:11], s[2:3]
	s_xor_b64 s[2:3], exec, s[10:11]
; %bb.101:                              ;   in Loop: Header=BB79_8 Depth=1
	v_bfe_u32 v1, v3, 16, 1
	v_add3_u32 v1, v3, v1, s42
                                        ; implicit-def: $vgpr3
; %bb.102:                              ;   in Loop: Header=BB79_8 Depth=1
	s_andn2_saveexec_b64 s[10:11], s[2:3]
; %bb.103:                              ;   in Loop: Header=BB79_8 Depth=1
	v_mov_b32_e32 v5, v9
	v_or_b32_e32 v1, 0x10000, v3
	v_cmp_eq_u32_sdwa s[2:3], v3, v5 src0_sel:WORD_0 src1_sel:DWORD
	s_nop 1
	v_cndmask_b32_e64 v1, v1, v3, s[2:3]
; %bb.104:                              ;   in Loop: Header=BB79_8 Depth=1
	s_or_b64 exec, exec, s[10:11]
	v_mov_b32_e32 v5, v9
	v_add_u32_e32 v4, s22, v0
	v_lshl_add_u64 v[4:5], v[4:5], 1, s[28:29]
	global_store_short_d16_hi v[4:5], v1, off
.LBB79_105:                             ;   in Loop: Header=BB79_8 Depth=1
	s_or_b64 exec, exec, s[8:9]
	scratch_load_dwordx4 v[4:7], off, off offset:896
	s_waitcnt vmcnt(0)
	v_mul_f32_e32 v0, s23, v4
	v_mul_f32_e32 v1, s33, v0
	v_and_b32_e32 v0, 0x7f800000, v1
	v_cmp_ne_u32_e64 s[2:3], s41, v0
                                        ; implicit-def: $vgpr0
	s_and_saveexec_b64 s[8:9], s[2:3]
	s_xor_b64 s[2:3], exec, s[8:9]
; %bb.106:                              ;   in Loop: Header=BB79_8 Depth=1
	v_bfe_u32 v0, v1, 16, 1
	v_add3_u32 v0, v1, v0, s42
                                        ; implicit-def: $vgpr1
; %bb.107:                              ;   in Loop: Header=BB79_8 Depth=1
	s_andn2_saveexec_b64 s[8:9], s[2:3]
; %bb.108:                              ;   in Loop: Header=BB79_8 Depth=1
	v_mov_b32_e32 v3, v9
	v_or_b32_e32 v0, 0x10000, v1
	v_cmp_eq_u32_sdwa s[2:3], v1, v3 src0_sel:WORD_0 src1_sel:DWORD
	s_nop 1
	v_cndmask_b32_e64 v0, v0, v1, s[2:3]
; %bb.109:                              ;   in Loop: Header=BB79_8 Depth=1
	s_or_b64 exec, exec, s[8:9]
	v_add_u32_e32 v8, s39, v20
	v_mov_b32_e32 v1, v9
	v_lshl_add_u64 v[4:5], v[8:9], 1, s[28:29]
	scratch_store_dwordx2 off, v[0:1], off offset:1456 ; 8-byte Folded Spill
	global_store_short_d16_hi v[4:5], v0, off
	s_and_b64 exec, exec, vcc
	s_cbranch_execz .LBB79_7
; %bb.110:                              ;   in Loop: Header=BB79_8 Depth=1
	scratch_load_dwordx4 v[4:7], off, off offset:960
	s_waitcnt vmcnt(0)
	v_mul_f32_e32 v0, s23, v4
	v_mul_f32_e32 v1, s33, v0
	v_and_b32_e32 v0, 0x7f800000, v1
	v_cmp_ne_u32_e32 vcc, s41, v0
                                        ; implicit-def: $vgpr0
	s_and_saveexec_b64 s[2:3], vcc
	s_xor_b64 s[2:3], exec, s[2:3]
; %bb.111:                              ;   in Loop: Header=BB79_8 Depth=1
	v_bfe_u32 v0, v1, 16, 1
	v_add3_u32 v0, v1, v0, s42
                                        ; implicit-def: $vgpr1
; %bb.112:                              ;   in Loop: Header=BB79_8 Depth=1
	s_andn2_saveexec_b64 s[2:3], s[2:3]
	s_cbranch_execz .LBB79_114
; %bb.113:                              ;   in Loop: Header=BB79_8 Depth=1
	scratch_load_dwordx2 v[4:5], off, off offset:1456 ; 8-byte Folded Reload
	v_or_b32_e32 v0, 0x10000, v1
	s_waitcnt vmcnt(0)
	v_cmp_eq_u32_sdwa vcc, v1, v5 src0_sel:WORD_0 src1_sel:DWORD
	s_nop 1
	v_cndmask_b32_e32 v0, v0, v1, vcc
.LBB79_114:                             ;   in Loop: Header=BB79_8 Depth=1
	s_or_b64 exec, exec, s[2:3]
	scratch_load_dwordx2 v[4:5], off, off offset:1456 ; 8-byte Folded Reload
	v_add_u32_e32 v2, s39, v2
	s_waitcnt vmcnt(0)
	v_mov_b32_e32 v3, v5
	v_mov_b32_e32 v1, v5
	v_lshl_add_u64 v[2:3], v[2:3], 1, s[28:29]
	scratch_store_dwordx2 off, v[0:1], off offset:1456 ; 8-byte Folded Spill
	global_store_short_d16_hi v[2:3], v0, off
	v_add_u32_e32 v0, 2, v20
	v_cmp_gt_u32_e32 vcc, s22, v0
	s_and_b64 exec, exec, vcc
	s_cbranch_execz .LBB79_7
; %bb.115:                              ;   in Loop: Header=BB79_8 Depth=1
	scratch_load_dwordx4 v[2:5], off, off offset:1024
	s_waitcnt vmcnt(0)
	v_mul_f32_e32 v1, s23, v2
	v_mul_f32_e32 v2, s33, v1
	v_and_b32_e32 v1, 0x7f800000, v2
	v_cmp_ne_u32_e32 vcc, s41, v1
                                        ; implicit-def: $vgpr1
	s_and_saveexec_b64 s[2:3], vcc
	s_xor_b64 s[2:3], exec, s[2:3]
; %bb.116:                              ;   in Loop: Header=BB79_8 Depth=1
	v_bfe_u32 v1, v2, 16, 1
	v_add3_u32 v1, v2, v1, s42
                                        ; implicit-def: $vgpr2
; %bb.117:                              ;   in Loop: Header=BB79_8 Depth=1
	s_andn2_saveexec_b64 s[2:3], s[2:3]
	s_cbranch_execz .LBB79_119
; %bb.118:                              ;   in Loop: Header=BB79_8 Depth=1
	scratch_load_dwordx2 v[4:5], off, off offset:1456 ; 8-byte Folded Reload
	v_or_b32_e32 v1, 0x10000, v2
	s_waitcnt vmcnt(0)
	v_cmp_eq_u32_sdwa vcc, v2, v5 src0_sel:WORD_0 src1_sel:DWORD
	s_nop 1
	v_cndmask_b32_e32 v1, v1, v2, vcc
.LBB79_119:                             ;   in Loop: Header=BB79_8 Depth=1
	s_or_b64 exec, exec, s[2:3]
	scratch_load_dwordx2 v[2:3], off, off offset:1456 ; 8-byte Folded Reload
	v_add_u32_e32 v4, s39, v0
	v_add_u32_e32 v0, 3, v20
	v_cmp_gt_u32_e32 vcc, s22, v0
	s_waitcnt vmcnt(0)
	v_mov_b32_e32 v5, v3
	scratch_store_dwordx2 off, v[2:3], off offset:1456 ; 8-byte Folded Spill
	v_lshl_add_u64 v[2:3], v[4:5], 1, s[28:29]
	global_store_short_d16_hi v[2:3], v1, off
	s_and_b64 exec, exec, vcc
	s_cbranch_execz .LBB79_7
; %bb.120:                              ;   in Loop: Header=BB79_8 Depth=1
	scratch_load_dwordx4 v[2:5], off, off offset:1088
	s_waitcnt vmcnt(0)
	v_mul_f32_e32 v1, s23, v2
	v_mul_f32_e32 v2, s33, v1
	v_and_b32_e32 v1, 0x7f800000, v2
	v_cmp_ne_u32_e32 vcc, s41, v1
                                        ; implicit-def: $vgpr1
	s_and_saveexec_b64 s[2:3], vcc
	s_xor_b64 s[2:3], exec, s[2:3]
; %bb.121:                              ;   in Loop: Header=BB79_8 Depth=1
	v_bfe_u32 v1, v2, 16, 1
	v_add3_u32 v1, v2, v1, s42
                                        ; implicit-def: $vgpr2
; %bb.122:                              ;   in Loop: Header=BB79_8 Depth=1
	s_andn2_saveexec_b64 s[2:3], s[2:3]
	s_cbranch_execz .LBB79_124
; %bb.123:                              ;   in Loop: Header=BB79_8 Depth=1
	scratch_load_dwordx2 v[4:5], off, off offset:1456 ; 8-byte Folded Reload
	v_or_b32_e32 v1, 0x10000, v2
	s_waitcnt vmcnt(0)
	v_cmp_eq_u32_sdwa vcc, v2, v5 src0_sel:WORD_0 src1_sel:DWORD
	s_nop 1
	v_cndmask_b32_e32 v1, v1, v2, vcc
.LBB79_124:                             ;   in Loop: Header=BB79_8 Depth=1
	s_or_b64 exec, exec, s[2:3]
	scratch_load_dwordx2 v[2:3], off, off offset:1456 ; 8-byte Folded Reload
	v_add_u32_e32 v4, s39, v0
	v_add_u32_e32 v0, 4, v20
	v_cmp_gt_u32_e32 vcc, s22, v0
	s_waitcnt vmcnt(0)
	v_mov_b32_e32 v5, v3
	scratch_store_dwordx2 off, v[2:3], off offset:1456 ; 8-byte Folded Spill
	v_lshl_add_u64 v[2:3], v[4:5], 1, s[28:29]
	global_store_short_d16_hi v[2:3], v1, off
	;; [unrolled: 37-line block ×4, first 2 shown]
	s_and_b64 exec, exec, vcc
	s_cbranch_execz .LBB79_7
; %bb.135:                              ;   in Loop: Header=BB79_8 Depth=1
	scratch_load_dwordx4 v[2:5], off, off offset:1280
	s_waitcnt vmcnt(0)
	v_mul_f32_e32 v1, s23, v2
	v_mul_f32_e32 v2, s33, v1
	v_and_b32_e32 v1, 0x7f800000, v2
	v_cmp_ne_u32_e32 vcc, s41, v1
                                        ; implicit-def: $vgpr1
	s_and_saveexec_b64 s[2:3], vcc
	s_xor_b64 s[2:3], exec, s[2:3]
; %bb.136:                              ;   in Loop: Header=BB79_8 Depth=1
	v_bfe_u32 v1, v2, 16, 1
	v_add3_u32 v1, v2, v1, s42
                                        ; implicit-def: $vgpr2
; %bb.137:                              ;   in Loop: Header=BB79_8 Depth=1
	s_andn2_saveexec_b64 s[2:3], s[2:3]
	s_cbranch_execz .LBB79_6
; %bb.138:                              ;   in Loop: Header=BB79_8 Depth=1
	scratch_load_dwordx2 v[4:5], off, off offset:1456 ; 8-byte Folded Reload
	v_or_b32_e32 v1, 0x10000, v2
	s_waitcnt vmcnt(0)
	v_cmp_eq_u32_sdwa vcc, v2, v5 src0_sel:WORD_0 src1_sel:DWORD
	s_nop 1
	v_cndmask_b32_e32 v1, v1, v2, vcc
	s_branch .LBB79_6
.LBB79_139:
	s_endpgm
	.section	.rodata,"a",@progbits
	.p2align	6, 0x0
	.amdhsa_kernel _ZN5aiter13wvSplitKQ_hf_I14__hip_bfloat16hLi64ELi7ELi16ELi16ELi1ELi3EEEviiiPKT0_S4_PT_PKfS8_ii
		.amdhsa_group_segment_fixed_size 65536
		.amdhsa_private_segment_fixed_size 3008
		.amdhsa_kernarg_size 64
		.amdhsa_user_sgpr_count 2
		.amdhsa_user_sgpr_dispatch_ptr 0
		.amdhsa_user_sgpr_queue_ptr 0
		.amdhsa_user_sgpr_kernarg_segment_ptr 1
		.amdhsa_user_sgpr_dispatch_id 0
		.amdhsa_user_sgpr_kernarg_preload_length 0
		.amdhsa_user_sgpr_kernarg_preload_offset 0
		.amdhsa_user_sgpr_private_segment_size 0
		.amdhsa_uses_dynamic_stack 0
		.amdhsa_enable_private_segment 1
		.amdhsa_system_sgpr_workgroup_id_x 1
		.amdhsa_system_sgpr_workgroup_id_y 0
		.amdhsa_system_sgpr_workgroup_id_z 0
		.amdhsa_system_sgpr_workgroup_info 0
		.amdhsa_system_vgpr_workitem_id 1
		.amdhsa_next_free_vgpr 128
		.amdhsa_next_free_sgpr 44
		.amdhsa_accum_offset 128
		.amdhsa_reserve_vcc 1
		.amdhsa_float_round_mode_32 0
		.amdhsa_float_round_mode_16_64 0
		.amdhsa_float_denorm_mode_32 3
		.amdhsa_float_denorm_mode_16_64 3
		.amdhsa_dx10_clamp 1
		.amdhsa_ieee_mode 1
		.amdhsa_fp16_overflow 0
		.amdhsa_tg_split 0
		.amdhsa_exception_fp_ieee_invalid_op 0
		.amdhsa_exception_fp_denorm_src 0
		.amdhsa_exception_fp_ieee_div_zero 0
		.amdhsa_exception_fp_ieee_overflow 0
		.amdhsa_exception_fp_ieee_underflow 0
		.amdhsa_exception_fp_ieee_inexact 0
		.amdhsa_exception_int_div_zero 0
	.end_amdhsa_kernel
	.section	.text._ZN5aiter13wvSplitKQ_hf_I14__hip_bfloat16hLi64ELi7ELi16ELi16ELi1ELi3EEEviiiPKT0_S4_PT_PKfS8_ii,"axG",@progbits,_ZN5aiter13wvSplitKQ_hf_I14__hip_bfloat16hLi64ELi7ELi16ELi16ELi1ELi3EEEviiiPKT0_S4_PT_PKfS8_ii,comdat
.Lfunc_end79:
	.size	_ZN5aiter13wvSplitKQ_hf_I14__hip_bfloat16hLi64ELi7ELi16ELi16ELi1ELi3EEEviiiPKT0_S4_PT_PKfS8_ii, .Lfunc_end79-_ZN5aiter13wvSplitKQ_hf_I14__hip_bfloat16hLi64ELi7ELi16ELi16ELi1ELi3EEEviiiPKT0_S4_PT_PKfS8_ii
                                        ; -- End function
	.section	.AMDGPU.csdata,"",@progbits
; Kernel info:
; codeLenInByte = 10268
; NumSgprs: 50
; NumVgprs: 128
; NumAgprs: 0
; TotalNumVgprs: 128
; ScratchSize: 3008
; MemoryBound: 1
; FloatMode: 240
; IeeeMode: 1
; LDSByteSize: 65536 bytes/workgroup (compile time only)
; SGPRBlocks: 6
; VGPRBlocks: 15
; NumSGPRsForWavesPerEU: 50
; NumVGPRsForWavesPerEU: 128
; AccumOffset: 128
; Occupancy: 4
; WaveLimiterHint : 1
; COMPUTE_PGM_RSRC2:SCRATCH_EN: 1
; COMPUTE_PGM_RSRC2:USER_SGPR: 2
; COMPUTE_PGM_RSRC2:TRAP_HANDLER: 0
; COMPUTE_PGM_RSRC2:TGID_X_EN: 1
; COMPUTE_PGM_RSRC2:TGID_Y_EN: 0
; COMPUTE_PGM_RSRC2:TGID_Z_EN: 0
; COMPUTE_PGM_RSRC2:TIDIG_COMP_CNT: 1
; COMPUTE_PGM_RSRC3_GFX90A:ACCUM_OFFSET: 31
; COMPUTE_PGM_RSRC3_GFX90A:TG_SPLIT: 0
	.section	.text._ZN5aiter17wvSplitKQ_hf_sml_I14__hip_bfloat16hLi64ELi4ELi16ELi16ELi1ELi4EEEviiiPKT0_S4_PT_PKfS8_ii,"axG",@progbits,_ZN5aiter17wvSplitKQ_hf_sml_I14__hip_bfloat16hLi64ELi4ELi16ELi16ELi1ELi4EEEviiiPKT0_S4_PT_PKfS8_ii,comdat
	.protected	_ZN5aiter17wvSplitKQ_hf_sml_I14__hip_bfloat16hLi64ELi4ELi16ELi16ELi1ELi4EEEviiiPKT0_S4_PT_PKfS8_ii ; -- Begin function _ZN5aiter17wvSplitKQ_hf_sml_I14__hip_bfloat16hLi64ELi4ELi16ELi16ELi1ELi4EEEviiiPKT0_S4_PT_PKfS8_ii
	.globl	_ZN5aiter17wvSplitKQ_hf_sml_I14__hip_bfloat16hLi64ELi4ELi16ELi16ELi1ELi4EEEviiiPKT0_S4_PT_PKfS8_ii
	.p2align	8
	.type	_ZN5aiter17wvSplitKQ_hf_sml_I14__hip_bfloat16hLi64ELi4ELi16ELi16ELi1ELi4EEEviiiPKT0_S4_PT_PKfS8_ii,@function
_ZN5aiter17wvSplitKQ_hf_sml_I14__hip_bfloat16hLi64ELi4ELi16ELi16ELi1ELi4EEEviiiPKT0_S4_PT_PKfS8_ii: ; @_ZN5aiter17wvSplitKQ_hf_sml_I14__hip_bfloat16hLi64ELi4ELi16ELi16ELi1ELi4EEEviiiPKT0_S4_PT_PKfS8_ii
; %bb.0:
	s_load_dwordx4 s[4:7], s[0:1], 0x0
	s_load_dwordx4 s[8:11], s[0:1], 0x28
	v_bfe_u32 v1, v0, 10, 10
	v_and_b32_e32 v0, 0x3ff, v0
	v_lshlrev_b32_e32 v4, 4, v0
	v_mov_b32_e32 v2, v4
	s_waitcnt lgkmcnt(0)
	s_lshl_b32 s3, s4, 2
	scratch_store_dwordx2 off, v[2:3], off offset:1928 ; 8-byte Folded Spill
	v_lshl_add_u32 v2, v1, 10, v4
	s_min_i32 s3, s3, 0x10000
	v_cmp_gt_u32_e32 vcc, s3, v2
	s_and_saveexec_b64 s[12:13], vcc
	s_cbranch_execz .LBB80_3
; %bb.1:
	s_load_dwordx2 s[14:15], s[0:1], 0x18
	s_mov_b64 s[16:17], 0
.LBB80_2:                               ; =>This Inner Loop Header: Depth=1
	s_waitcnt lgkmcnt(0)
	global_load_dwordx4 v[4:7], v2, s[14:15]
	s_waitcnt vmcnt(0)
	ds_write_b128 v2, v[4:7]
	v_add_u32_e32 v2, 0x4000, v2
	v_cmp_le_u32_e32 vcc, s3, v2
	s_or_b64 s[16:17], vcc, s[16:17]
	s_andn2_b64 exec, exec, s[16:17]
	s_cbranch_execnz .LBB80_2
.LBB80_3:
	s_or_b64 exec, exec, s[12:13]
	s_load_dwordx2 s[14:15], s[0:1], 0x38
	s_waitcnt lgkmcnt(0)
	s_barrier
	v_cmp_gt_u32_e32 vcc, s14, v1
	s_and_saveexec_b64 s[12:13], vcc
	s_cbranch_execz .LBB80_81
; %bb.4:
	s_mul_i32 s2, s2, s14
	v_add_u32_e32 v1, s2, v1
	v_lshlrev_b32_e32 v12, 2, v1
	v_cmp_gt_u32_e32 vcc, s6, v12
	s_and_b64 exec, exec, vcc
	s_cbranch_execz .LBB80_81
; %bb.5:
	s_load_dword s7, s[8:9], 0x0
	s_load_dword s24, s[10:11], 0x0
	s_load_dwordx2 s[2:3], s[0:1], 0x10
	s_load_dwordx2 s[12:13], s[0:1], 0x20
	scratch_load_dwordx2 v[2:3], off, off offset:1928 ; 8-byte Folded Reload
	v_cmp_eq_u32_e64 s[0:1], 0, v0
	s_mul_i32 s20, s14, s15
	s_cmp_lg_u32 s4, 0
	s_mov_b32 s9, 0
	s_cselect_b64 s[10:11], -1, 0
	s_lshl_b32 s25, s20, 2
	s_mul_i32 s20, s20, s5
	s_mov_b32 s8, s5
	s_lshl_b32 s14, s5, 1
	s_mul_i32 s16, s5, 3
	s_mov_b32 s21, s9
	s_mov_b32 s22, s9
	;; [unrolled: 1-line block ×5, first 2 shown]
	v_mov_b32_e32 v15, 0
	s_mov_b32 s26, 0x7f800000
	s_movk_i32 s27, 0x7fff
	s_waitcnt vmcnt(0)
	v_lshl_add_u32 v0, s4, 1, v2
	scratch_store_dword off, v0, off offset:1948 ; 4-byte Folded Spill
	v_add_u32_e32 v0, s4, v2
	scratch_store_dword off, v0, off offset:1952 ; 4-byte Folded Spill
	v_mul_lo_u32 v0, s5, v1
	v_lshl_add_u32 v0, v0, 2, v2
	s_lshl_b32 s5, s20, 2
	s_mov_b32 s20, s9
	v_mad_u64_u32 v[4:5], s[18:19], s4, 3, v[2:3]
	scratch_store_dword off, v0, off offset:1936 ; 4-byte Folded Spill
	v_mov_b64_e32 v[0:1], s[20:21]
	v_mov_b64_e32 v[2:3], s[22:23]
	scratch_store_dwordx4 off, v[0:3], off offset:1964 ; 16-byte Folded Spill
	s_mov_b64 s[18:19], 0
	scratch_store_dwordx2 off, v[4:5], off offset:1940 ; 8-byte Folded Spill
	v_mbcnt_lo_u32_b32 v0, -1, 0
	v_mbcnt_hi_u32_b32 v0, -1, v0
	v_lshlrev_b32_e32 v0, 2, v0
	v_and_b32_e32 v120, 0x100, v0
	scratch_store_dword off, v120, off offset:1980 ; 4-byte Folded Spill
	s_branch .LBB80_8
.LBB80_6:                               ;   in Loop: Header=BB80_8 Depth=1
	s_or_b64 exec, exec, s[22:23]
	v_add_u32_e32 v14, 3, v14
	v_lshl_add_u64 v[2:3], v[14:15], 1, s[12:13]
	global_store_short_d16_hi v[2:3], v0, off
.LBB80_7:                               ;   in Loop: Header=BB80_8 Depth=1
	s_or_b64 exec, exec, s[20:21]
	s_waitcnt vmcnt(0)
	v_add_u32_e32 v12, s25, v12
	v_cmp_le_u32_e32 vcc, s6, v12
	s_or_b64 s[18:19], vcc, s[18:19]
	v_add_u32_e32 v119, s5, v119
	scratch_store_dword off, v119, off offset:1936 ; 4-byte Folded Spill
	s_andn2_b64 exec, exec, s[18:19]
	s_cbranch_execz .LBB80_81
.LBB80_8:                               ; =>This Loop Header: Depth=1
                                        ;     Child Loop BB80_11 Depth 2
                                        ;     Child Loop BB80_15 Depth 2
	scratch_load_dwordx4 v[0:3], off, off offset:1964 ; 16-byte Folded Reload
	s_and_b64 vcc, exec, s[10:11]
	scratch_store_dwordx2 off, v[12:13], off offset:1956 ; 8-byte Folded Spill
	s_waitcnt vmcnt(1)
	scratch_store_dwordx4 off, v[0:3], off offset:48
	scratch_store_dwordx4 off, v[0:3], off offset:32
	;; [unrolled: 1-line block ×3, first 2 shown]
	scratch_store_dwordx4 off, v[0:3], off
	scratch_store_dwordx4 off, v[0:3], off offset:304
	scratch_store_dwordx4 off, v[0:3], off offset:288
	;; [unrolled: 1-line block ×60, first 2 shown]
	s_cbranch_vccz .LBB80_14
; %bb.9:                                ;   in Loop: Header=BB80_8 Depth=1
	v_mov_b32_e32 v112, 0
	scratch_store_dwordx2 off, v[14:15], off offset:1920 ; 8-byte Folded Spill
	v_mov_b32_e32 v0, v112
	v_mov_b32_e32 v1, v112
	;; [unrolled: 1-line block ×32, first 2 shown]
	scratch_store_dwordx4 off, v[0:3], off offset:1280 ; 16-byte Folded Spill
	s_nop 0
	scratch_store_dwordx4 off, v[4:7], off offset:1296 ; 16-byte Folded Spill
	scratch_store_dwordx4 off, v[8:11], off offset:1312 ; 16-byte Folded Spill
	scratch_store_dwordx4 off, v[12:15], off offset:1328 ; 16-byte Folded Spill
	scratch_store_dwordx4 off, v[0:3], off offset:1408 ; 16-byte Folded Spill
	s_nop 0
	scratch_store_dwordx4 off, v[4:7], off offset:1424 ; 16-byte Folded Spill
	scratch_store_dwordx4 off, v[8:11], off offset:1440 ; 16-byte Folded Spill
	scratch_store_dwordx4 off, v[12:15], off offset:1456 ; 16-byte Folded Spill
	scratch_store_dwordx4 off, v[0:3], off offset:1536 ; 16-byte Folded Spill
	s_nop 0
	scratch_store_dwordx4 off, v[4:7], off offset:1552 ; 16-byte Folded Spill
	scratch_store_dwordx4 off, v[8:11], off offset:1568 ; 16-byte Folded Spill
	scratch_store_dwordx4 off, v[12:15], off offset:1584 ; 16-byte Folded Spill
	scratch_store_dwordx4 off, v[16:19], off offset:1024 ; 16-byte Folded Spill
	s_nop 0
	scratch_store_dwordx4 off, v[20:23], off offset:1040 ; 16-byte Folded Spill
	scratch_store_dwordx4 off, v[24:27], off offset:1056 ; 16-byte Folded Spill
	scratch_store_dwordx4 off, v[28:31], off offset:1072 ; 16-byte Folded Spill
	scratch_store_dwordx4 off, v[16:19], off offset:1088 ; 16-byte Folded Spill
	s_nop 0
	scratch_store_dwordx4 off, v[20:23], off offset:1104 ; 16-byte Folded Spill
	scratch_store_dwordx4 off, v[24:27], off offset:1120 ; 16-byte Folded Spill
	scratch_store_dwordx4 off, v[28:31], off offset:1136 ; 16-byte Folded Spill
	scratch_store_dwordx4 off, v[16:19], off offset:1152 ; 16-byte Folded Spill
	s_nop 0
	scratch_store_dwordx4 off, v[20:23], off offset:1168 ; 16-byte Folded Spill
	scratch_store_dwordx4 off, v[24:27], off offset:1184 ; 16-byte Folded Spill
	scratch_store_dwordx4 off, v[28:31], off offset:1200 ; 16-byte Folded Spill
	scratch_store_dwordx4 off, v[16:19], off offset:1216 ; 16-byte Folded Spill
	s_nop 0
	scratch_store_dwordx4 off, v[20:23], off offset:1232 ; 16-byte Folded Spill
	scratch_store_dwordx4 off, v[24:27], off offset:1248 ; 16-byte Folded Spill
	scratch_store_dwordx4 off, v[28:31], off offset:1264 ; 16-byte Folded Spill
	s_mov_b32 s22, 0
	v_mov_b32_e32 v113, v112
	v_mov_b32_e32 v114, v112
	;; [unrolled: 1-line block ×79, first 2 shown]
	scratch_store_dwordx4 off, v[16:19], off offset:1344 ; 16-byte Folded Spill
	s_nop 0
	scratch_store_dwordx4 off, v[20:23], off offset:1360 ; 16-byte Folded Spill
	scratch_store_dwordx4 off, v[24:27], off offset:1376 ; 16-byte Folded Spill
	scratch_store_dwordx4 off, v[28:31], off offset:1392 ; 16-byte Folded Spill
	scratch_store_dwordx4 off, v[16:19], off offset:1472 ; 16-byte Folded Spill
	s_nop 0
	scratch_store_dwordx4 off, v[20:23], off offset:1488 ; 16-byte Folded Spill
	scratch_store_dwordx4 off, v[24:27], off offset:1504 ; 16-byte Folded Spill
	scratch_store_dwordx4 off, v[28:31], off offset:1520 ; 16-byte Folded Spill
	;; [unrolled: 5-line block ×3, first 2 shown]
	s_branch .LBB80_11
.LBB80_10:                              ;   in Loop: Header=BB80_11 Depth=2
	s_or_b64 exec, exec, s[20:21]
	scratch_load_dwordx4 v[96:99], off, off offset:1216 ; 16-byte Folded Reload
	scratch_load_dwordx4 v[100:103], off, off offset:1232 ; 16-byte Folded Reload
	;; [unrolled: 1-line block ×16, first 2 shown]
	s_waitcnt lgkmcnt(0)
	v_mfma_f32_32x32x16_fp8_fp8 v[0:15], v[40:41], v[28:29], v[0:15]
	s_addk_i32 s22, 0x400
	s_cmp_ge_u32 s22, s4
	v_mfma_f32_32x32x16_fp8_fp8 v[0:15], v[42:43], v[30:31], v[0:15]
	v_mfma_f32_32x32x16_fp8_fp8 v[112:127], v[36:37], v[28:29], v[112:127]
	;; [unrolled: 1-line block ×3, first 2 shown]
	s_waitcnt vmcnt(12)
	v_mfma_f32_32x32x16_fp8_fp8 v[96:111], v[44:45], v[28:29], v[96:111]
	s_waitcnt vmcnt(8)
	v_mfma_f32_32x32x16_fp8_fp8 v[80:95], v[44:45], v[32:33], v[80:95]
	;; [unrolled: 2-line block ×4, first 2 shown]
	v_mfma_f32_32x32x16_fp8_fp8 v[96:111], v[46:47], v[30:31], v[96:111]
	s_nop 7
	s_nop 2
	scratch_store_dwordx4 off, v[96:99], off offset:1216 ; 16-byte Folded Spill
	s_nop 0
	scratch_store_dwordx4 off, v[100:103], off offset:1232 ; 16-byte Folded Spill
	scratch_store_dwordx4 off, v[104:107], off offset:1248 ; 16-byte Folded Spill
	scratch_store_dwordx4 off, v[108:111], off offset:1264 ; 16-byte Folded Spill
	v_mfma_f32_32x32x16_fp8_fp8 v[80:95], v[46:47], v[34:35], v[80:95]
	s_nop 7
	s_nop 2
	scratch_store_dwordx4 off, v[80:83], off offset:1152 ; 16-byte Folded Spill
	s_nop 0
	scratch_store_dwordx4 off, v[84:87], off offset:1168 ; 16-byte Folded Spill
	scratch_store_dwordx4 off, v[88:91], off offset:1184 ; 16-byte Folded Spill
	scratch_store_dwordx4 off, v[92:95], off offset:1200 ; 16-byte Folded Spill
	v_mfma_f32_32x32x16_fp8_fp8 v[64:79], v[46:47], v[26:27], v[64:79]
	s_nop 7
	s_nop 2
	scratch_store_dwordx4 off, v[64:67], off offset:1088 ; 16-byte Folded Spill
	s_nop 0
	scratch_store_dwordx4 off, v[68:71], off offset:1104 ; 16-byte Folded Spill
	scratch_store_dwordx4 off, v[72:75], off offset:1120 ; 16-byte Folded Spill
	scratch_store_dwordx4 off, v[76:79], off offset:1136 ; 16-byte Folded Spill
	v_mfma_f32_32x32x16_fp8_fp8 v[48:63], v[46:47], v[18:19], v[48:63]
	s_nop 7
	s_nop 2
	scratch_store_dwordx4 off, v[48:51], off offset:1024 ; 16-byte Folded Spill
	s_nop 0
	scratch_store_dwordx4 off, v[52:55], off offset:1040 ; 16-byte Folded Spill
	scratch_store_dwordx4 off, v[56:59], off offset:1056 ; 16-byte Folded Spill
	scratch_store_dwordx4 off, v[60:63], off offset:1072 ; 16-byte Folded Spill
	scratch_load_dwordx4 v[76:79], off, off offset:1536 ; 16-byte Folded Reload
	scratch_load_dwordx4 v[80:83], off, off offset:1552 ; 16-byte Folded Reload
	;; [unrolled: 1-line block ×4, first 2 shown]
	s_nop 0
	scratch_load_dwordx4 v[60:63], off, off offset:1408 ; 16-byte Folded Reload
	scratch_load_dwordx4 v[64:67], off, off offset:1424 ; 16-byte Folded Reload
	;; [unrolled: 1-line block ×8, first 2 shown]
	s_waitcnt vmcnt(8)
	v_mfma_f32_32x32x16_fp8_fp8 v[76:91], v[40:41], v[32:33], v[76:91]
	s_waitcnt vmcnt(4)
	v_mfma_f32_32x32x16_fp8_fp8 v[60:75], v[40:41], v[24:25], v[60:75]
	;; [unrolled: 2-line block ×3, first 2 shown]
	v_mfma_f32_32x32x16_fp8_fp8 v[76:91], v[42:43], v[34:35], v[76:91]
	s_nop 7
	s_nop 2
	scratch_store_dwordx4 off, v[76:79], off offset:1536 ; 16-byte Folded Spill
	s_nop 0
	scratch_store_dwordx4 off, v[80:83], off offset:1552 ; 16-byte Folded Spill
	scratch_store_dwordx4 off, v[84:87], off offset:1568 ; 16-byte Folded Spill
	scratch_store_dwordx4 off, v[88:91], off offset:1584 ; 16-byte Folded Spill
	v_mfma_f32_32x32x16_fp8_fp8 v[60:75], v[42:43], v[26:27], v[60:75]
	s_nop 7
	s_nop 2
	scratch_store_dwordx4 off, v[60:63], off offset:1408 ; 16-byte Folded Spill
	s_nop 0
	scratch_store_dwordx4 off, v[64:67], off offset:1424 ; 16-byte Folded Spill
	scratch_store_dwordx4 off, v[68:71], off offset:1440 ; 16-byte Folded Spill
	scratch_store_dwordx4 off, v[72:75], off offset:1456 ; 16-byte Folded Spill
	;; [unrolled: 8-line block ×3, first 2 shown]
	scratch_load_dwordx4 v[72:75], off, off offset:1600 ; 16-byte Folded Reload
	scratch_load_dwordx4 v[76:79], off, off offset:1616 ; 16-byte Folded Reload
	;; [unrolled: 1-line block ×4, first 2 shown]
	s_nop 0
	scratch_load_dwordx4 v[56:59], off, off offset:1472 ; 16-byte Folded Reload
	scratch_load_dwordx4 v[60:63], off, off offset:1488 ; 16-byte Folded Reload
	;; [unrolled: 1-line block ×8, first 2 shown]
	s_waitcnt vmcnt(8)
	v_mfma_f32_32x32x16_fp8_fp8 v[72:87], v[36:37], v[32:33], v[72:87]
	s_waitcnt vmcnt(4)
	v_mfma_f32_32x32x16_fp8_fp8 v[56:71], v[36:37], v[24:25], v[56:71]
	;; [unrolled: 2-line block ×3, first 2 shown]
	v_mfma_f32_32x32x16_fp8_fp8 v[72:87], v[38:39], v[34:35], v[72:87]
	s_nop 7
	s_nop 2
	scratch_store_dwordx4 off, v[72:75], off offset:1600 ; 16-byte Folded Spill
	s_nop 0
	scratch_store_dwordx4 off, v[76:79], off offset:1616 ; 16-byte Folded Spill
	scratch_store_dwordx4 off, v[80:83], off offset:1632 ; 16-byte Folded Spill
	scratch_store_dwordx4 off, v[84:87], off offset:1648 ; 16-byte Folded Spill
	v_mfma_f32_32x32x16_fp8_fp8 v[56:71], v[38:39], v[26:27], v[56:71]
	s_nop 7
	s_nop 2
	scratch_store_dwordx4 off, v[56:59], off offset:1472 ; 16-byte Folded Spill
	s_nop 0
	scratch_store_dwordx4 off, v[60:63], off offset:1488 ; 16-byte Folded Spill
	scratch_store_dwordx4 off, v[64:67], off offset:1504 ; 16-byte Folded Spill
	scratch_store_dwordx4 off, v[68:71], off offset:1520 ; 16-byte Folded Spill
	;; [unrolled: 8-line block ×3, first 2 shown]
	scratch_load_dwordx4 v[84:87], off, off offset:1856 ; 16-byte Folded Reload
	scratch_load_dwordx4 v[88:91], off, off offset:1872 ; 16-byte Folded Reload
	;; [unrolled: 1-line block ×16, first 2 shown]
	s_waitcnt vmcnt(12)
	v_mfma_f32_32x32x16_fp8_fp8 v[84:99], v[20:21], v[28:29], v[84:99]
	s_waitcnt vmcnt(8)
	v_mfma_f32_32x32x16_fp8_fp8 v[68:83], v[20:21], v[32:33], v[68:83]
	;; [unrolled: 2-line block ×4, first 2 shown]
	v_mfma_f32_32x32x16_fp8_fp8 v[84:99], v[22:23], v[30:31], v[84:99]
	v_mfma_f32_32x32x16_fp8_fp8 v[68:83], v[22:23], v[34:35], v[68:83]
	;; [unrolled: 1-line block ×4, first 2 shown]
	s_cbranch_scc1 .LBB80_13
.LBB80_11:                              ;   Parent Loop BB80_8 Depth=1
                                        ; =>  This Inner Loop Header: Depth=2
	s_nop 6
	scratch_store_dwordx4 off, v[84:87], off offset:1856 ; 16-byte Folded Spill
	s_nop 0
	scratch_store_dwordx4 off, v[88:91], off offset:1872 ; 16-byte Folded Spill
	scratch_store_dwordx4 off, v[92:95], off offset:1888 ; 16-byte Folded Spill
	scratch_store_dwordx4 off, v[96:99], off offset:1904 ; 16-byte Folded Spill
	scratch_store_dwordx4 off, v[68:71], off offset:1792 ; 16-byte Folded Spill
	s_nop 0
	scratch_store_dwordx4 off, v[72:75], off offset:1808 ; 16-byte Folded Spill
	scratch_store_dwordx4 off, v[76:79], off offset:1824 ; 16-byte Folded Spill
	scratch_store_dwordx4 off, v[80:83], off offset:1840 ; 16-byte Folded Spill
	;; [unrolled: 5-line block ×4, first 2 shown]
	scratch_load_dwordx2 v[16:17], off, off offset:1928 ; 8-byte Folded Reload
	v_mov_b64_e32 v[44:45], 0
	v_mov_b64_e32 v[46:47], v[44:45]
	;; [unrolled: 1-line block ×15, first 2 shown]
	s_waitcnt vmcnt(0)
	v_add_u32_e32 v48, s22, v16
	v_cmp_gt_u32_e32 vcc, s4, v48
	v_mov_b64_e32 v[16:17], v[44:45]
	s_and_saveexec_b64 s[20:21], vcc
	s_cbranch_execz .LBB80_10
; %bb.12:                               ;   in Loop: Header=BB80_11 Depth=2
	scratch_load_dword v16, off, off offset:1936 ; 4-byte Folded Reload
	scratch_load_dwordx2 v[18:19], off, off offset:1920 ; 8-byte Folded Reload
	s_waitcnt vmcnt(0)
	v_add_u32_e32 v18, s22, v16
	s_waitcnt lgkmcnt(0)
	v_lshl_add_u64 v[16:17], s[2:3], 0, v[18:19]
	scratch_store_dwordx2 off, v[18:19], off offset:1920 ; 8-byte Folded Spill
	global_load_dwordx4 v[28:31], v18, s[2:3] nt
	v_lshl_add_u64 v[18:19], v[16:17], 0, s[8:9]
	v_lshl_add_u64 v[20:21], v[16:17], 0, s[14:15]
	global_load_dwordx4 v[32:35], v[18:19], off nt
	global_load_dwordx4 v[24:27], v[20:21], off nt
	v_lshl_add_u64 v[16:17], v[16:17], 0, s[16:17]
	scratch_load_dword v20, off, off offset:1952 ; 4-byte Folded Reload
	scratch_load_dword v21, off, off offset:1948 ; 4-byte Folded Reload
	ds_read_b128 v[40:43], v48
	global_load_dwordx4 v[16:19], v[16:17], off nt
	s_waitcnt vmcnt(2)
	v_add_u32_e32 v20, s22, v20
	s_waitcnt vmcnt(1)
	v_add_u32_e32 v21, s22, v21
	ds_read_b128 v[36:39], v20
	ds_read_b128 v[20:23], v21
	scratch_load_dwordx2 v[44:45], off, off offset:1940 ; 8-byte Folded Reload
	s_waitcnt vmcnt(0)
	v_add_u32_e32 v44, s22, v44
	ds_read_b128 v[44:47], v44
	s_branch .LBB80_10
.LBB80_13:                              ;   in Loop: Header=BB80_8 Depth=1
	scratch_store_dwordx4 off, v[12:15], off offset:48
	scratch_store_dwordx4 off, v[8:11], off offset:32
	;; [unrolled: 1-line block ×3, first 2 shown]
	scratch_store_dwordx4 off, v[0:3], off
	scratch_load_dwordx4 v[0:3], off, off offset:1536 ; 16-byte Folded Reload
	s_nop 0
	scratch_load_dwordx4 v[4:7], off, off offset:1552 ; 16-byte Folded Reload
	scratch_load_dwordx4 v[8:11], off, off offset:1568 ; 16-byte Folded Reload
	scratch_load_dwordx4 v[12:15], off, off offset:1584 ; 16-byte Folded Reload
	s_waitcnt vmcnt(0)
	scratch_store_dwordx4 off, v[12:15], off offset:112
	scratch_store_dwordx4 off, v[8:11], off offset:96
	scratch_store_dwordx4 off, v[4:7], off offset:80
	scratch_store_dwordx4 off, v[0:3], off offset:64
	scratch_load_dwordx4 v[0:3], off, off offset:1408 ; 16-byte Folded Reload
	s_nop 0
	scratch_load_dwordx4 v[4:7], off, off offset:1424 ; 16-byte Folded Reload
	scratch_load_dwordx4 v[8:11], off, off offset:1440 ; 16-byte Folded Reload
	scratch_load_dwordx4 v[12:15], off, off offset:1456 ; 16-byte Folded Reload
	s_waitcnt vmcnt(0)
	scratch_store_dwordx4 off, v[12:15], off offset:176
	scratch_store_dwordx4 off, v[8:11], off offset:160
	scratch_store_dwordx4 off, v[4:7], off offset:144
	scratch_store_dwordx4 off, v[0:3], off offset:128
	;; [unrolled: 10-line block ×3, first 2 shown]
	scratch_store_dwordx4 off, v[124:127], off offset:304
	scratch_store_dwordx4 off, v[120:123], off offset:288
	;; [unrolled: 1-line block ×4, first 2 shown]
	scratch_load_dwordx4 v[0:3], off, off offset:1600 ; 16-byte Folded Reload
	scratch_load_dwordx4 v[4:7], off, off offset:1616 ; 16-byte Folded Reload
	;; [unrolled: 1-line block ×4, first 2 shown]
	s_waitcnt vmcnt(0)
	scratch_store_dwordx4 off, v[12:15], off offset:368
	scratch_store_dwordx4 off, v[8:11], off offset:352
	;; [unrolled: 1-line block ×4, first 2 shown]
	scratch_load_dwordx4 v[0:3], off, off offset:1472 ; 16-byte Folded Reload
	s_nop 0
	scratch_load_dwordx4 v[4:7], off, off offset:1488 ; 16-byte Folded Reload
	scratch_load_dwordx4 v[8:11], off, off offset:1504 ; 16-byte Folded Reload
	;; [unrolled: 1-line block ×3, first 2 shown]
	s_waitcnt vmcnt(0)
	scratch_store_dwordx4 off, v[12:15], off offset:432
	scratch_store_dwordx4 off, v[8:11], off offset:416
	;; [unrolled: 1-line block ×4, first 2 shown]
	scratch_load_dwordx4 v[0:3], off, off offset:1344 ; 16-byte Folded Reload
	s_nop 0
	scratch_load_dwordx4 v[4:7], off, off offset:1360 ; 16-byte Folded Reload
	scratch_load_dwordx4 v[8:11], off, off offset:1376 ; 16-byte Folded Reload
	;; [unrolled: 1-line block ×3, first 2 shown]
	s_waitcnt vmcnt(0)
	scratch_store_dwordx4 off, v[12:15], off offset:496
	scratch_store_dwordx4 off, v[8:11], off offset:480
	;; [unrolled: 1-line block ×20, first 2 shown]
	scratch_load_dwordx4 v[0:3], off, off offset:1216 ; 16-byte Folded Reload
	scratch_load_dwordx4 v[4:7], off, off offset:1232 ; 16-byte Folded Reload
	;; [unrolled: 1-line block ×4, first 2 shown]
	s_waitcnt vmcnt(0)
	scratch_store_dwordx4 off, v[12:15], off offset:816
	scratch_store_dwordx4 off, v[8:11], off offset:800
	scratch_store_dwordx4 off, v[4:7], off offset:784
	scratch_store_dwordx4 off, v[0:3], off offset:768
	scratch_load_dwordx4 v[0:3], off, off offset:1152 ; 16-byte Folded Reload
	s_nop 0
	scratch_load_dwordx4 v[4:7], off, off offset:1168 ; 16-byte Folded Reload
	scratch_load_dwordx4 v[8:11], off, off offset:1184 ; 16-byte Folded Reload
	scratch_load_dwordx4 v[12:15], off, off offset:1200 ; 16-byte Folded Reload
	s_waitcnt vmcnt(0)
	scratch_store_dwordx4 off, v[12:15], off offset:880
	scratch_store_dwordx4 off, v[8:11], off offset:864
	scratch_store_dwordx4 off, v[4:7], off offset:848
	scratch_store_dwordx4 off, v[0:3], off offset:832
	scratch_load_dwordx4 v[0:3], off, off offset:1088 ; 16-byte Folded Reload
	s_nop 0
	scratch_load_dwordx4 v[4:7], off, off offset:1104 ; 16-byte Folded Reload
	scratch_load_dwordx4 v[8:11], off, off offset:1120 ; 16-byte Folded Reload
	scratch_load_dwordx4 v[12:15], off, off offset:1136 ; 16-byte Folded Reload
	;; [unrolled: 10-line block ×3, first 2 shown]
	s_waitcnt vmcnt(0)
	scratch_store_dwordx4 off, v[12:15], off offset:1008
	scratch_store_dwordx4 off, v[8:11], off offset:992
	;; [unrolled: 1-line block ×4, first 2 shown]
	scratch_load_dword v120, off, off offset:1980 ; 4-byte Folded Reload
	s_nop 0
	scratch_load_dwordx2 v[14:15], off, off offset:1920 ; 8-byte Folded Reload
.LBB80_14:                              ;   in Loop: Header=BB80_8 Depth=1
	scratch_load_dword v119, off, off offset:1936 ; 4-byte Folded Reload
	scratch_load_dword v0, off, off offset:1952 ; 4-byte Folded Reload
	;; [unrolled: 1-line block ×3, first 2 shown]
	scratch_load_dwordx2 v[0:1], off, off offset:1940 ; 8-byte Folded Reload
	scratch_load_dwordx2 v[0:1], off, off offset:1928 ; 8-byte Folded Reload
	s_waitcnt vmcnt(5)
	v_mov_b32_e32 v121, v15
	s_mov_b32 s20, 0
.LBB80_15:                              ;   Parent Loop BB80_8 Depth=1
                                        ; =>  This Inner Loop Header: Depth=2
	s_add_i32 s21, s20, 0
	scratch_load_dwordx4 v[0:3], off, s21 offset:48
	scratch_load_dwordx4 v[4:7], off, s21 offset:32
	scratch_load_dwordx4 v[8:11], off, s21
	scratch_load_dwordx4 v[12:15], off, s21 offset:16
	s_add_i32 s20, s20, 64
	s_cmpk_lg_i32 s20, 0x100
	s_waitcnt vmcnt(2)
	;;#ASMSTART
	v_add_f32 v4, v5, v4 row_shl:1 bound_ctrl:0 
	;;#ASMEND
	s_nop 0
	;;#ASMSTART
	v_add_f32 v4, v6, v4 row_shl:2 bound_ctrl:0 
	;;#ASMEND
	s_waitcnt vmcnt(1)
	;;#ASMSTART
	v_add_f32 v8, v9, v8 row_shl:1 bound_ctrl:0 
	;;#ASMEND
	;;#ASMSTART
	v_add_f32 v4, v7, v4 row_shl:3 bound_ctrl:0 
	;;#ASMEND
	s_nop 0
	;;#ASMSTART
	v_add_f32 v8, v10, v8 row_shl:2 bound_ctrl:0 
	;;#ASMEND
	;;#ASMSTART
	v_add_f32 v4, v0, v4 row_shl:8 bound_ctrl:0 
	;;#ASMEND
	s_nop 0
	;;#ASMSTART
	v_add_f32 v8, v11, v8 row_shl:3 bound_ctrl:0 
	;;#ASMEND
	;;#ASMSTART
	v_add_f32 v4, v1, v4 row_shl:9 bound_ctrl:0 
	;;#ASMEND
	s_waitcnt vmcnt(0)
	;;#ASMSTART
	v_add_f32 v8, v12, v8 row_shl:8 bound_ctrl:0 
	;;#ASMEND
	;;#ASMSTART
	v_add_f32 v4, v2, v4 row_shl:10 bound_ctrl:0 
	;;#ASMEND
	s_nop 0
	;;#ASMSTART
	v_add_f32 v8, v13, v8 row_shl:9 bound_ctrl:0 
	;;#ASMEND
	;;#ASMSTART
	v_add_f32 v4, v3, v4 row_shl:11 bound_ctrl:0 
	;;#ASMEND
	ds_bpermute_b32 v0, v120, v4 offset:208
	;;#ASMSTART
	v_add_f32 v8, v14, v8 row_shl:10 bound_ctrl:0 
	;;#ASMEND
	s_waitcnt lgkmcnt(0)
	v_add_f32_e32 v0, v4, v0
	;;#ASMSTART
	v_add_f32 v8, v15, v8 row_shl:11 bound_ctrl:0 
	;;#ASMEND
	ds_bpermute_b32 v1, v120, v8 offset:144
	ds_bpermute_b32 v0, v120, v0 offset:64
	s_waitcnt lgkmcnt(1)
	v_add_f32_e32 v1, v8, v1
	s_waitcnt lgkmcnt(0)
	v_add_f32_e32 v0, v1, v0
	scratch_store_dword off, v0, s21
	s_cbranch_scc1 .LBB80_15
; %bb.16:                               ;   in Loop: Header=BB80_8 Depth=1
	scratch_load_dwordx4 v[8:11], off, off offset:256
	scratch_load_dwordx4 v[4:7], off, off offset:288
	;; [unrolled: 1-line block ×16, first 2 shown]
	v_or_b32_e32 v114, 0xd0, v120
	v_or_b32_e32 v112, 0x90, v120
	scratch_load_dwordx4 v[64:67], off, off offset:560
	scratch_load_dwordx4 v[68:71], off, off offset:544
	;; [unrolled: 1-line block ×12, first 2 shown]
	v_or_b32_e32 v113, 64, v120
	s_waitcnt vmcnt(27)
	;;#ASMSTART
	v_add_f32 v8, v9, v8 row_shl:1 bound_ctrl:0 
	;;#ASMEND
	s_waitcnt vmcnt(26)
	;;#ASMSTART
	v_add_f32 v4, v5, v4 row_shl:1 bound_ctrl:0 
	;;#ASMEND
	;; [unrolled: 4-line block ×4, first 2 shown]
	;;#ASMSTART
	v_add_f32 v8, v10, v8 row_shl:2 bound_ctrl:0 
	;;#ASMEND
	s_waitcnt vmcnt(22)
	;;#ASMSTART
	v_add_f32 v56, v57, v56 row_shl:1 bound_ctrl:0 
	;;#ASMEND
	;;#ASMSTART
	v_add_f32 v16, v17, v16 row_shl:1 bound_ctrl:0 
	;;#ASMEND
	;; [unrolled: 3-line block ×6, first 2 shown]
	s_waitcnt vmcnt(20)
	;;#ASMSTART
	v_add_f32 v76, v77, v76 row_shl:1 bound_ctrl:0 
	;;#ASMEND
	;;#ASMSTART
	v_add_f32 v56, v58, v56 row_shl:2 bound_ctrl:0 
	;;#ASMEND
	;; [unrolled: 3-line block ×5, first 2 shown]
	s_waitcnt vmcnt(19)
	;;#ASMSTART
	v_add_f32 v8, v92, v8 row_shl:8 bound_ctrl:0 
	;;#ASMEND
	;;#ASMSTART
	v_add_f32 v76, v78, v76 row_shl:2 bound_ctrl:0 
	;;#ASMEND
	;; [unrolled: 3-line block ×3, first 2 shown]
	s_waitcnt vmcnt(18)
	;;#ASMSTART
	v_add_f32 v4, v88, v4 row_shl:8 bound_ctrl:0 
	;;#ASMEND
	s_waitcnt vmcnt(17)
	;;#ASMSTART
	v_add_f32 v32, v100, v32 row_shl:8 bound_ctrl:0 
	;;#ASMEND
	s_waitcnt vmcnt(16)
	;;#ASMSTART
	v_add_f32 v36, v96, v36 row_shl:8 bound_ctrl:0 
	;;#ASMEND
	;;#ASMSTART
	v_add_f32 v8, v93, v8 row_shl:9 bound_ctrl:0 
	;;#ASMEND
	;;#ASMSTART
	v_add_f32 v76, v79, v76 row_shl:3 bound_ctrl:0 
	;;#ASMEND
	s_waitcnt vmcnt(14)
	;;#ASMSTART
	v_add_f32 v56, v104, v56 row_shl:8 bound_ctrl:0 
	;;#ASMEND
	;;#ASMSTART
	v_add_f32 v4, v89, v4 row_shl:9 bound_ctrl:0 
	;;#ASMEND
	;; [unrolled: 3-line block ×5, first 2 shown]
	s_waitcnt vmcnt(12)
	;;#ASMSTART
	v_add_f32 v76, v84, v76 row_shl:8 bound_ctrl:0 
	;;#ASMEND
	;;#ASMSTART
	v_add_f32 v56, v105, v56 row_shl:9 bound_ctrl:0 
	;;#ASMEND
	;; [unrolled: 3-line block ×6, first 2 shown]
	ds_bpermute_b32 v5, v112, v8
	;;#ASMSTART
	v_add_f32 v4, v91, v4 row_shl:11 bound_ctrl:0 
	;;#ASMEND
	ds_bpermute_b32 v6, v114, v4
	;;#ASMSTART
	v_add_f32 v36, v99, v36 row_shl:11 bound_ctrl:0 
	;;#ASMEND
	ds_bpermute_b32 v9, v114, v36
	;;#ASMSTART
	v_add_f32 v32, v103, v32 row_shl:11 bound_ctrl:0 
	;;#ASMEND
	ds_bpermute_b32 v7, v112, v32
	s_waitcnt lgkmcnt(2)
	v_add_f32_e32 v4, v4, v6
	ds_bpermute_b32 v4, v113, v4
	s_waitcnt lgkmcnt(2)
	v_add_f32_e32 v6, v36, v9
	ds_bpermute_b32 v6, v113, v6
	;;#ASMSTART
	v_add_f32 v76, v85, v76 row_shl:9 bound_ctrl:0 
	;;#ASMEND
	v_add_f32_e32 v5, v8, v5
	;;#ASMSTART
	v_add_f32 v56, v106, v56 row_shl:10 bound_ctrl:0 
	;;#ASMEND
	s_waitcnt lgkmcnt(2)
	v_add_f32_e32 v7, v32, v7
	s_waitcnt lgkmcnt(1)
	v_add_f32_e32 v4, v5, v4
	;;#ASMSTART
	v_add_f32 v76, v86, v76 row_shl:10 bound_ctrl:0 
	;;#ASMEND
	;;#ASMSTART
	v_add_f32 v56, v107, v56 row_shl:11 bound_ctrl:0 
	;;#ASMEND
	ds_bpermute_b32 v10, v114, v56
	s_waitcnt lgkmcnt(1)
	v_add_f32_e32 v5, v7, v6
	scratch_store_dword off, v4, off offset:256
	scratch_store_dword off, v5, off offset:320
	;;#ASMSTART
	v_add_f32 v76, v87, v76 row_shl:11 bound_ctrl:0 
	;;#ASMEND
	ds_bpermute_b32 v4, v114, v76
	s_waitcnt lgkmcnt(1)
	v_add_f32_e32 v8, v56, v10
	;;#ASMSTART
	v_add_f32 v52, v53, v52 row_shl:1 bound_ctrl:0 
	;;#ASMEND
	;;#ASMSTART
	v_add_f32 v16, v18, v16 row_shl:2 bound_ctrl:0 
	;;#ASMEND
	ds_bpermute_b32 v18, v113, v8
	s_waitcnt lgkmcnt(1)
	v_add_f32_e32 v4, v76, v4
	ds_bpermute_b32 v53, v113, v4
	scratch_load_dwordx4 v[4:7], off, off offset:720
	scratch_load_dwordx4 v[8:11], off, off offset:704
	;; [unrolled: 1-line block ×4, first 2 shown]
	;;#ASMSTART
	v_add_f32 v16, v19, v16 row_shl:3 bound_ctrl:0 
	;;#ASMEND
	;;#ASMSTART
	v_add_f32 v52, v54, v52 row_shl:2 bound_ctrl:0 
	;;#ASMEND
	s_waitcnt vmcnt(16)
	;;#ASMSTART
	v_add_f32 v68, v69, v68 row_shl:1 bound_ctrl:0 
	;;#ASMEND
	s_waitcnt vmcnt(12)
	;;#ASMSTART
	v_add_f32 v44, v45, v44 row_shl:1 bound_ctrl:0 
	;;#ASMEND
	;;#ASMSTART
	v_add_f32 v12, v13, v12 row_shl:1 bound_ctrl:0 
	;;#ASMEND
	s_waitcnt vmcnt(10)
	;;#ASMSTART
	v_add_f32 v40, v41, v40 row_shl:1 bound_ctrl:0 
	;;#ASMEND
	;;#ASMSTART
	v_add_f32 v16, v108, v16 row_shl:8 bound_ctrl:0 
	;;#ASMEND
	;;#ASMSTART
	v_add_f32 v52, v55, v52 row_shl:3 bound_ctrl:0 
	;;#ASMEND
	;;#ASMSTART
	v_add_f32 v68, v70, v68 row_shl:2 bound_ctrl:0 
	;;#ASMEND
	;;#ASMSTART
	v_add_f32 v44, v46, v44 row_shl:2 bound_ctrl:0 
	;;#ASMEND
	;;#ASMSTART
	v_add_f32 v12, v14, v12 row_shl:2 bound_ctrl:0 
	;;#ASMEND
	s_nop 0
	;;#ASMSTART
	v_add_f32 v40, v42, v40 row_shl:2 bound_ctrl:0 
	;;#ASMEND
	;;#ASMSTART
	v_add_f32 v16, v109, v16 row_shl:9 bound_ctrl:0 
	;;#ASMEND
	;;#ASMSTART
	v_add_f32 v52, v80, v52 row_shl:8 bound_ctrl:0 
	;;#ASMEND
	;;#ASMSTART
	v_add_f32 v68, v71, v68 row_shl:3 bound_ctrl:0 
	;;#ASMEND
	;;#ASMSTART
	v_add_f32 v44, v47, v44 row_shl:3 bound_ctrl:0 
	;;#ASMEND
	;;#ASMSTART
	v_add_f32 v12, v15, v12 row_shl:3 bound_ctrl:0 
	;;#ASMEND
	s_nop 0
	;; [unrolled: 19-line block ×3, first 2 shown]
	;;#ASMSTART
	v_add_f32 v40, v48, v40 row_shl:8 bound_ctrl:0 
	;;#ASMEND
	;;#ASMSTART
	v_add_f32 v16, v111, v16 row_shl:11 bound_ctrl:0 
	;;#ASMEND
	ds_bpermute_b32 v17, v112, v16
	;;#ASMSTART
	v_add_f32 v52, v82, v52 row_shl:10 bound_ctrl:0 
	;;#ASMEND
	;;#ASMSTART
	v_add_f32 v68, v65, v68 row_shl:9 bound_ctrl:0 
	;;#ASMEND
	;; [unrolled: 3-line block ×4, first 2 shown]
	s_waitcnt lgkmcnt(0)
	v_add_f32_e32 v16, v16, v17
	;;#ASMSTART
	v_add_f32 v52, v83, v52 row_shl:11 bound_ctrl:0 
	;;#ASMEND
	ds_bpermute_b32 v19, v112, v52
	v_add_f32_e32 v16, v16, v18
	;;#ASMSTART
	v_add_f32 v68, v66, v68 row_shl:10 bound_ctrl:0 
	;;#ASMEND
	scratch_store_dword off, v16, off offset:384
	;;#ASMSTART
	v_add_f32 v68, v67, v68 row_shl:11 bound_ctrl:0 
	;;#ASMEND
	s_waitcnt lgkmcnt(0)
	v_add_f32_e32 v16, v52, v19
	ds_bpermute_b32 v13, v114, v68
	v_add_f32_e32 v16, v16, v53
	scratch_store_dword off, v16, off offset:448
	;;#ASMSTART
	v_add_f32 v44, v62, v44 row_shl:10 bound_ctrl:0 
	;;#ASMEND
	scratch_load_dwordx4 v[52:55], off, off offset:784
	scratch_load_dwordx4 v[14:17], off, off offset:768
	;; [unrolled: 1-line block ×4, first 2 shown]
	;;#ASMSTART
	v_add_f32 v44, v63, v44 row_shl:11 bound_ctrl:0 
	;;#ASMEND
	ds_bpermute_b32 v19, v114, v44
	;;#ASMSTART
	v_add_f32 v12, v74, v12 row_shl:10 bound_ctrl:0 
	;;#ASMEND
	s_waitcnt lgkmcnt(1)
	v_add_f32_e32 v13, v68, v13
	;;#ASMSTART
	v_add_f32 v12, v75, v12 row_shl:11 bound_ctrl:0 
	;;#ASMEND
	;;#ASMSTART
	v_add_f32 v40, v49, v40 row_shl:9 bound_ctrl:0 
	;;#ASMEND
	scratch_load_dwordx4 v[46:49], off, off offset:848
	scratch_load_dwordx4 v[60:63], off, off offset:832
	;; [unrolled: 1-line block ×4, first 2 shown]
	ds_bpermute_b32 v18, v112, v12
	s_waitcnt vmcnt(18)
	;;#ASMSTART
	v_add_f32 v24, v25, v24 row_shl:1 bound_ctrl:0 
	;;#ASMEND
	ds_bpermute_b32 v13, v113, v13
	;;#ASMSTART
	v_add_f32 v40, v50, v40 row_shl:10 bound_ctrl:0 
	;;#ASMEND
	;;#ASMSTART
	v_add_f32 v24, v26, v24 row_shl:2 bound_ctrl:0 
	;;#ASMEND
	s_waitcnt lgkmcnt(2)
	v_add_f32_e32 v19, v44, v19
	;;#ASMSTART
	v_add_f32 v40, v51, v40 row_shl:11 bound_ctrl:0 
	;;#ASMEND
	ds_bpermute_b32 v41, v112, v40
	;;#ASMSTART
	v_add_f32 v24, v27, v24 row_shl:3 bound_ctrl:0 
	;;#ASMEND
	ds_bpermute_b32 v19, v113, v19
	;;#ASMSTART
	v_add_f32 v24, v20, v24 row_shl:8 bound_ctrl:0 
	;;#ASMEND
	s_waitcnt lgkmcnt(3)
	v_add_f32_e32 v12, v12, v18
	;;#ASMSTART
	v_add_f32 v24, v21, v24 row_shl:9 bound_ctrl:0 
	;;#ASMEND
	s_waitcnt lgkmcnt(2)
	v_add_f32_e32 v12, v12, v13
	;;#ASMSTART
	v_add_f32 v24, v22, v24 row_shl:10 bound_ctrl:0 
	;;#ASMEND
	s_waitcnt vmcnt(16)
	;;#ASMSTART
	v_add_f32 v0, v1, v0 row_shl:1 bound_ctrl:0 
	;;#ASMEND
	scratch_store_dword off, v12, off offset:512
	;;#ASMSTART
	v_add_f32 v24, v23, v24 row_shl:11 bound_ctrl:0 
	;;#ASMEND
	ds_bpermute_b32 v1, v114, v24
	s_waitcnt lgkmcnt(2)
	v_add_f32_e32 v12, v40, v41
	s_waitcnt lgkmcnt(1)
	v_add_f32_e32 v12, v12, v19
	;;#ASMSTART
	v_add_f32 v0, v2, v0 row_shl:2 bound_ctrl:0 
	;;#ASMEND
	scratch_store_dword off, v12, off offset:576
	;;#ASMSTART
	v_add_f32 v0, v3, v0 row_shl:3 bound_ctrl:0 
	;;#ASMEND
	s_waitcnt vmcnt(14)
	;;#ASMSTART
	v_add_f32 v8, v9, v8 row_shl:1 bound_ctrl:0 
	;;#ASMEND
	;;#ASMSTART
	v_add_f32 v0, v28, v0 row_shl:8 bound_ctrl:0 
	;;#ASMEND
	scratch_load_dwordx4 v[40:43], off, off offset:912
	scratch_load_dwordx4 v[18:21], off, off offset:896
	;; [unrolled: 1-line block ×4, first 2 shown]
	;;#ASMSTART
	v_add_f32 v8, v10, v8 row_shl:2 bound_ctrl:0 
	;;#ASMEND
	;;#ASMSTART
	v_add_f32 v0, v29, v0 row_shl:9 bound_ctrl:0 
	;;#ASMEND
	s_waitcnt lgkmcnt(0)
	v_add_f32_e32 v1, v24, v1
	;;#ASMSTART
	v_add_f32 v8, v11, v8 row_shl:3 bound_ctrl:0 
	;;#ASMEND
	scratch_load_dwordx4 v[10:13], off, off offset:976
	scratch_load_dwordx4 v[22:25], off, off offset:960
	;; [unrolled: 1-line block ×4, first 2 shown]
	s_waitcnt vmcnt(20)
	;;#ASMSTART
	v_add_f32 v32, v33, v32 row_shl:1 bound_ctrl:0 
	;;#ASMEND
	;;#ASMSTART
	v_add_f32 v0, v30, v0 row_shl:10 bound_ctrl:0 
	;;#ASMEND
	;; [unrolled: 3-line block ×3, first 2 shown]
	ds_bpermute_b32 v1, v113, v1
	;;#ASMSTART
	v_add_f32 v32, v34, v32 row_shl:2 bound_ctrl:0 
	;;#ASMEND
	;;#ASMSTART
	v_add_f32 v0, v31, v0 row_shl:11 bound_ctrl:0 
	;;#ASMEND
	ds_bpermute_b32 v2, v112, v0
	;;#ASMSTART
	v_add_f32 v32, v35, v32 row_shl:3 bound_ctrl:0 
	;;#ASMEND
	;;#ASMSTART
	v_add_f32 v8, v5, v8 row_shl:9 bound_ctrl:0 
	;;#ASMEND
	s_waitcnt vmcnt(14)
	;;#ASMSTART
	v_add_f32 v56, v57, v56 row_shl:1 bound_ctrl:0 
	;;#ASMEND
	;;#ASMSTART
	v_add_f32 v32, v36, v32 row_shl:8 bound_ctrl:0 
	;;#ASMEND
	;; [unrolled: 3-line block ×3, first 2 shown]
	s_nop 0
	;;#ASMSTART
	v_add_f32 v56, v58, v56 row_shl:2 bound_ctrl:0 
	;;#ASMEND
	s_waitcnt lgkmcnt(0)
	v_add_f32_e32 v0, v0, v2
	;;#ASMSTART
	v_add_f32 v32, v37, v32 row_shl:9 bound_ctrl:0 
	;;#ASMEND
	;;#ASMSTART
	v_add_f32 v8, v7, v8 row_shl:11 bound_ctrl:0 
	;;#ASMEND
	ds_bpermute_b32 v4, v112, v8
	;;#ASMSTART
	v_add_f32 v32, v38, v32 row_shl:10 bound_ctrl:0 
	;;#ASMEND
	;;#ASMSTART
	v_add_f32 v56, v59, v56 row_shl:3 bound_ctrl:0 
	;;#ASMEND
	s_waitcnt vmcnt(10)
	;;#ASMSTART
	v_add_f32 v68, v69, v68 row_shl:1 bound_ctrl:0 
	;;#ASMEND
	v_add_f32_e32 v0, v0, v1
	;;#ASMSTART
	v_add_f32 v32, v39, v32 row_shl:11 bound_ctrl:0 
	;;#ASMEND
	ds_bpermute_b32 v3, v114, v32
	;;#ASMSTART
	v_add_f32 v56, v64, v56 row_shl:8 bound_ctrl:0 
	;;#ASMEND
	;;#ASMSTART
	v_add_f32 v68, v70, v68 row_shl:2 bound_ctrl:0 
	;;#ASMEND
	scratch_store_dword off, v0, off offset:640
	s_waitcnt lgkmcnt(1)
	v_add_f32_e32 v0, v8, v4
	s_waitcnt lgkmcnt(0)
	v_add_f32_e32 v3, v32, v3
	ds_bpermute_b32 v3, v113, v3
	;;#ASMSTART
	v_add_f32 v56, v65, v56 row_shl:9 bound_ctrl:0 
	;;#ASMEND
	;;#ASMSTART
	v_add_f32 v68, v71, v68 row_shl:3 bound_ctrl:0 
	;;#ASMEND
	;; [unrolled: 3-line block ×4, first 2 shown]
	s_waitcnt lgkmcnt(0)
	v_add_f32_e32 v0, v0, v3
	;;#ASMSTART
	v_add_f32 v56, v66, v56 row_shl:10 bound_ctrl:0 
	;;#ASMEND
	;;#ASMSTART
	v_add_f32 v68, v72, v68 row_shl:8 bound_ctrl:0 
	;;#ASMEND
	scratch_store_dword off, v0, off offset:704
	;;#ASMSTART
	v_add_f32 v14, v16, v14 row_shl:2 bound_ctrl:0 
	;;#ASMEND
	;;#ASMSTART
	v_add_f32 v56, v67, v56 row_shl:11 bound_ctrl:0 
	;;#ASMEND
	ds_bpermute_b32 v0, v114, v56
	;;#ASMSTART
	v_add_f32 v68, v73, v68 row_shl:9 bound_ctrl:0 
	;;#ASMEND
	;;#ASMSTART
	v_add_f32 v14, v17, v14 row_shl:3 bound_ctrl:0 
	;;#ASMEND
	;; [unrolled: 3-line block ×3, first 2 shown]
	s_waitcnt vmcnt(6)
	;;#ASMSTART
	v_add_f32 v76, v77, v76 row_shl:1 bound_ctrl:0 
	;;#ASMEND
	;;#ASMSTART
	v_add_f32 v68, v74, v68 row_shl:10 bound_ctrl:0 
	;;#ASMEND
	;; [unrolled: 3-line block ×4, first 2 shown]
	s_waitcnt lgkmcnt(0)
	v_add_f32_e32 v0, v56, v0
	;;#ASMSTART
	v_add_f32 v68, v75, v68 row_shl:11 bound_ctrl:0 
	;;#ASMEND
	ds_bpermute_b32 v2, v114, v68
	;;#ASMSTART
	v_add_f32 v14, v53, v14 row_shl:9 bound_ctrl:0 
	;;#ASMEND
	;;#ASMSTART
	v_add_f32 v60, v46, v60 row_shl:8 bound_ctrl:0 
	;;#ASMEND
	ds_bpermute_b32 v0, v113, v0
	;;#ASMSTART
	v_add_f32 v14, v54, v14 row_shl:10 bound_ctrl:0 
	;;#ASMEND
	;;#ASMSTART
	v_add_f32 v60, v47, v60 row_shl:9 bound_ctrl:0 
	;;#ASMEND
	s_waitcnt lgkmcnt(1)
	v_add_f32_e32 v2, v68, v2
	;;#ASMSTART
	v_add_f32 v14, v55, v14 row_shl:11 bound_ctrl:0 
	;;#ASMEND
	ds_bpermute_b32 v1, v112, v14
	;;#ASMSTART
	v_add_f32 v60, v48, v60 row_shl:10 bound_ctrl:0 
	;;#ASMEND
	ds_bpermute_b32 v2, v113, v2
	;; [unrolled: 4-line block ×3, first 2 shown]
	;;#ASMSTART
	v_add_f32 v76, v78, v76 row_shl:2 bound_ctrl:0 
	;;#ASMEND
	s_waitcnt vmcnt(2)
	;;#ASMSTART
	v_add_f32 v26, v27, v26 row_shl:1 bound_ctrl:0 
	;;#ASMEND
	s_waitcnt lgkmcnt(2)
	v_add_f32_e32 v1, v14, v1
	;;#ASMSTART
	v_add_f32 v76, v79, v76 row_shl:3 bound_ctrl:0 
	;;#ASMEND
	;;#ASMSTART
	v_add_f32 v26, v28, v26 row_shl:2 bound_ctrl:0 
	;;#ASMEND
	v_add_f32_e32 v0, v1, v0
	;;#ASMSTART
	v_add_f32 v76, v80, v76 row_shl:8 bound_ctrl:0 
	;;#ASMEND
	;;#ASMSTART
	v_add_f32 v26, v29, v26 row_shl:3 bound_ctrl:0 
	;;#ASMEND
	scratch_store_dword off, v0, off offset:768
	;;#ASMSTART
	v_add_f32 v76, v81, v76 row_shl:9 bound_ctrl:0 
	;;#ASMEND
	;;#ASMSTART
	v_add_f32 v26, v84, v26 row_shl:8 bound_ctrl:0 
	;;#ASMEND
	s_waitcnt lgkmcnt(0)
	v_add_f32_e32 v0, v60, v3
	;;#ASMSTART
	v_add_f32 v18, v19, v18 row_shl:1 bound_ctrl:0 
	;;#ASMEND
	;;#ASMSTART
	v_add_f32 v76, v82, v76 row_shl:10 bound_ctrl:0 
	;;#ASMEND
	;; [unrolled: 3-line block ×3, first 2 shown]
	v_add_f32_e32 v2, v0, v2
	;;#ASMSTART
	v_add_f32 v18, v20, v18 row_shl:2 bound_ctrl:0 
	;;#ASMEND
	;;#ASMSTART
	v_add_f32 v76, v83, v76 row_shl:11 bound_ctrl:0 
	;;#ASMEND
	ds_bpermute_b32 v0, v114, v76
	;;#ASMSTART
	v_add_f32 v22, v23, v22 row_shl:1 bound_ctrl:0 
	;;#ASMEND
	;;#ASMSTART
	v_add_f32 v26, v86, v26 row_shl:10 bound_ctrl:0 
	;;#ASMEND
	;;#ASMSTART
	v_add_f32 v18, v21, v18 row_shl:3 bound_ctrl:0 
	;;#ASMEND
	scratch_store_dword off, v2, off offset:832
	;;#ASMSTART
	v_add_f32 v22, v24, v22 row_shl:2 bound_ctrl:0 
	;;#ASMEND
	;;#ASMSTART
	v_add_f32 v26, v87, v26 row_shl:11 bound_ctrl:0 
	;;#ASMEND
	ds_bpermute_b32 v3, v114, v26
	;;#ASMSTART
	v_add_f32 v18, v40, v18 row_shl:8 bound_ctrl:0 
	;;#ASMEND
	;;#ASMSTART
	v_add_f32 v22, v25, v22 row_shl:3 bound_ctrl:0 
	;;#ASMEND
	s_waitcnt lgkmcnt(1)
	v_add_f32_e32 v0, v76, v0
	;;#ASMSTART
	v_add_f32 v18, v41, v18 row_shl:9 bound_ctrl:0 
	;;#ASMEND
	;;#ASMSTART
	v_add_f32 v22, v10, v22 row_shl:8 bound_ctrl:0 
	;;#ASMEND
	ds_bpermute_b32 v0, v113, v0
	;;#ASMSTART
	v_add_f32 v18, v42, v18 row_shl:10 bound_ctrl:0 
	;;#ASMEND
	;;#ASMSTART
	v_add_f32 v22, v11, v22 row_shl:9 bound_ctrl:0 
	;;#ASMEND
	s_waitcnt lgkmcnt(1)
	v_add_f32_e32 v3, v26, v3
	;;#ASMSTART
	v_add_f32 v18, v43, v18 row_shl:11 bound_ctrl:0 
	;;#ASMEND
	ds_bpermute_b32 v1, v112, v18
	;;#ASMSTART
	v_add_f32 v22, v12, v22 row_shl:10 bound_ctrl:0 
	;;#ASMEND
	ds_bpermute_b32 v3, v113, v3
	;; [unrolled: 4-line block ×3, first 2 shown]
	s_waitcnt lgkmcnt(2)
	v_add_f32_e32 v1, v18, v1
	v_add_f32_e32 v4, v1, v0
	scratch_store_dword off, v4, off offset:896
	s_waitcnt lgkmcnt(0)
	v_add_f32_e32 v0, v22, v5
	v_add_f32_e32 v3, v0, v3
	scratch_store_dword off, v3, off offset:960
	s_mov_b64 s[20:21], exec
	scratch_load_dwordx2 v[12:13], off, off offset:1956 ; 8-byte Folded Reload
	s_and_b64 s[22:23], s[20:21], s[0:1]
	v_mov_b32_e32 v15, v121
	s_mov_b64 exec, s[22:23]
	s_cbranch_execz .LBB80_7
; %bb.17:                               ;   in Loop: Header=BB80_8 Depth=1
	scratch_load_dwordx4 v[6:9], off, off
                                        ; implicit-def: $vgpr5
	s_waitcnt vmcnt(0)
	v_mul_f32_e32 v0, s7, v6
	v_mul_f32_e32 v0, s24, v0
	v_and_b32_e32 v1, 0x7f800000, v0
	v_cmp_ne_u32_e32 vcc, s26, v1
	s_and_saveexec_b64 s[22:23], vcc
	s_xor_b64 s[22:23], exec, s[22:23]
; %bb.18:                               ;   in Loop: Header=BB80_8 Depth=1
	v_bfe_u32 v1, v0, 16, 1
	v_add3_u32 v5, v0, v1, s27
                                        ; implicit-def: $vgpr0
; %bb.19:                               ;   in Loop: Header=BB80_8 Depth=1
	s_andn2_saveexec_b64 s[22:23], s[22:23]
; %bb.20:                               ;   in Loop: Header=BB80_8 Depth=1
	v_or_b32_e32 v1, 0x10000, v0
	v_cmp_eq_u32_sdwa vcc, v0, v15 src0_sel:WORD_0 src1_sel:DWORD
	s_nop 1
	v_cndmask_b32_e32 v5, v1, v0, vcc
; %bb.21:                               ;   in Loop: Header=BB80_8 Depth=1
	s_or_b64 exec, exec, s[22:23]
	scratch_load_dwordx4 v[6:9], off, off offset:64
	v_mov_b32_e32 v13, v15
	v_lshl_add_u64 v[0:1], v[12:13], 1, s[12:13]
	global_store_short_d16_hi v[0:1], v5, off
	s_waitcnt vmcnt(1)
	v_mul_f32_e32 v5, s7, v6
	v_mul_f32_e32 v5, s24, v5
	v_and_b32_e32 v6, 0x7f800000, v5
	v_cmp_ne_u32_e32 vcc, s26, v6
                                        ; implicit-def: $vgpr6
	s_and_saveexec_b64 s[22:23], vcc
	s_xor_b64 s[22:23], exec, s[22:23]
; %bb.22:                               ;   in Loop: Header=BB80_8 Depth=1
	v_bfe_u32 v6, v5, 16, 1
	v_add3_u32 v6, v5, v6, s27
                                        ; implicit-def: $vgpr5
; %bb.23:                               ;   in Loop: Header=BB80_8 Depth=1
	s_andn2_saveexec_b64 s[22:23], s[22:23]
; %bb.24:                               ;   in Loop: Header=BB80_8 Depth=1
	v_or_b32_e32 v6, 0x10000, v5
	v_cmp_eq_u32_sdwa vcc, v5, v15 src0_sel:WORD_0 src1_sel:DWORD
	s_nop 1
	v_cndmask_b32_e32 v6, v6, v5, vcc
; %bb.25:                               ;   in Loop: Header=BB80_8 Depth=1
	s_or_b64 exec, exec, s[22:23]
	scratch_load_dwordx4 v[8:11], off, off offset:128
	s_waitcnt vmcnt(0)
	v_mul_f32_e32 v5, s7, v8
	v_mul_f32_e32 v5, s24, v5
	global_store_short_d16_hi v[0:1], v6, off offset:2
	v_and_b32_e32 v6, 0x7f800000, v5
	v_cmp_ne_u32_e32 vcc, s26, v6
                                        ; implicit-def: $vgpr6
	s_and_saveexec_b64 s[22:23], vcc
	s_xor_b64 s[22:23], exec, s[22:23]
; %bb.26:                               ;   in Loop: Header=BB80_8 Depth=1
	v_bfe_u32 v6, v5, 16, 1
	v_add3_u32 v6, v5, v6, s27
                                        ; implicit-def: $vgpr5
; %bb.27:                               ;   in Loop: Header=BB80_8 Depth=1
	s_andn2_saveexec_b64 s[22:23], s[22:23]
; %bb.28:                               ;   in Loop: Header=BB80_8 Depth=1
	v_or_b32_e32 v6, 0x10000, v5
	v_cmp_eq_u32_sdwa vcc, v5, v15 src0_sel:WORD_0 src1_sel:DWORD
	s_nop 1
	v_cndmask_b32_e32 v6, v6, v5, vcc
; %bb.29:                               ;   in Loop: Header=BB80_8 Depth=1
	s_or_b64 exec, exec, s[22:23]
	scratch_load_dwordx4 v[8:11], off, off offset:192
	s_waitcnt vmcnt(0)
	v_mul_f32_e32 v5, s7, v8
	v_mul_f32_e32 v5, s24, v5
	global_store_short_d16_hi v[0:1], v6, off offset:4
	v_and_b32_e32 v6, 0x7f800000, v5
	v_cmp_ne_u32_e32 vcc, s26, v6
                                        ; implicit-def: $vgpr6
	s_and_saveexec_b64 s[22:23], vcc
	s_xor_b64 s[22:23], exec, s[22:23]
; %bb.30:                               ;   in Loop: Header=BB80_8 Depth=1
	v_bfe_u32 v6, v5, 16, 1
	v_add3_u32 v6, v5, v6, s27
                                        ; implicit-def: $vgpr5
; %bb.31:                               ;   in Loop: Header=BB80_8 Depth=1
	s_andn2_saveexec_b64 s[22:23], s[22:23]
; %bb.32:                               ;   in Loop: Header=BB80_8 Depth=1
	v_or_b32_e32 v6, 0x10000, v5
	v_cmp_eq_u32_sdwa vcc, v5, v15 src0_sel:WORD_0 src1_sel:DWORD
	s_nop 1
	v_cndmask_b32_e32 v6, v6, v5, vcc
; %bb.33:                               ;   in Loop: Header=BB80_8 Depth=1
	s_or_b64 exec, exec, s[22:23]
	scratch_load_dwordx4 v[8:11], off, off offset:256
	s_nop 0
	global_store_short_d16_hi v[0:1], v6, off offset:6
	s_waitcnt vmcnt(1)
	v_mul_f32_e32 v0, s7, v8
	v_mul_f32_e32 v1, s24, v0
	v_and_b32_e32 v0, 0x7f800000, v1
	v_cmp_ne_u32_e32 vcc, s26, v0
                                        ; implicit-def: $vgpr0
	s_and_saveexec_b64 s[22:23], vcc
	s_xor_b64 s[22:23], exec, s[22:23]
; %bb.34:                               ;   in Loop: Header=BB80_8 Depth=1
	v_bfe_u32 v0, v1, 16, 1
	v_add3_u32 v0, v1, v0, s27
                                        ; implicit-def: $vgpr1
; %bb.35:                               ;   in Loop: Header=BB80_8 Depth=1
	s_andn2_saveexec_b64 s[22:23], s[22:23]
; %bb.36:                               ;   in Loop: Header=BB80_8 Depth=1
	v_or_b32_e32 v0, 0x10000, v1
	v_cmp_eq_u32_sdwa vcc, v1, v15 src0_sel:WORD_0 src1_sel:DWORD
	s_nop 1
	v_cndmask_b32_e32 v0, v0, v1, vcc
; %bb.37:                               ;   in Loop: Header=BB80_8 Depth=1
	s_or_b64 exec, exec, s[22:23]
	scratch_load_dwordx4 v[6:9], off, off offset:320
	v_add_u32_e32 v14, s6, v12
	s_waitcnt vmcnt(0)
	v_lshl_add_u64 v[8:9], v[14:15], 1, s[12:13]
	global_store_short_d16_hi v[8:9], v0, off
	v_mul_f32_e32 v0, s7, v6
	v_mul_f32_e32 v1, s24, v0
	v_and_b32_e32 v0, 0x7f800000, v1
	v_cmp_ne_u32_e32 vcc, s26, v0
                                        ; implicit-def: $vgpr0
	s_and_saveexec_b64 s[22:23], vcc
	s_xor_b64 s[22:23], exec, s[22:23]
; %bb.38:                               ;   in Loop: Header=BB80_8 Depth=1
	v_bfe_u32 v0, v1, 16, 1
	v_add3_u32 v0, v1, v0, s27
                                        ; implicit-def: $vgpr1
; %bb.39:                               ;   in Loop: Header=BB80_8 Depth=1
	s_andn2_saveexec_b64 s[22:23], s[22:23]
; %bb.40:                               ;   in Loop: Header=BB80_8 Depth=1
	v_or_b32_e32 v0, 0x10000, v1
	v_cmp_eq_u32_sdwa vcc, v1, v15 src0_sel:WORD_0 src1_sel:DWORD
	s_nop 1
	v_cndmask_b32_e32 v0, v0, v1, vcc
; %bb.41:                               ;   in Loop: Header=BB80_8 Depth=1
	s_or_b64 exec, exec, s[22:23]
	scratch_load_dwordx4 v[6:9], off, off offset:384
	s_waitcnt vmcnt(0)
	v_add_u32_e32 v8, 1, v14
	v_mov_b32_e32 v9, v15
	v_lshl_add_u64 v[8:9], v[8:9], 1, s[12:13]
	global_store_short_d16_hi v[8:9], v0, off
	v_mul_f32_e32 v0, s7, v6
	v_mul_f32_e32 v1, s24, v0
	v_and_b32_e32 v0, 0x7f800000, v1
	v_cmp_ne_u32_e32 vcc, s26, v0
                                        ; implicit-def: $vgpr0
	s_and_saveexec_b64 s[22:23], vcc
	s_xor_b64 s[22:23], exec, s[22:23]
; %bb.42:                               ;   in Loop: Header=BB80_8 Depth=1
	v_bfe_u32 v0, v1, 16, 1
	v_add3_u32 v0, v1, v0, s27
                                        ; implicit-def: $vgpr1
; %bb.43:                               ;   in Loop: Header=BB80_8 Depth=1
	s_andn2_saveexec_b64 s[22:23], s[22:23]
; %bb.44:                               ;   in Loop: Header=BB80_8 Depth=1
	v_or_b32_e32 v0, 0x10000, v1
	v_cmp_eq_u32_sdwa vcc, v1, v15 src0_sel:WORD_0 src1_sel:DWORD
	s_nop 1
	v_cndmask_b32_e32 v0, v0, v1, vcc
; %bb.45:                               ;   in Loop: Header=BB80_8 Depth=1
	s_or_b64 exec, exec, s[22:23]
	scratch_load_dwordx4 v[6:9], off, off offset:448
	s_waitcnt vmcnt(0)
	v_add_u32_e32 v8, 2, v14
	v_mov_b32_e32 v9, v15
	;; [unrolled: 26-line block ×3, first 2 shown]
	v_lshl_add_u64 v[8:9], v[8:9], 1, s[12:13]
	global_store_short_d16_hi v[8:9], v0, off
                                        ; implicit-def: $vgpr5
	v_mul_f32_e32 v0, s7, v6
	v_mul_f32_e32 v0, s24, v0
	v_and_b32_e32 v1, 0x7f800000, v0
	v_cmp_ne_u32_e32 vcc, s26, v1
	s_and_saveexec_b64 s[22:23], vcc
	s_xor_b64 s[22:23], exec, s[22:23]
; %bb.50:                               ;   in Loop: Header=BB80_8 Depth=1
	v_bfe_u32 v1, v0, 16, 1
	v_add3_u32 v5, v0, v1, s27
                                        ; implicit-def: $vgpr0
; %bb.51:                               ;   in Loop: Header=BB80_8 Depth=1
	s_andn2_saveexec_b64 s[22:23], s[22:23]
; %bb.52:                               ;   in Loop: Header=BB80_8 Depth=1
	v_or_b32_e32 v1, 0x10000, v0
	v_cmp_eq_u32_sdwa vcc, v0, v15 src0_sel:WORD_0 src1_sel:DWORD
	s_nop 1
	v_cndmask_b32_e32 v5, v1, v0, vcc
; %bb.53:                               ;   in Loop: Header=BB80_8 Depth=1
	s_or_b64 exec, exec, s[22:23]
	scratch_load_dwordx4 v[6:9], off, off offset:576
	v_add_u32_e32 v14, s6, v14
	v_lshl_add_u64 v[0:1], v[14:15], 1, s[12:13]
	global_store_short_d16_hi v[0:1], v5, off
	s_waitcnt vmcnt(1)
	v_mul_f32_e32 v5, s7, v6
	v_mul_f32_e32 v5, s24, v5
	v_and_b32_e32 v6, 0x7f800000, v5
	v_cmp_ne_u32_e32 vcc, s26, v6
                                        ; implicit-def: $vgpr6
	s_and_saveexec_b64 s[22:23], vcc
	s_xor_b64 s[22:23], exec, s[22:23]
; %bb.54:                               ;   in Loop: Header=BB80_8 Depth=1
	v_bfe_u32 v6, v5, 16, 1
	v_add3_u32 v6, v5, v6, s27
                                        ; implicit-def: $vgpr5
; %bb.55:                               ;   in Loop: Header=BB80_8 Depth=1
	s_andn2_saveexec_b64 s[22:23], s[22:23]
; %bb.56:                               ;   in Loop: Header=BB80_8 Depth=1
	v_or_b32_e32 v6, 0x10000, v5
	v_cmp_eq_u32_sdwa vcc, v5, v15 src0_sel:WORD_0 src1_sel:DWORD
	s_nop 1
	v_cndmask_b32_e32 v6, v6, v5, vcc
; %bb.57:                               ;   in Loop: Header=BB80_8 Depth=1
	s_or_b64 exec, exec, s[22:23]
	scratch_load_dwordx4 v[8:11], off, off offset:640
	s_nop 0
	global_store_short_d16_hi v[0:1], v6, off offset:2
	s_waitcnt vmcnt(1)
	v_mul_f32_e32 v0, s7, v8
	v_mul_f32_e32 v1, s24, v0
	v_and_b32_e32 v0, 0x7f800000, v1
	v_cmp_ne_u32_e32 vcc, s26, v0
                                        ; implicit-def: $vgpr0
	s_and_saveexec_b64 s[22:23], vcc
	s_xor_b64 s[22:23], exec, s[22:23]
; %bb.58:                               ;   in Loop: Header=BB80_8 Depth=1
	v_bfe_u32 v0, v1, 16, 1
	v_add3_u32 v0, v1, v0, s27
                                        ; implicit-def: $vgpr1
; %bb.59:                               ;   in Loop: Header=BB80_8 Depth=1
	s_andn2_saveexec_b64 s[22:23], s[22:23]
; %bb.60:                               ;   in Loop: Header=BB80_8 Depth=1
	v_or_b32_e32 v0, 0x10000, v1
	v_cmp_eq_u32_sdwa vcc, v1, v15 src0_sel:WORD_0 src1_sel:DWORD
	s_nop 1
	v_cndmask_b32_e32 v0, v0, v1, vcc
; %bb.61:                               ;   in Loop: Header=BB80_8 Depth=1
	s_or_b64 exec, exec, s[22:23]
	scratch_load_dwordx4 v[6:9], off, off offset:704
	s_waitcnt vmcnt(0)
	v_add_u32_e32 v8, 2, v14
	v_mov_b32_e32 v9, v15
	v_lshl_add_u64 v[8:9], v[8:9], 1, s[12:13]
	global_store_short_d16_hi v[8:9], v0, off
	v_mul_f32_e32 v0, s7, v6
	v_mul_f32_e32 v1, s24, v0
	v_and_b32_e32 v0, 0x7f800000, v1
	v_cmp_ne_u32_e32 vcc, s26, v0
                                        ; implicit-def: $vgpr0
	s_and_saveexec_b64 s[22:23], vcc
	s_xor_b64 s[22:23], exec, s[22:23]
; %bb.62:                               ;   in Loop: Header=BB80_8 Depth=1
	v_bfe_u32 v0, v1, 16, 1
	v_add3_u32 v0, v1, v0, s27
                                        ; implicit-def: $vgpr1
; %bb.63:                               ;   in Loop: Header=BB80_8 Depth=1
	s_andn2_saveexec_b64 s[22:23], s[22:23]
; %bb.64:                               ;   in Loop: Header=BB80_8 Depth=1
	v_or_b32_e32 v0, 0x10000, v1
	v_cmp_eq_u32_sdwa vcc, v1, v15 src0_sel:WORD_0 src1_sel:DWORD
	s_nop 1
	v_cndmask_b32_e32 v0, v0, v1, vcc
; %bb.65:                               ;   in Loop: Header=BB80_8 Depth=1
	s_or_b64 exec, exec, s[22:23]
	scratch_load_dwordx4 v[6:9], off, off offset:768
	s_waitcnt vmcnt(0)
	v_add_u32_e32 v8, 3, v14
	v_mov_b32_e32 v9, v15
	v_lshl_add_u64 v[8:9], v[8:9], 1, s[12:13]
	global_store_short_d16_hi v[8:9], v0, off
	v_mul_f32_e32 v0, s7, v6
	v_mul_f32_e32 v1, s24, v0
	v_and_b32_e32 v0, 0x7f800000, v1
	v_cmp_ne_u32_e32 vcc, s26, v0
                                        ; implicit-def: $vgpr0
	s_and_saveexec_b64 s[22:23], vcc
	s_xor_b64 s[22:23], exec, s[22:23]
; %bb.66:                               ;   in Loop: Header=BB80_8 Depth=1
	v_bfe_u32 v0, v1, 16, 1
	v_add3_u32 v0, v1, v0, s27
                                        ; implicit-def: $vgpr1
; %bb.67:                               ;   in Loop: Header=BB80_8 Depth=1
	s_andn2_saveexec_b64 s[22:23], s[22:23]
; %bb.68:                               ;   in Loop: Header=BB80_8 Depth=1
	v_or_b32_e32 v0, 0x10000, v1
	v_cmp_eq_u32_sdwa vcc, v1, v15 src0_sel:WORD_0 src1_sel:DWORD
	s_nop 1
	v_cndmask_b32_e32 v0, v0, v1, vcc
; %bb.69:                               ;   in Loop: Header=BB80_8 Depth=1
	s_or_b64 exec, exec, s[22:23]
	v_add_u32_e32 v14, s6, v14
	v_lshl_add_u64 v[6:7], v[14:15], 1, s[12:13]
	global_store_short_d16_hi v[6:7], v0, off
	v_mul_f32_e32 v0, s7, v2
	v_mul_f32_e32 v1, s24, v0
	v_and_b32_e32 v0, 0x7f800000, v1
	v_cmp_ne_u32_e32 vcc, s26, v0
                                        ; implicit-def: $vgpr0
	s_and_saveexec_b64 s[22:23], vcc
	s_xor_b64 s[22:23], exec, s[22:23]
; %bb.70:                               ;   in Loop: Header=BB80_8 Depth=1
	v_bfe_u32 v0, v1, 16, 1
	v_add3_u32 v0, v1, v0, s27
                                        ; implicit-def: $vgpr1
; %bb.71:                               ;   in Loop: Header=BB80_8 Depth=1
	s_andn2_saveexec_b64 s[22:23], s[22:23]
; %bb.72:                               ;   in Loop: Header=BB80_8 Depth=1
	v_or_b32_e32 v0, 0x10000, v1
	v_cmp_eq_u32_sdwa vcc, v1, v15 src0_sel:WORD_0 src1_sel:DWORD
	s_nop 1
	v_cndmask_b32_e32 v0, v0, v1, vcc
; %bb.73:                               ;   in Loop: Header=BB80_8 Depth=1
	s_or_b64 exec, exec, s[22:23]
	v_add_u32_e32 v6, 1, v14
	v_mov_b32_e32 v7, v15
	v_lshl_add_u64 v[6:7], v[6:7], 1, s[12:13]
	global_store_short_d16_hi v[6:7], v0, off
	v_mul_f32_e32 v0, s7, v4
	v_mul_f32_e32 v1, s24, v0
	v_and_b32_e32 v0, 0x7f800000, v1
	v_cmp_ne_u32_e32 vcc, s26, v0
                                        ; implicit-def: $vgpr0
	s_and_saveexec_b64 s[22:23], vcc
	s_xor_b64 s[22:23], exec, s[22:23]
; %bb.74:                               ;   in Loop: Header=BB80_8 Depth=1
	v_bfe_u32 v0, v1, 16, 1
	v_add3_u32 v0, v1, v0, s27
                                        ; implicit-def: $vgpr1
; %bb.75:                               ;   in Loop: Header=BB80_8 Depth=1
	s_andn2_saveexec_b64 s[22:23], s[22:23]
; %bb.76:                               ;   in Loop: Header=BB80_8 Depth=1
	v_or_b32_e32 v0, 0x10000, v1
	v_cmp_eq_u32_sdwa vcc, v1, v15 src0_sel:WORD_0 src1_sel:DWORD
	s_nop 1
	v_cndmask_b32_e32 v0, v0, v1, vcc
; %bb.77:                               ;   in Loop: Header=BB80_8 Depth=1
	s_or_b64 exec, exec, s[22:23]
	v_add_u32_e32 v4, 2, v14
	v_mov_b32_e32 v5, v15
	v_lshl_add_u64 v[4:5], v[4:5], 1, s[12:13]
	global_store_short_d16_hi v[4:5], v0, off
	v_mul_f32_e32 v0, s7, v3
	v_mul_f32_e32 v1, s24, v0
	v_and_b32_e32 v0, 0x7f800000, v1
	v_cmp_ne_u32_e32 vcc, s26, v0
                                        ; implicit-def: $vgpr0
	s_and_saveexec_b64 s[22:23], vcc
	s_xor_b64 s[22:23], exec, s[22:23]
; %bb.78:                               ;   in Loop: Header=BB80_8 Depth=1
	v_bfe_u32 v0, v1, 16, 1
	v_add3_u32 v0, v1, v0, s27
                                        ; implicit-def: $vgpr1
; %bb.79:                               ;   in Loop: Header=BB80_8 Depth=1
	s_andn2_saveexec_b64 s[22:23], s[22:23]
	s_cbranch_execz .LBB80_6
; %bb.80:                               ;   in Loop: Header=BB80_8 Depth=1
	v_or_b32_e32 v0, 0x10000, v1
	v_cmp_eq_u32_sdwa vcc, v1, v15 src0_sel:WORD_0 src1_sel:DWORD
	s_nop 1
	v_cndmask_b32_e32 v0, v0, v1, vcc
	s_branch .LBB80_6
.LBB80_81:
	s_endpgm
	.section	.rodata,"a",@progbits
	.p2align	6, 0x0
	.amdhsa_kernel _ZN5aiter17wvSplitKQ_hf_sml_I14__hip_bfloat16hLi64ELi4ELi16ELi16ELi1ELi4EEEviiiPKT0_S4_PT_PKfS8_ii
		.amdhsa_group_segment_fixed_size 65536
		.amdhsa_private_segment_fixed_size 2048
		.amdhsa_kernarg_size 64
		.amdhsa_user_sgpr_count 2
		.amdhsa_user_sgpr_dispatch_ptr 0
		.amdhsa_user_sgpr_queue_ptr 0
		.amdhsa_user_sgpr_kernarg_segment_ptr 1
		.amdhsa_user_sgpr_dispatch_id 0
		.amdhsa_user_sgpr_kernarg_preload_length 0
		.amdhsa_user_sgpr_kernarg_preload_offset 0
		.amdhsa_user_sgpr_private_segment_size 0
		.amdhsa_uses_dynamic_stack 0
		.amdhsa_enable_private_segment 1
		.amdhsa_system_sgpr_workgroup_id_x 1
		.amdhsa_system_sgpr_workgroup_id_y 0
		.amdhsa_system_sgpr_workgroup_id_z 0
		.amdhsa_system_sgpr_workgroup_info 0
		.amdhsa_system_vgpr_workitem_id 1
		.amdhsa_next_free_vgpr 128
		.amdhsa_next_free_sgpr 28
		.amdhsa_accum_offset 128
		.amdhsa_reserve_vcc 1
		.amdhsa_float_round_mode_32 0
		.amdhsa_float_round_mode_16_64 0
		.amdhsa_float_denorm_mode_32 3
		.amdhsa_float_denorm_mode_16_64 3
		.amdhsa_dx10_clamp 1
		.amdhsa_ieee_mode 1
		.amdhsa_fp16_overflow 0
		.amdhsa_tg_split 0
		.amdhsa_exception_fp_ieee_invalid_op 0
		.amdhsa_exception_fp_denorm_src 0
		.amdhsa_exception_fp_ieee_div_zero 0
		.amdhsa_exception_fp_ieee_overflow 0
		.amdhsa_exception_fp_ieee_underflow 0
		.amdhsa_exception_fp_ieee_inexact 0
		.amdhsa_exception_int_div_zero 0
	.end_amdhsa_kernel
	.section	.text._ZN5aiter17wvSplitKQ_hf_sml_I14__hip_bfloat16hLi64ELi4ELi16ELi16ELi1ELi4EEEviiiPKT0_S4_PT_PKfS8_ii,"axG",@progbits,_ZN5aiter17wvSplitKQ_hf_sml_I14__hip_bfloat16hLi64ELi4ELi16ELi16ELi1ELi4EEEviiiPKT0_S4_PT_PKfS8_ii,comdat
.Lfunc_end80:
	.size	_ZN5aiter17wvSplitKQ_hf_sml_I14__hip_bfloat16hLi64ELi4ELi16ELi16ELi1ELi4EEEviiiPKT0_S4_PT_PKfS8_ii, .Lfunc_end80-_ZN5aiter17wvSplitKQ_hf_sml_I14__hip_bfloat16hLi64ELi4ELi16ELi16ELi1ELi4EEEviiiPKT0_S4_PT_PKfS8_ii
                                        ; -- End function
	.section	.AMDGPU.csdata,"",@progbits
; Kernel info:
; codeLenInByte = 8952
; NumSgprs: 34
; NumVgprs: 128
; NumAgprs: 0
; TotalNumVgprs: 128
; ScratchSize: 2048
; MemoryBound: 0
; FloatMode: 240
; IeeeMode: 1
; LDSByteSize: 65536 bytes/workgroup (compile time only)
; SGPRBlocks: 4
; VGPRBlocks: 15
; NumSGPRsForWavesPerEU: 34
; NumVGPRsForWavesPerEU: 128
; AccumOffset: 128
; Occupancy: 4
; WaveLimiterHint : 1
; COMPUTE_PGM_RSRC2:SCRATCH_EN: 1
; COMPUTE_PGM_RSRC2:USER_SGPR: 2
; COMPUTE_PGM_RSRC2:TRAP_HANDLER: 0
; COMPUTE_PGM_RSRC2:TGID_X_EN: 1
; COMPUTE_PGM_RSRC2:TGID_Y_EN: 0
; COMPUTE_PGM_RSRC2:TGID_Z_EN: 0
; COMPUTE_PGM_RSRC2:TIDIG_COMP_CNT: 1
; COMPUTE_PGM_RSRC3_GFX90A:ACCUM_OFFSET: 31
; COMPUTE_PGM_RSRC3_GFX90A:TG_SPLIT: 0
	.section	.text._ZN5aiter13wvSplitKQ_hf_I14__hip_bfloat16hLi64ELi7ELi16ELi16ELi1ELi4EEEviiiPKT0_S4_PT_PKfS8_ii,"axG",@progbits,_ZN5aiter13wvSplitKQ_hf_I14__hip_bfloat16hLi64ELi7ELi16ELi16ELi1ELi4EEEviiiPKT0_S4_PT_PKfS8_ii,comdat
	.protected	_ZN5aiter13wvSplitKQ_hf_I14__hip_bfloat16hLi64ELi7ELi16ELi16ELi1ELi4EEEviiiPKT0_S4_PT_PKfS8_ii ; -- Begin function _ZN5aiter13wvSplitKQ_hf_I14__hip_bfloat16hLi64ELi7ELi16ELi16ELi1ELi4EEEviiiPKT0_S4_PT_PKfS8_ii
	.globl	_ZN5aiter13wvSplitKQ_hf_I14__hip_bfloat16hLi64ELi7ELi16ELi16ELi1ELi4EEEviiiPKT0_S4_PT_PKfS8_ii
	.p2align	8
	.type	_ZN5aiter13wvSplitKQ_hf_I14__hip_bfloat16hLi64ELi7ELi16ELi16ELi1ELi4EEEviiiPKT0_S4_PT_PKfS8_ii,@function
_ZN5aiter13wvSplitKQ_hf_I14__hip_bfloat16hLi64ELi7ELi16ELi16ELi1ELi4EEEviiiPKT0_S4_PT_PKfS8_ii: ; @_ZN5aiter13wvSplitKQ_hf_I14__hip_bfloat16hLi64ELi7ELi16ELi16ELi1ELi4EEEviiiPKT0_S4_PT_PKfS8_ii
; %bb.0:
	s_load_dwordx4 s[20:23], s[0:1], 0x0
	s_load_dwordx2 s[24:25], s[0:1], 0x18
	s_load_dwordx4 s[4:7], s[0:1], 0x28
	v_bfe_u32 v1, v0, 10, 10
	v_and_b32_e32 v0, 0x3ff, v0
	v_lshlrev_b32_e32 v4, 4, v0
	v_mov_b32_e32 v2, v4
	s_waitcnt lgkmcnt(0)
	s_lshl_b32 s3, s20, 2
	scratch_store_dwordx2 off, v[2:3], off offset:3752 ; 8-byte Folded Spill
	v_lshl_add_u32 v2, v1, 10, v4
	s_min_i32 s3, s3, 0x10000
	v_cmp_gt_u32_e32 vcc, s3, v2
	s_and_saveexec_b64 s[8:9], vcc
	s_cbranch_execz .LBB81_3
; %bb.1:
	s_mov_b64 s[10:11], 0
.LBB81_2:                               ; =>This Inner Loop Header: Depth=1
	global_load_dwordx4 v[4:7], v2, s[24:25]
	s_waitcnt vmcnt(0)
	ds_write_b128 v2, v[4:7]
	v_add_u32_e32 v2, 0x4000, v2
	v_cmp_le_u32_e32 vcc, s3, v2
	s_or_b64 s[10:11], vcc, s[10:11]
	s_andn2_b64 exec, exec, s[10:11]
	s_cbranch_execnz .LBB81_2
.LBB81_3:
	s_or_b64 exec, exec, s[8:9]
	s_load_dwordx2 s[8:9], s[0:1], 0x38
	s_waitcnt lgkmcnt(0)
	s_barrier
	v_cmp_gt_u32_e32 vcc, s8, v1
	s_and_saveexec_b64 s[10:11], vcc
	s_cbranch_execz .LBB81_179
; %bb.4:
	s_mul_i32 s2, s2, s8
	v_add_u32_e32 v1, s2, v1
	v_mul_lo_u32 v8, v1, 7
	v_cmp_gt_u32_e32 vcc, s22, v8
	s_and_b64 exec, exec, vcc
	s_cbranch_execz .LBB81_179
; %bb.5:
	s_load_dword s23, s[4:5], 0x0
	s_load_dword s33, s[6:7], 0x0
	s_load_dwordx2 s[26:27], s[0:1], 0x10
	s_load_dwordx2 s[28:29], s[0:1], 0x20
	scratch_load_dwordx2 v[2:3], off, off offset:3752 ; 8-byte Folded Reload
	s_mov_b32 s4, 0
	v_cmp_eq_u32_e64 s[0:1], 0, v0
	v_mul_lo_u32 v0, s21, v1
	s_mov_b32 s5, s4
	s_mov_b32 s6, s4
	;; [unrolled: 1-line block ×3, first 2 shown]
	s_mul_i32 s38, s8, s9
	s_cmp_lg_u32 s20, 0
	s_mul_i32 s38, s38, 7
	s_cselect_b64 s[30:31], -1, 0
	s_lshl_b32 s39, s22, 1
	s_mul_i32 s40, s22, 3
	s_mul_i32 s41, s38, s21
	s_ashr_i32 s35, s21, 31
	s_mov_b32 s34, s21
	s_mov_b64 s[36:37], 0
	s_mov_b32 s21, 0xffff
	s_mov_b32 s42, 0x7f800000
	s_movk_i32 s43, 0x7fff
	s_waitcnt vmcnt(0)
	v_mad_u64_u32 v[0:1], s[2:3], v0, 7, v[2:3]
	scratch_store_dwordx2 off, v[0:1], off offset:3816 ; 8-byte Folded Spill
	v_mov_b64_e32 v[0:1], s[4:5]
	v_mov_b64_e32 v[2:3], s[6:7]
	scratch_store_dwordx4 off, v[0:3], off offset:3824 ; 16-byte Folded Spill
	s_nop 1
	v_mov_b32_e32 v1, 0
	scratch_store_dwordx2 off, v[0:1], off offset:1904 ; 8-byte Folded Spill
	v_mbcnt_lo_u32_b32 v0, -1, 0
	v_mbcnt_hi_u32_b32 v0, -1, v0
	v_lshlrev_b32_e32 v0, 2, v0
	v_and_b32_e32 v20, 0x100, v0
	scratch_store_dword off, v20, off offset:3840 ; 4-byte Folded Spill
	s_branch .LBB81_8
.LBB81_6:                               ;   in Loop: Header=BB81_8 Depth=1
	s_or_b64 exec, exec, s[2:3]
	scratch_load_dwordx2 v[2:3], off, off offset:1904 ; 8-byte Folded Reload
	v_add_u32_e32 v4, s40, v0
	s_waitcnt vmcnt(0)
	v_mov_b32_e32 v5, v3
	scratch_store_dwordx2 off, v[2:3], off offset:1904 ; 8-byte Folded Spill
	v_lshl_add_u64 v[2:3], v[4:5], 1, s[28:29]
	global_store_short_d16_hi v[2:3], v1, off
.LBB81_7:                               ;   in Loop: Header=BB81_8 Depth=1
	s_or_b64 exec, exec, s[6:7]
	scratch_load_dwordx2 v[0:1], off, off offset:3816 ; 8-byte Folded Reload
	s_waitcnt vmcnt(1)
	v_add_u32_e32 v8, s38, v8
	v_cmp_le_u32_e32 vcc, s22, v8
	s_or_b64 s[36:37], vcc, s[36:37]
	s_waitcnt vmcnt(0)
	v_add_u32_e32 v0, s41, v0
	scratch_store_dwordx2 off, v[0:1], off offset:3816 ; 8-byte Folded Spill
	s_andn2_b64 exec, exec, s[36:37]
	s_cbranch_execz .LBB81_179
.LBB81_8:                               ; =>This Loop Header: Depth=1
                                        ;     Child Loop BB81_12 Depth 2
                                        ;       Child Loop BB81_14 Depth 3
                                        ;     Child Loop BB81_32 Depth 2
                                        ;     Child Loop BB81_34 Depth 2
	;; [unrolled: 1-line block ×4, first 2 shown]
	scratch_load_dwordx4 v[0:3], off, off offset:3824 ; 16-byte Folded Reload
	s_and_b64 vcc, exec, s[30:31]
	scratch_store_dwordx2 off, v[8:9], off offset:3808 ; 8-byte Folded Spill
	s_waitcnt vmcnt(1)
	scratch_store_dwordx4 off, v[0:3], off offset:48
	scratch_store_dwordx4 off, v[0:3], off offset:32
	scratch_store_dwordx4 off, v[0:3], off offset:16
	scratch_store_dwordx4 off, v[0:3], off
	scratch_store_dwordx4 off, v[0:3], off offset:496
	scratch_store_dwordx4 off, v[0:3], off offset:480
	;; [unrolled: 1-line block ×108, first 2 shown]
	s_cbranch_vccz .LBB81_31
; %bb.9:                                ;   in Loop: Header=BB81_8 Depth=1
	scratch_load_dwordx2 v[16:17], off, off offset:3816 ; 8-byte Folded Reload
	scratch_load_dwordx2 v[18:19], off, off offset:1904 ; 8-byte Folded Reload
	s_mov_b32 s5, s4
	s_mov_b32 s6, s4
	s_mov_b32 s7, s4
	s_mov_b32 s8, s4
	s_mov_b32 s9, s4
	s_mov_b32 s10, s4
	s_mov_b32 s11, s4
	s_mov_b32 s12, s4
	s_mov_b32 s13, s4
	s_mov_b32 s14, s4
	s_mov_b32 s15, s4
	s_mov_b32 s16, s4
	s_mov_b32 s17, s4
	s_mov_b32 s18, s4
	s_mov_b32 s19, s4
	v_mov_b64_e32 v[0:1], s[4:5]
	s_mov_b32 s44, 0
	v_mov_b64_e32 v[2:3], s[6:7]
	v_mov_b64_e32 v[4:5], s[8:9]
	;; [unrolled: 1-line block ×7, first 2 shown]
	s_waitcnt vmcnt(0)
	v_mov_b32_e32 v18, v16
	scratch_store_dwordx2 off, v[18:19], off offset:1904 ; 8-byte Folded Spill
	scratch_store_dwordx4 off, v[0:3], off offset:3368 ; 16-byte Folded Spill
	s_nop 0
	scratch_store_dwordx4 off, v[4:7], off offset:3384 ; 16-byte Folded Spill
	scratch_store_dwordx4 off, v[8:11], off offset:3400 ; 16-byte Folded Spill
	scratch_store_dwordx4 off, v[12:15], off offset:3416 ; 16-byte Folded Spill
	scratch_store_dwordx4 off, v[0:3], off offset:2104 ; 16-byte Folded Spill
	s_nop 0
	scratch_store_dwordx4 off, v[4:7], off offset:2120 ; 16-byte Folded Spill
	scratch_store_dwordx4 off, v[8:11], off offset:2136 ; 16-byte Folded Spill
	scratch_store_dwordx4 off, v[12:15], off offset:2152 ; 16-byte Folded Spill
	;; [unrolled: 5-line block ×28, first 2 shown]
	s_branch .LBB81_12
.LBB81_10:                              ;   in Loop: Header=BB81_12 Depth=2
	s_or_b64 exec, exec, s[6:7]
	scratch_load_dwordx4 v[124:127], off, off offset:1792
	scratch_load_dwordx4 v[20:23], off, off offset:1808
	scratch_load_dwordx4 v[24:27], off, off offset:2808 ; 16-byte Folded Reload
	scratch_load_dwordx4 v[28:31], off, off offset:2824 ; 16-byte Folded Reload
	scratch_load_dwordx4 v[32:35], off, off offset:2840 ; 16-byte Folded Reload
	scratch_load_dwordx4 v[36:39], off, off offset:2856 ; 16-byte Folded Reload
	scratch_load_dwordx4 v[72:75], off, off offset:1824
	scratch_load_dwordx4 v[108:111], off, off offset:2744 ; 16-byte Folded Reload
	scratch_load_dwordx4 v[112:115], off, off offset:2760 ; 16-byte Folded Reload
	scratch_load_dwordx4 v[116:119], off, off offset:2776 ; 16-byte Folded Reload
	scratch_load_dwordx4 v[120:123], off, off offset:2792 ; 16-byte Folded Reload
	;; [unrolled: 5-line block ×4, first 2 shown]
	s_waitcnt vmcnt(0) lgkmcnt(0)
	v_mfma_f32_32x32x16_fp8_fp8 v[52:67], v[40:41], v[44:45], v[52:67]
	v_mov_b64_e32 v[16:17], v[44:45]
	v_mov_b64_e32 v[18:19], v[46:47]
	scratch_load_dwordx4 v[44:47], off, off offset:1872
	s_waitcnt vmcnt(0)
	scratch_store_dwordx4 off, v[44:47], off offset:3776 ; 16-byte Folded Spill
	scratch_load_dwordx4 v[76:79], off, off offset:2552 ; 16-byte Folded Reload
	scratch_load_dwordx4 v[80:83], off, off offset:2568 ; 16-byte Folded Reload
	;; [unrolled: 1-line block ×8, first 2 shown]
	v_mfma_f32_32x32x16_fp8_fp8 v[24:39], v[40:41], v[124:125], v[24:39]
	v_mfma_f32_32x32x16_fp8_fp8 v[24:39], v[42:43], v[126:127], v[24:39]
	v_mfma_f32_32x32x16_fp8_fp8 v[108:123], v[40:41], v[20:21], v[108:123]
	v_mfma_f32_32x32x16_fp8_fp8 v[0:15], v[40:41], v[72:73], v[0:15]
	v_mfma_f32_32x32x16_fp8_fp8 v[108:123], v[42:43], v[22:23], v[108:123]
	v_mfma_f32_32x32x16_fp8_fp8 v[52:67], v[42:43], v[18:19], v[52:67]
	s_waitcnt vmcnt(0)
	v_mfma_f32_32x32x16_fp8_fp8 v[92:107], v[40:41], v[44:45], v[92:107]
	s_nop 7
	s_nop 2
	scratch_store_dwordx4 off, v[92:95], off offset:1976 ; 16-byte Folded Spill
	s_nop 0
	scratch_store_dwordx4 off, v[96:99], off offset:1992 ; 16-byte Folded Spill
	scratch_store_dwordx4 off, v[100:103], off offset:2008 ; 16-byte Folded Spill
	;; [unrolled: 1-line block ×3, first 2 shown]
	v_mfma_f32_32x32x16_fp8_fp8 v[76:91], v[40:41], v[48:49], v[76:91]
	scratch_load_dwordx4 v[44:47], off, off offset:1888
	scratch_load_dwordx4 v[92:95], off, off offset:2488 ; 16-byte Folded Reload
	scratch_load_dwordx4 v[96:99], off, off offset:2504 ; 16-byte Folded Reload
	;; [unrolled: 1-line block ×4, first 2 shown]
	s_nop 0
	scratch_store_dwordx4 off, v[24:27], off offset:2808 ; 16-byte Folded Spill
	s_nop 0
	scratch_store_dwordx4 off, v[28:31], off offset:2824 ; 16-byte Folded Spill
	scratch_store_dwordx4 off, v[32:35], off offset:2840 ; 16-byte Folded Spill
	;; [unrolled: 1-line block ×4, first 2 shown]
	s_nop 0
	scratch_store_dwordx4 off, v[112:115], off offset:2760 ; 16-byte Folded Spill
	scratch_store_dwordx4 off, v[116:119], off offset:2776 ; 16-byte Folded Spill
	;; [unrolled: 1-line block ×3, first 2 shown]
	v_mov_b64_e32 v[32:33], v[72:73]
	v_mov_b64_e32 v[34:35], v[74:75]
	v_mov_b64_e32 v[38:39], v[22:23]
	v_mov_b64_e32 v[36:37], v[20:21]
	v_mfma_f32_32x32x16_fp8_fp8 v[0:15], v[42:43], v[34:35], v[0:15]
	s_nop 7
	s_nop 2
	scratch_store_dwordx4 off, v[0:3], off offset:2680 ; 16-byte Folded Spill
	s_nop 0
	scratch_store_dwordx4 off, v[4:7], off offset:2696 ; 16-byte Folded Spill
	scratch_store_dwordx4 off, v[8:11], off offset:2712 ; 16-byte Folded Spill
	;; [unrolled: 1-line block ×3, first 2 shown]
	v_mfma_f32_32x32x16_fp8_fp8 v[76:91], v[42:43], v[50:51], v[76:91]
	scratch_store_dwordx4 off, v[52:55], off offset:2616 ; 16-byte Folded Spill
	s_nop 0
	scratch_store_dwordx4 off, v[56:59], off offset:2632 ; 16-byte Folded Spill
	scratch_store_dwordx4 off, v[60:63], off offset:2648 ; 16-byte Folded Spill
	;; [unrolled: 1-line block ×3, first 2 shown]
	s_nop 5
	scratch_store_dwordx4 off, v[76:79], off offset:2552 ; 16-byte Folded Spill
	s_nop 0
	scratch_store_dwordx4 off, v[80:83], off offset:2568 ; 16-byte Folded Spill
	scratch_store_dwordx4 off, v[84:87], off offset:2584 ; 16-byte Folded Spill
	scratch_store_dwordx4 off, v[88:91], off offset:2600 ; 16-byte Folded Spill
	scratch_load_dwordx4 v[76:79], off, off offset:3776 ; 16-byte Folded Reload
	s_nop 0
	scratch_load_dwordx4 v[0:3], off, off offset:1976 ; 16-byte Folded Reload
	scratch_load_dwordx4 v[4:7], off, off offset:1992 ; 16-byte Folded Reload
	;; [unrolled: 1-line block ×4, first 2 shown]
	v_mov_b64_e32 v[66:67], v[18:19]
	v_mov_b64_e32 v[64:65], v[16:17]
	;; [unrolled: 1-line block ×4, first 2 shown]
	s_waitcnt vmcnt(25)
	v_mfma_f32_32x32x16_fp8_fp8 v[92:107], v[40:41], v[44:45], v[92:107]
	s_waitcnt vmcnt(0)
	v_mfma_f32_32x32x16_fp8_fp8 v[0:15], v[42:43], v[78:79], v[0:15]
	s_nop 7
	s_nop 2
	scratch_store_dwordx4 off, v[0:3], off offset:1976 ; 16-byte Folded Spill
	s_nop 0
	scratch_store_dwordx4 off, v[4:7], off offset:1992 ; 16-byte Folded Spill
	scratch_store_dwordx4 off, v[8:11], off offset:2008 ; 16-byte Folded Spill
	;; [unrolled: 1-line block ×3, first 2 shown]
	v_mfma_f32_32x32x16_fp8_fp8 v[92:107], v[42:43], v[46:47], v[92:107]
	s_nop 7
	s_nop 2
	scratch_store_dwordx4 off, v[92:95], off offset:2488 ; 16-byte Folded Spill
	s_nop 0
	scratch_store_dwordx4 off, v[96:99], off offset:2504 ; 16-byte Folded Spill
	scratch_store_dwordx4 off, v[100:103], off offset:2520 ; 16-byte Folded Spill
	;; [unrolled: 1-line block ×3, first 2 shown]
	v_mov_b64_e32 v[40:41], v[124:125]
	scratch_load_dwordx4 v[96:99], off, off offset:3256 ; 16-byte Folded Reload
	scratch_load_dwordx4 v[100:103], off, off offset:3272 ; 16-byte Folded Reload
	;; [unrolled: 1-line block ×4, first 2 shown]
	v_mov_b64_e32 v[42:43], v[126:127]
	scratch_load_dwordx4 v[80:83], off, off offset:3192 ; 16-byte Folded Reload
	scratch_load_dwordx4 v[84:87], off, off offset:3208 ; 16-byte Folded Reload
	;; [unrolled: 1-line block ×12, first 2 shown]
	s_waitcnt vmcnt(0)
	v_mfma_f32_32x32x16_fp8_fp8 v[0:15], v[68:69], v[64:65], v[0:15]
	s_nop 7
	s_nop 2
	v_mov_b64_e32 v[30:31], v[14:15]
	v_mov_b64_e32 v[28:29], v[12:13]
	;; [unrolled: 1-line block ×8, first 2 shown]
	scratch_load_dwordx4 v[0:3], off, off offset:3000 ; 16-byte Folded Reload
	scratch_load_dwordx4 v[4:7], off, off offset:3016 ; 16-byte Folded Reload
	;; [unrolled: 1-line block ×4, first 2 shown]
	v_mfma_f32_32x32x16_fp8_fp8 v[96:111], v[68:69], v[40:41], v[96:111]
	v_mfma_f32_32x32x16_fp8_fp8 v[80:95], v[68:69], v[36:37], v[80:95]
	;; [unrolled: 1-line block ×5, first 2 shown]
	s_waitcnt vmcnt(0)
	v_mfma_f32_32x32x16_fp8_fp8 v[0:15], v[68:69], v[48:49], v[0:15]
	s_nop 7
	s_nop 2
	v_mov_b64_e32 v[62:63], v[14:15]
	v_mov_b64_e32 v[60:61], v[12:13]
	;; [unrolled: 1-line block ×8, first 2 shown]
	scratch_load_dwordx4 v[0:3], off, off offset:2040 ; 16-byte Folded Reload
	scratch_load_dwordx4 v[4:7], off, off offset:2056 ; 16-byte Folded Reload
	;; [unrolled: 1-line block ×4, first 2 shown]
	v_mfma_f32_32x32x16_fp8_fp8 v[112:127], v[70:71], v[34:35], v[112:127]
	v_mfma_f32_32x32x16_fp8_fp8 v[16:31], v[70:71], v[66:67], v[16:31]
	s_waitcnt vmcnt(0)
	v_mfma_f32_32x32x16_fp8_fp8 v[0:15], v[68:69], v[76:77], v[0:15]
	s_nop 7
	s_nop 2
	scratch_store_dwordx4 off, v[0:3], off offset:2040 ; 16-byte Folded Spill
	s_nop 0
	scratch_store_dwordx4 off, v[4:7], off offset:2056 ; 16-byte Folded Spill
	scratch_store_dwordx4 off, v[8:11], off offset:2072 ; 16-byte Folded Spill
	;; [unrolled: 1-line block ×3, first 2 shown]
	scratch_load_dwordx4 v[0:3], off, off offset:2936 ; 16-byte Folded Reload
	s_nop 0
	scratch_load_dwordx4 v[4:7], off, off offset:2952 ; 16-byte Folded Reload
	scratch_load_dwordx4 v[8:11], off, off offset:2968 ; 16-byte Folded Reload
	;; [unrolled: 1-line block ×3, first 2 shown]
	s_nop 0
	scratch_store_dwordx4 off, v[96:99], off offset:3256 ; 16-byte Folded Spill
	s_nop 0
	scratch_store_dwordx4 off, v[100:103], off offset:3272 ; 16-byte Folded Spill
	scratch_store_dwordx4 off, v[104:107], off offset:3288 ; 16-byte Folded Spill
	scratch_store_dwordx4 off, v[108:111], off offset:3304 ; 16-byte Folded Spill
	scratch_store_dwordx4 off, v[80:83], off offset:3192 ; 16-byte Folded Spill
	s_nop 0
	scratch_store_dwordx4 off, v[84:87], off offset:3208 ; 16-byte Folded Spill
	scratch_store_dwordx4 off, v[88:91], off offset:3224 ; 16-byte Folded Spill
	scratch_store_dwordx4 off, v[92:95], off offset:3240 ; 16-byte Folded Spill
	scratch_store_dwordx4 off, v[112:115], off offset:3128 ; 16-byte Folded Spill
	s_nop 0
	scratch_store_dwordx4 off, v[116:119], off offset:3144 ; 16-byte Folded Spill
	scratch_store_dwordx4 off, v[120:123], off offset:3160 ; 16-byte Folded Spill
	scratch_store_dwordx4 off, v[124:127], off offset:3176 ; 16-byte Folded Spill
	v_mov_b64_e32 v[118:119], v[74:75]
	scratch_store_dwordx4 off, v[16:19], off offset:3064 ; 16-byte Folded Spill
	s_nop 0
	scratch_store_dwordx4 off, v[20:23], off offset:3080 ; 16-byte Folded Spill
	scratch_store_dwordx4 off, v[24:27], off offset:3096 ; 16-byte Folded Spill
	;; [unrolled: 1-line block ×3, first 2 shown]
	v_mfma_f32_32x32x16_fp8_fp8 v[48:63], v[70:71], v[118:119], v[48:63]
	s_nop 7
	s_nop 2
	scratch_store_dwordx4 off, v[48:51], off offset:3000 ; 16-byte Folded Spill
	s_nop 0
	scratch_store_dwordx4 off, v[52:55], off offset:3016 ; 16-byte Folded Spill
	scratch_store_dwordx4 off, v[56:59], off offset:3032 ; 16-byte Folded Spill
	;; [unrolled: 1-line block ×3, first 2 shown]
	scratch_load_dwordx4 v[16:19], off, off offset:2040 ; 16-byte Folded Reload
	scratch_load_dwordx4 v[20:23], off, off offset:2056 ; 16-byte Folded Reload
	;; [unrolled: 1-line block ×4, first 2 shown]
	v_mov_b64_e32 v[114:115], v[78:79]
	v_mov_b64_e32 v[122:123], v[66:67]
	;; [unrolled: 1-line block ×5, first 2 shown]
	s_waitcnt vmcnt(24)
	v_mfma_f32_32x32x16_fp8_fp8 v[0:15], v[68:69], v[44:45], v[0:15]
	s_waitcnt vmcnt(0)
	v_mfma_f32_32x32x16_fp8_fp8 v[16:31], v[70:71], v[114:115], v[16:31]
	s_nop 7
	s_nop 2
	scratch_store_dwordx4 off, v[16:19], off offset:2040 ; 16-byte Folded Spill
	s_nop 0
	scratch_store_dwordx4 off, v[20:23], off offset:2056 ; 16-byte Folded Spill
	scratch_store_dwordx4 off, v[24:27], off offset:2072 ; 16-byte Folded Spill
	;; [unrolled: 1-line block ×3, first 2 shown]
	v_mfma_f32_32x32x16_fp8_fp8 v[0:15], v[70:71], v[46:47], v[0:15]
	s_nop 7
	s_nop 2
	scratch_store_dwordx4 off, v[0:3], off offset:2936 ; 16-byte Folded Spill
	s_nop 0
	scratch_store_dwordx4 off, v[4:7], off offset:2952 ; 16-byte Folded Spill
	scratch_store_dwordx4 off, v[8:11], off offset:2968 ; 16-byte Folded Spill
	;; [unrolled: 1-line block ×3, first 2 shown]
	scratch_load_dwordx4 v[48:51], off, off offset:2872 ; 16-byte Folded Reload
	scratch_load_dwordx4 v[52:55], off, off offset:2888 ; 16-byte Folded Reload
	;; [unrolled: 1-line block ×5, first 2 shown]
	v_mov_b64_e32 v[14:15], v[40:41]
	v_mov_b64_e32 v[16:17], v[42:43]
	scratch_store_dwordx4 off, v[14:17], off offset:3760 ; 16-byte Folded Spill
	scratch_load_dwordx4 v[64:67], off, off offset:2424 ; 16-byte Folded Reload
	scratch_load_dwordx4 v[68:71], off, off offset:2440 ; 16-byte Folded Reload
	;; [unrolled: 1-line block ×4, first 2 shown]
	s_waitcnt vmcnt(5)
	v_mfma_f32_32x32x16_fp8_fp8 v[48:63], v[124:125], v[14:15], v[48:63]
	s_nop 7
	s_nop 2
	v_mov_b64_e32 v[0:1], v[48:49]
	v_mov_b64_e32 v[2:3], v[50:51]
	;; [unrolled: 1-line block ×8, first 2 shown]
	scratch_load_dwordx4 v[48:51], off, off offset:2360 ; 16-byte Folded Reload
	scratch_load_dwordx4 v[52:55], off, off offset:2376 ; 16-byte Folded Reload
	;; [unrolled: 1-line block ×4, first 2 shown]
	s_waitcnt vmcnt(4)
	v_mfma_f32_32x32x16_fp8_fp8 v[64:79], v[124:125], v[36:37], v[64:79]
	scratch_store_dwordx4 off, v[32:35], off offset:3352 ; 16-byte Folded Spill
	scratch_load_dwordx4 v[80:83], off, off offset:2296 ; 16-byte Folded Reload
	scratch_load_dwordx4 v[84:87], off, off offset:2312 ; 16-byte Folded Reload
	;; [unrolled: 1-line block ×4, first 2 shown]
	v_mfma_f32_32x32x16_fp8_fp8 v[0:15], v[126:127], v[16:17], v[0:15]
	s_waitcnt vmcnt(5)
	v_mfma_f32_32x32x16_fp8_fp8 v[48:63], v[124:125], v[32:33], v[48:63]
	scratch_load_dwordx4 v[18:21], off, off offset:2232 ; 16-byte Folded Reload
	scratch_load_dwordx4 v[22:25], off, off offset:2248 ; 16-byte Folded Reload
	;; [unrolled: 1-line block ×4, first 2 shown]
	s_waitcnt vmcnt(4)
	v_mfma_f32_32x32x16_fp8_fp8 v[80:95], v[124:125], v[120:121], v[80:95]
	s_waitcnt vmcnt(0)
	v_mfma_f32_32x32x16_fp8_fp8 v[18:33], v[124:125], v[116:117], v[18:33]
	s_nop 7
	s_nop 2
	v_mov_b64_e32 v[110:111], v[32:33]
	v_mov_b64_e32 v[108:109], v[30:31]
	;; [unrolled: 1-line block ×8, first 2 shown]
	scratch_load_dwordx4 v[18:21], off, off offset:1912 ; 16-byte Folded Reload
	scratch_load_dwordx4 v[22:25], off, off offset:1928 ; 16-byte Folded Reload
	;; [unrolled: 1-line block ×4, first 2 shown]
	v_mfma_f32_32x32x16_fp8_fp8 v[64:79], v[126:127], v[38:39], v[64:79]
	s_waitcnt vmcnt(0)
	v_mfma_f32_32x32x16_fp8_fp8 v[18:33], v[124:125], v[112:113], v[18:33]
	s_nop 7
	s_nop 2
	scratch_store_dwordx4 off, v[18:21], off offset:1912 ; 16-byte Folded Spill
	s_nop 0
	scratch_store_dwordx4 off, v[22:25], off offset:1928 ; 16-byte Folded Spill
	scratch_store_dwordx4 off, v[26:29], off offset:1944 ; 16-byte Folded Spill
	;; [unrolled: 1-line block ×3, first 2 shown]
	v_mfma_f32_32x32x16_fp8_fp8 v[48:63], v[126:127], v[34:35], v[48:63]
	scratch_load_dwordx4 v[18:21], off, off offset:2168 ; 16-byte Folded Reload
	scratch_load_dwordx4 v[22:25], off, off offset:2184 ; 16-byte Folded Reload
	;; [unrolled: 1-line block ×4, first 2 shown]
	s_nop 0
	scratch_store_dwordx4 off, v[0:3], off offset:2872 ; 16-byte Folded Spill
	s_nop 0
	scratch_store_dwordx4 off, v[4:7], off offset:2888 ; 16-byte Folded Spill
	scratch_store_dwordx4 off, v[8:11], off offset:2904 ; 16-byte Folded Spill
	scratch_store_dwordx4 off, v[12:15], off offset:2920 ; 16-byte Folded Spill
	scratch_store_dwordx4 off, v[64:67], off offset:2424 ; 16-byte Folded Spill
	s_nop 0
	scratch_store_dwordx4 off, v[68:71], off offset:2440 ; 16-byte Folded Spill
	scratch_store_dwordx4 off, v[72:75], off offset:2456 ; 16-byte Folded Spill
	scratch_store_dwordx4 off, v[76:79], off offset:2472 ; 16-byte Folded Spill
	;; [unrolled: 5-line block ×3, first 2 shown]
	scratch_store_dwordx4 off, v[120:123], off offset:3792 ; 16-byte Folded Spill
	v_mfma_f32_32x32x16_fp8_fp8 v[80:95], v[126:127], v[122:123], v[80:95]
	s_nop 7
	s_nop 2
	scratch_store_dwordx4 off, v[80:83], off offset:2296 ; 16-byte Folded Spill
	s_nop 0
	scratch_store_dwordx4 off, v[84:87], off offset:2312 ; 16-byte Folded Spill
	scratch_store_dwordx4 off, v[88:91], off offset:2328 ; 16-byte Folded Spill
	;; [unrolled: 1-line block ×3, first 2 shown]
	v_mfma_f32_32x32x16_fp8_fp8 v[96:111], v[126:127], v[118:119], v[96:111]
	s_nop 7
	s_nop 2
	scratch_store_dwordx4 off, v[96:99], off offset:2232 ; 16-byte Folded Spill
	s_nop 0
	scratch_store_dwordx4 off, v[100:103], off offset:2248 ; 16-byte Folded Spill
	scratch_store_dwordx4 off, v[104:107], off offset:2264 ; 16-byte Folded Spill
	;; [unrolled: 1-line block ×3, first 2 shown]
	scratch_load_dwordx4 v[0:3], off, off offset:2808 ; 16-byte Folded Reload
	scratch_load_dwordx4 v[4:7], off, off offset:2824 ; 16-byte Folded Reload
	;; [unrolled: 1-line block ×4, first 2 shown]
	s_waitcnt vmcnt(0)
	scratch_store_dwordx4 off, v[12:15], off offset:48
	scratch_store_dwordx4 off, v[8:11], off offset:32
	;; [unrolled: 1-line block ×3, first 2 shown]
	scratch_load_dwordx4 v[48:51], off, off offset:1912 ; 16-byte Folded Reload
	scratch_load_dwordx4 v[52:55], off, off offset:1928 ; 16-byte Folded Reload
	;; [unrolled: 1-line block ×4, first 2 shown]
	s_waitcnt vmcnt(0)
	v_mfma_f32_32x32x16_fp8_fp8 v[48:63], v[126:127], v[114:115], v[48:63]
	s_nop 7
	s_nop 2
	scratch_store_dwordx4 off, v[48:51], off offset:1912 ; 16-byte Folded Spill
	s_nop 0
	scratch_store_dwordx4 off, v[52:55], off offset:1928 ; 16-byte Folded Spill
	scratch_store_dwordx4 off, v[56:59], off offset:1944 ; 16-byte Folded Spill
	;; [unrolled: 1-line block ×3, first 2 shown]
	scratch_store_dwordx4 off, v[0:3], off
	scratch_load_dwordx4 v[0:3], off, off offset:2744 ; 16-byte Folded Reload
	s_nop 0
	scratch_load_dwordx4 v[4:7], off, off offset:2760 ; 16-byte Folded Reload
	scratch_load_dwordx4 v[8:11], off, off offset:2776 ; 16-byte Folded Reload
	;; [unrolled: 1-line block ×3, first 2 shown]
	s_waitcnt vmcnt(0)
	scratch_store_dwordx4 off, v[12:15], off offset:112
	scratch_store_dwordx4 off, v[8:11], off offset:96
	;; [unrolled: 1-line block ×4, first 2 shown]
	scratch_load_dwordx4 v[0:3], off, off offset:2680 ; 16-byte Folded Reload
	s_nop 0
	scratch_load_dwordx4 v[4:7], off, off offset:2696 ; 16-byte Folded Reload
	scratch_load_dwordx4 v[8:11], off, off offset:2712 ; 16-byte Folded Reload
	;; [unrolled: 1-line block ×3, first 2 shown]
	v_mfma_f32_32x32x16_fp8_fp8 v[18:33], v[124:125], v[44:45], v[18:33]
	s_waitcnt vmcnt(0)
	scratch_store_dwordx4 off, v[12:15], off offset:176
	scratch_store_dwordx4 off, v[8:11], off offset:160
	v_mfma_f32_32x32x16_fp8_fp8 v[18:33], v[126:127], v[46:47], v[18:33]
	s_nop 7
	s_nop 2
	scratch_store_dwordx4 off, v[18:21], off offset:2168 ; 16-byte Folded Spill
	s_nop 0
	scratch_store_dwordx4 off, v[22:25], off offset:2184 ; 16-byte Folded Spill
	scratch_store_dwordx4 off, v[26:29], off offset:2200 ; 16-byte Folded Spill
	;; [unrolled: 1-line block ×3, first 2 shown]
	scratch_store_dwordx4 off, v[4:7], off offset:144
	scratch_store_dwordx4 off, v[0:3], off offset:128
	scratch_load_dwordx4 v[0:3], off, off offset:2616 ; 16-byte Folded Reload
	s_nop 0
	scratch_load_dwordx4 v[4:7], off, off offset:2632 ; 16-byte Folded Reload
	scratch_load_dwordx4 v[8:11], off, off offset:2648 ; 16-byte Folded Reload
	;; [unrolled: 1-line block ×3, first 2 shown]
	s_waitcnt vmcnt(0)
	scratch_store_dwordx4 off, v[12:15], off offset:240
	scratch_store_dwordx4 off, v[8:11], off offset:224
	;; [unrolled: 1-line block ×4, first 2 shown]
	scratch_load_dwordx4 v[0:3], off, off offset:2552 ; 16-byte Folded Reload
	s_nop 0
	scratch_load_dwordx4 v[4:7], off, off offset:2568 ; 16-byte Folded Reload
	scratch_load_dwordx4 v[8:11], off, off offset:2584 ; 16-byte Folded Reload
	;; [unrolled: 1-line block ×3, first 2 shown]
	v_mov_b64_e32 v[78:79], v[38:39]
	v_mov_b64_e32 v[74:75], v[46:47]
	;; [unrolled: 1-line block ×4, first 2 shown]
	s_waitcnt vmcnt(0)
	scratch_store_dwordx4 off, v[12:15], off offset:304
	scratch_load_dwordx4 v[32:35], off, off offset:3688 ; 16-byte Folded Reload
	scratch_load_dwordx4 v[36:39], off, off offset:3704 ; 16-byte Folded Reload
	;; [unrolled: 1-line block ×6, first 2 shown]
	s_nop 0
	scratch_store_dwordx4 off, v[8:11], off offset:288
	scratch_store_dwordx4 off, v[4:7], off offset:272
	;; [unrolled: 1-line block ×3, first 2 shown]
	scratch_load_dwordx4 v[0:3], off, off offset:1976 ; 16-byte Folded Reload
	s_nop 0
	scratch_load_dwordx4 v[4:7], off, off offset:1992 ; 16-byte Folded Reload
	scratch_load_dwordx4 v[8:11], off, off offset:2008 ; 16-byte Folded Reload
	;; [unrolled: 1-line block ×3, first 2 shown]
	s_waitcnt vmcnt(0)
	scratch_store_dwordx4 off, v[12:15], off offset:368
	scratch_store_dwordx4 off, v[8:11], off offset:352
	;; [unrolled: 1-line block ×4, first 2 shown]
	scratch_load_dwordx4 v[16:19], off, off offset:3560 ; 16-byte Folded Reload
	scratch_load_dwordx4 v[20:23], off, off offset:3576 ; 16-byte Folded Reload
	;; [unrolled: 1-line block ×8, first 2 shown]
	s_waitcnt vmcnt(0)
	scratch_store_dwordx4 off, v[108:111], off offset:432
	scratch_store_dwordx4 off, v[104:107], off offset:416
	;; [unrolled: 1-line block ×4, first 2 shown]
	scratch_load_dwordx4 v[48:51], off, off offset:3256 ; 16-byte Folded Reload
	scratch_load_dwordx4 v[52:55], off, off offset:3272 ; 16-byte Folded Reload
	;; [unrolled: 1-line block ×4, first 2 shown]
	s_waitcnt vmcnt(0)
	scratch_store_dwordx4 off, v[60:63], off offset:496
	scratch_store_dwordx4 off, v[56:59], off offset:480
	;; [unrolled: 1-line block ×3, first 2 shown]
	scratch_load_dwordx4 v[96:99], off, off offset:3496 ; 16-byte Folded Reload
	scratch_load_dwordx4 v[100:103], off, off offset:3512 ; 16-byte Folded Reload
	;; [unrolled: 1-line block ×5, first 2 shown]
	s_waitcnt vmcnt(0)
	v_mfma_f32_32x32x16_fp8_fp8 v[96:111], v[64:65], v[0:1], v[96:111]
	scratch_store_dwordx4 off, v[48:51], off offset:448
	scratch_load_dwordx4 v[0:3], off, off offset:3192 ; 16-byte Folded Reload
	scratch_load_dwordx4 v[4:7], off, off offset:3208 ; 16-byte Folded Reload
	;; [unrolled: 1-line block ×4, first 2 shown]
	s_waitcnt vmcnt(0)
	scratch_store_dwordx4 off, v[12:15], off offset:560
	scratch_store_dwordx4 off, v[8:11], off offset:544
	;; [unrolled: 1-line block ×4, first 2 shown]
	scratch_load_dwordx4 v[48:51], off, off offset:3128 ; 16-byte Folded Reload
	scratch_load_dwordx4 v[52:55], off, off offset:3144 ; 16-byte Folded Reload
	;; [unrolled: 1-line block ×4, first 2 shown]
	s_waitcnt vmcnt(0)
	scratch_store_dwordx4 off, v[60:63], off offset:624
	scratch_store_dwordx4 off, v[56:59], off offset:608
	scratch_load_dwordx4 v[80:83], off, off offset:3432 ; 16-byte Folded Reload
	scratch_load_dwordx4 v[84:87], off, off offset:3448 ; 16-byte Folded Reload
	scratch_load_dwordx4 v[88:91], off, off offset:3464 ; 16-byte Folded Reload
	scratch_load_dwordx4 v[92:95], off, off offset:3480 ; 16-byte Folded Reload
	s_nop 0
	scratch_store_dwordx4 off, v[52:55], off offset:592
	scratch_store_dwordx4 off, v[48:51], off offset:576
	scratch_load_dwordx4 v[48:51], off, off offset:3064 ; 16-byte Folded Reload
	s_nop 0
	scratch_load_dwordx4 v[52:55], off, off offset:3080 ; 16-byte Folded Reload
	scratch_load_dwordx4 v[56:59], off, off offset:3096 ; 16-byte Folded Reload
	;; [unrolled: 1-line block ×3, first 2 shown]
	s_waitcnt vmcnt(0)
	scratch_store_dwordx4 off, v[60:63], off offset:688
	scratch_store_dwordx4 off, v[56:59], off offset:672
	;; [unrolled: 1-line block ×4, first 2 shown]
	scratch_load_dwordx4 v[48:51], off, off offset:3000 ; 16-byte Folded Reload
	s_nop 0
	scratch_load_dwordx4 v[52:55], off, off offset:3016 ; 16-byte Folded Reload
	scratch_load_dwordx4 v[56:59], off, off offset:3032 ; 16-byte Folded Reload
	;; [unrolled: 1-line block ×3, first 2 shown]
	v_mfma_f32_32x32x16_fp8_fp8 v[32:47], v[64:65], v[68:69], v[32:47]
	v_mov_b64_e32 v[68:69], v[114:115]
	s_waitcnt vmcnt(0)
	scratch_store_dwordx4 off, v[60:63], off offset:752
	scratch_load_dwordx4 v[0:3], off, off offset:2104 ; 16-byte Folded Reload
	scratch_load_dwordx4 v[4:7], off, off offset:2120 ; 16-byte Folded Reload
	;; [unrolled: 1-line block ×4, first 2 shown]
	s_waitcnt vmcnt(0)
	v_mfma_f32_32x32x16_fp8_fp8 v[0:15], v[64:65], v[116:117], v[0:15]
	s_nop 7
	s_nop 2
	scratch_store_dwordx4 off, v[0:3], off offset:2104 ; 16-byte Folded Spill
	s_nop 0
	scratch_store_dwordx4 off, v[4:7], off offset:2120 ; 16-byte Folded Spill
	scratch_store_dwordx4 off, v[8:11], off offset:2136 ; 16-byte Folded Spill
	;; [unrolled: 1-line block ×3, first 2 shown]
	scratch_store_dwordx4 off, v[56:59], off offset:736
	scratch_store_dwordx4 off, v[52:55], off offset:720
	;; [unrolled: 1-line block ×3, first 2 shown]
	scratch_load_dwordx4 v[0:3], off, off offset:2040 ; 16-byte Folded Reload
	s_nop 0
	scratch_load_dwordx4 v[4:7], off, off offset:2056 ; 16-byte Folded Reload
	scratch_load_dwordx4 v[8:11], off, off offset:2072 ; 16-byte Folded Reload
	;; [unrolled: 1-line block ×3, first 2 shown]
	s_waitcnt vmcnt(0)
	scratch_store_dwordx4 off, v[12:15], off offset:816
	scratch_store_dwordx4 off, v[8:11], off offset:800
	;; [unrolled: 1-line block ×4, first 2 shown]
	scratch_load_dwordx4 v[48:51], off, off offset:3368 ; 16-byte Folded Reload
	scratch_load_dwordx4 v[52:55], off, off offset:3384 ; 16-byte Folded Reload
	;; [unrolled: 1-line block ×4, first 2 shown]
	s_nop 0
	scratch_load_dwordx4 v[0:3], off, off offset:2936 ; 16-byte Folded Reload
	scratch_load_dwordx4 v[4:7], off, off offset:2952 ; 16-byte Folded Reload
	;; [unrolled: 1-line block ×4, first 2 shown]
	s_waitcnt vmcnt(0)
	scratch_store_dwordx4 off, v[12:15], off offset:880
	scratch_store_dwordx4 off, v[8:11], off offset:864
	;; [unrolled: 1-line block ×4, first 2 shown]
	scratch_load_dwordx4 v[0:3], off, off offset:2872 ; 16-byte Folded Reload
	s_nop 0
	scratch_load_dwordx4 v[4:7], off, off offset:2888 ; 16-byte Folded Reload
	scratch_load_dwordx4 v[8:11], off, off offset:2904 ; 16-byte Folded Reload
	;; [unrolled: 1-line block ×3, first 2 shown]
	s_waitcnt vmcnt(0)
	scratch_store_dwordx4 off, v[12:15], off offset:944
	scratch_store_dwordx4 off, v[8:11], off offset:928
	;; [unrolled: 1-line block ×3, first 2 shown]
	v_mfma_f32_32x32x16_fp8_fp8 v[16:31], v[64:65], v[76:77], v[16:31]
	v_mov_b64_e32 v[76:77], v[118:119]
	v_mfma_f32_32x32x16_fp8_fp8 v[80:95], v[64:65], v[120:121], v[80:95]
	v_mfma_f32_32x32x16_fp8_fp8 v[48:63], v[64:65], v[112:113], v[48:63]
	scratch_load_dwordx4 v[112:115], off, off offset:3624 ; 16-byte Folded Reload
	scratch_load_dwordx4 v[116:119], off, off offset:3640 ; 16-byte Folded Reload
	;; [unrolled: 1-line block ×4, first 2 shown]
	s_nop 0
	scratch_store_dwordx4 off, v[0:3], off offset:896
	scratch_load_dwordx4 v[0:3], off, off offset:2424 ; 16-byte Folded Reload
	s_nop 0
	scratch_load_dwordx4 v[4:7], off, off offset:2440 ; 16-byte Folded Reload
	scratch_load_dwordx4 v[8:11], off, off offset:2456 ; 16-byte Folded Reload
	scratch_load_dwordx4 v[12:15], off, off offset:2472 ; 16-byte Folded Reload
	s_waitcnt vmcnt(0)
	scratch_store_dwordx4 off, v[12:15], off offset:1008
	scratch_store_dwordx4 off, v[8:11], off offset:992
	scratch_store_dwordx4 off, v[4:7], off offset:976
	scratch_store_dwordx4 off, v[0:3], off offset:960
	scratch_load_dwordx4 v[0:3], off, off offset:2360 ; 16-byte Folded Reload
	s_nop 0
	scratch_load_dwordx4 v[4:7], off, off offset:2376 ; 16-byte Folded Reload
	scratch_load_dwordx4 v[8:11], off, off offset:2392 ; 16-byte Folded Reload
	scratch_load_dwordx4 v[12:15], off, off offset:2408 ; 16-byte Folded Reload
	s_waitcnt vmcnt(0)
	scratch_store_dwordx4 off, v[12:15], off offset:1072
	scratch_store_dwordx4 off, v[8:11], off offset:1056
	scratch_store_dwordx4 off, v[4:7], off offset:1040
	;; [unrolled: 10-line block ×3, first 2 shown]
	scratch_store_dwordx4 off, v[0:3], off offset:1088
	scratch_load_dwordx4 v[0:3], off, off offset:2232 ; 16-byte Folded Reload
	s_nop 0
	scratch_load_dwordx4 v[4:7], off, off offset:2248 ; 16-byte Folded Reload
	scratch_load_dwordx4 v[8:11], off, off offset:2264 ; 16-byte Folded Reload
	;; [unrolled: 1-line block ×3, first 2 shown]
	v_mfma_f32_32x32x16_fp8_fp8 v[32:47], v[66:67], v[70:71], v[32:47]
	s_waitcnt vmcnt(0)
	scratch_store_dwordx4 off, v[12:15], off offset:1200
	scratch_store_dwordx4 off, v[8:11], off offset:1184
	;; [unrolled: 1-line block ×4, first 2 shown]
	scratch_load_dwordx4 v[0:3], off, off offset:1912 ; 16-byte Folded Reload
	s_nop 0
	scratch_load_dwordx4 v[4:7], off, off offset:1928 ; 16-byte Folded Reload
	scratch_load_dwordx4 v[8:11], off, off offset:1944 ; 16-byte Folded Reload
	;; [unrolled: 1-line block ×3, first 2 shown]
	s_waitcnt vmcnt(0)
	scratch_store_dwordx4 off, v[12:15], off offset:1264
	scratch_store_dwordx4 off, v[8:11], off offset:1248
	;; [unrolled: 1-line block ×4, first 2 shown]
	scratch_load_dwordx4 v[0:3], off, off offset:3352 ; 16-byte Folded Reload
	s_waitcnt vmcnt(0)
	v_mfma_f32_32x32x16_fp8_fp8 v[96:111], v[66:67], v[2:3], v[96:111]
	scratch_load_dwordx4 v[0:3], off, off offset:2168 ; 16-byte Folded Reload
	scratch_load_dwordx4 v[4:7], off, off offset:2184 ; 16-byte Folded Reload
	;; [unrolled: 1-line block ×4, first 2 shown]
	s_waitcnt vmcnt(0)
	scratch_store_dwordx4 off, v[12:15], off offset:1328
	scratch_store_dwordx4 off, v[8:11], off offset:1312
	;; [unrolled: 1-line block ×7, first 2 shown]
	scratch_load_dwordx4 v[0:3], off, off offset:3792 ; 16-byte Folded Reload
	v_mfma_f32_32x32x16_fp8_fp8 v[16:31], v[66:67], v[78:79], v[16:31]
	scratch_store_dwordx4 off, v[32:35], off offset:3688 ; 16-byte Folded Spill
	s_nop 0
	scratch_store_dwordx4 off, v[36:39], off offset:3704 ; 16-byte Folded Spill
	scratch_store_dwordx4 off, v[40:43], off offset:3720 ; 16-byte Folded Spill
	scratch_store_dwordx4 off, v[44:47], off offset:3736 ; 16-byte Folded Spill
	scratch_store_dwordx4 off, v[32:35], off offset:1344
	s_nop 4
	scratch_store_dwordx4 off, v[28:31], off offset:1456
	scratch_store_dwordx4 off, v[24:27], off offset:1440
	;; [unrolled: 1-line block ×3, first 2 shown]
	scratch_store_dwordx4 off, v[16:19], off offset:3560 ; 16-byte Folded Spill
	s_nop 0
	scratch_store_dwordx4 off, v[20:23], off offset:3576 ; 16-byte Folded Spill
	scratch_store_dwordx4 off, v[24:27], off offset:3592 ; 16-byte Folded Spill
	;; [unrolled: 1-line block ×3, first 2 shown]
	scratch_store_dwordx4 off, v[16:19], off offset:1408
	scratch_store_dwordx4 off, v[108:111], off offset:1520
	;; [unrolled: 1-line block ×3, first 2 shown]
	s_waitcnt vmcnt(15)
	v_mfma_f32_32x32x16_fp8_fp8 v[80:95], v[66:67], v[2:3], v[80:95]
	scratch_load_dwordx4 v[0:3], off, off offset:2104 ; 16-byte Folded Reload
	scratch_load_dwordx4 v[4:7], off, off offset:2120 ; 16-byte Folded Reload
	;; [unrolled: 1-line block ×4, first 2 shown]
	v_mfma_f32_32x32x16_fp8_fp8 v[112:127], v[64:65], v[72:73], v[112:127]
	s_waitcnt vmcnt(0)
	v_mfma_f32_32x32x16_fp8_fp8 v[0:15], v[66:67], v[76:77], v[0:15]
	scratch_store_dwordx4 off, v[100:103], off offset:1488
	scratch_store_dwordx4 off, v[96:99], off offset:3496 ; 16-byte Folded Spill
	s_nop 0
	scratch_store_dwordx4 off, v[100:103], off offset:3512 ; 16-byte Folded Spill
	scratch_store_dwordx4 off, v[104:107], off offset:3528 ; 16-byte Folded Spill
	;; [unrolled: 1-line block ×3, first 2 shown]
	scratch_store_dwordx4 off, v[96:99], off offset:1472
	scratch_store_dwordx4 off, v[92:95], off offset:1584
	;; [unrolled: 1-line block ×4, first 2 shown]
	scratch_store_dwordx4 off, v[80:83], off offset:3432 ; 16-byte Folded Spill
	s_nop 0
	scratch_store_dwordx4 off, v[84:87], off offset:3448 ; 16-byte Folded Spill
	scratch_store_dwordx4 off, v[88:91], off offset:3464 ; 16-byte Folded Spill
	;; [unrolled: 1-line block ×3, first 2 shown]
	scratch_store_dwordx4 off, v[80:83], off offset:1536
	scratch_store_dwordx4 off, v[12:15], off offset:1648
	v_mfma_f32_32x32x16_fp8_fp8 v[112:127], v[66:67], v[74:75], v[112:127]
	v_mfma_f32_32x32x16_fp8_fp8 v[48:63], v[66:67], v[68:69], v[48:63]
	scratch_store_dwordx4 off, v[8:11], off offset:1632
	scratch_store_dwordx4 off, v[4:7], off offset:1616
	scratch_store_dwordx4 off, v[0:3], off offset:2104 ; 16-byte Folded Spill
	s_nop 0
	scratch_store_dwordx4 off, v[4:7], off offset:2120 ; 16-byte Folded Spill
	scratch_store_dwordx4 off, v[8:11], off offset:2136 ; 16-byte Folded Spill
	;; [unrolled: 1-line block ×3, first 2 shown]
	scratch_store_dwordx4 off, v[0:3], off offset:1600
	s_nop 2
	scratch_store_dwordx4 off, v[60:63], off offset:1712
	scratch_store_dwordx4 off, v[56:59], off offset:1696
	;; [unrolled: 1-line block ×3, first 2 shown]
	scratch_store_dwordx4 off, v[48:51], off offset:3368 ; 16-byte Folded Spill
	s_nop 0
	scratch_store_dwordx4 off, v[52:55], off offset:3384 ; 16-byte Folded Spill
	scratch_store_dwordx4 off, v[56:59], off offset:3400 ; 16-byte Folded Spill
	;; [unrolled: 1-line block ×3, first 2 shown]
	scratch_store_dwordx4 off, v[48:51], off offset:1664
	scratch_store_dwordx4 off, v[124:127], off offset:1776
	;; [unrolled: 1-line block ×4, first 2 shown]
	scratch_store_dwordx4 off, v[112:115], off offset:3624 ; 16-byte Folded Spill
	s_nop 0
	scratch_store_dwordx4 off, v[116:119], off offset:3640 ; 16-byte Folded Spill
	scratch_store_dwordx4 off, v[120:123], off offset:3656 ; 16-byte Folded Spill
	;; [unrolled: 1-line block ×3, first 2 shown]
	scratch_store_dwordx4 off, v[112:115], off offset:1728
.LBB81_11:                              ;   in Loop: Header=BB81_12 Depth=2
	s_or_b64 exec, exec, s[2:3]
	scratch_load_dwordx2 v[0:1], off, off offset:1904 ; 8-byte Folded Reload
	s_addk_i32 s44, 0x400
	s_cmp_ge_u32 s44, s20
	s_waitcnt vmcnt(0)
	v_add_u32_e32 v0, 0x400, v0
	scratch_store_dwordx2 off, v[0:1], off offset:1904 ; 8-byte Folded Spill
	s_cbranch_scc1 .LBB81_31
.LBB81_12:                              ;   Parent Loop BB81_8 Depth=1
                                        ; =>  This Loop Header: Depth=2
                                        ;       Child Loop BB81_14 Depth 3
	scratch_load_dwordx2 v[16:17], off, off offset:3752 ; 8-byte Folded Reload
	s_waitcnt vmcnt(0)
	v_add_u32_e32 v18, s44, v16
	v_cmp_gt_u32_e32 vcc, s20, v18
	s_and_saveexec_b64 s[2:3], vcc
	s_cbranch_execz .LBB81_11
; %bb.13:                               ;   in Loop: Header=BB81_12 Depth=2
	scratch_load_dwordx2 v[0:1], off, off offset:1904 ; 8-byte Folded Reload
	v_mov_b32_e32 v19, 0x700
	s_mov_b32 s5, 0
	s_mov_b64 s[6:7], 0
	s_waitcnt vmcnt(0) lgkmcnt(0)
	v_lshl_add_u64 v[16:17], s[26:27], 0, v[0:1]
	scratch_load_dwordx2 v[0:1], off, off offset:3808 ; 8-byte Folded Reload
.LBB81_14:                              ;   Parent Loop BB81_8 Depth=1
                                        ;     Parent Loop BB81_12 Depth=2
                                        ; =>    This Inner Loop Header: Depth=3
	global_load_dwordx4 v[20:23], v[16:17], off nt
	s_add_i32 s10, s5, 1
	s_cmp_gt_u32 s5, 5
	s_cselect_b64 s[8:9], -1, 0
	v_lshl_add_u64 v[16:17], v[16:17], 0, s[34:35]
	s_mov_b32 s5, s10
	s_waitcnt vmcnt(0)
	scratch_store_dwordx4 v19, v[20:23], off
	s_nop 1
	v_add_u32_e32 v20, s10, v0
	v_cmp_le_u32_e32 vcc, s22, v20
	s_or_b64 s[8:9], s[8:9], vcc
	s_and_b64 s[8:9], exec, s[8:9]
	v_add_u32_e32 v19, 16, v19
	s_or_b64 s[6:7], s[8:9], s[6:7]
	s_andn2_b64 exec, exec, s[6:7]
	s_cbranch_execnz .LBB81_14
; %bb.15:                               ;   in Loop: Header=BB81_12 Depth=2
	s_or_b64 exec, exec, s[6:7]
	v_cmp_lt_u32_e32 vcc, s21, v18
                                        ; implicit-def: $vgpr40_vgpr41
	s_and_saveexec_b64 s[6:7], vcc
	s_xor_b64 s[6:7], exec, s[6:7]
	s_cbranch_execz .LBB81_17
; %bb.16:                               ;   in Loop: Header=BB81_12 Depth=2
	global_load_dwordx4 v[40:43], v18, s[24:25]
.LBB81_17:                              ;   in Loop: Header=BB81_12 Depth=2
	s_andn2_saveexec_b64 s[6:7], s[6:7]
	s_cbranch_execz .LBB81_19
; %bb.18:                               ;   in Loop: Header=BB81_12 Depth=2
	s_waitcnt vmcnt(0)
	ds_read_b128 v[40:43], v18
.LBB81_19:                              ;   in Loop: Header=BB81_12 Depth=2
	s_or_b64 exec, exec, s[6:7]
	v_add_u32_e32 v16, s20, v18
	v_cmp_lt_u32_e32 vcc, s21, v16
                                        ; implicit-def: $vgpr68_vgpr69
	s_and_saveexec_b64 s[6:7], vcc
	s_xor_b64 s[6:7], exec, s[6:7]
	s_cbranch_execz .LBB81_21
; %bb.20:                               ;   in Loop: Header=BB81_12 Depth=2
	global_load_dwordx4 v[68:71], v16, s[24:25]
.LBB81_21:                              ;   in Loop: Header=BB81_12 Depth=2
	s_andn2_saveexec_b64 s[6:7], s[6:7]
	s_cbranch_execz .LBB81_23
; %bb.22:                               ;   in Loop: Header=BB81_12 Depth=2
	s_waitcnt vmcnt(0)
	ds_read_b128 v[68:71], v16
.LBB81_23:                              ;   in Loop: Header=BB81_12 Depth=2
	s_or_b64 exec, exec, s[6:7]
	v_add_u32_e32 v16, s20, v16
	v_cmp_lt_u32_e32 vcc, s21, v16
                                        ; implicit-def: $vgpr0_vgpr1
	scratch_store_dwordx4 off, v[0:3], off offset:3336 ; 16-byte Folded Spill
	s_and_saveexec_b64 s[6:7], vcc
	s_xor_b64 s[6:7], exec, s[6:7]
	s_cbranch_execz .LBB81_25
; %bb.24:                               ;   in Loop: Header=BB81_12 Depth=2
	global_load_dwordx4 v[0:3], v16, s[24:25]
	s_waitcnt vmcnt(0)
	scratch_store_dwordx4 off, v[0:3], off offset:3336 ; 16-byte Folded Spill
.LBB81_25:                              ;   in Loop: Header=BB81_12 Depth=2
	s_andn2_saveexec_b64 s[6:7], s[6:7]
	s_cbranch_execz .LBB81_27
; %bb.26:                               ;   in Loop: Header=BB81_12 Depth=2
	ds_read_b128 v[0:3], v16
	s_waitcnt lgkmcnt(0)
	scratch_store_dwordx4 off, v[0:3], off offset:3336 ; 16-byte Folded Spill
.LBB81_27:                              ;   in Loop: Header=BB81_12 Depth=2
	s_or_b64 exec, exec, s[6:7]
	v_add_u32_e32 v16, s20, v16
	v_cmp_lt_u32_e32 vcc, s21, v16
                                        ; implicit-def: $vgpr0_vgpr1
	scratch_store_dwordx4 off, v[0:3], off offset:3320 ; 16-byte Folded Spill
	s_and_saveexec_b64 s[6:7], vcc
	s_xor_b64 s[6:7], exec, s[6:7]
	s_cbranch_execz .LBB81_29
; %bb.28:                               ;   in Loop: Header=BB81_12 Depth=2
	global_load_dwordx4 v[0:3], v16, s[24:25]
                                        ; implicit-def: $vgpr16
	s_waitcnt vmcnt(0)
	scratch_store_dwordx4 off, v[0:3], off offset:3320 ; 16-byte Folded Spill
.LBB81_29:                              ;   in Loop: Header=BB81_12 Depth=2
	s_andn2_saveexec_b64 s[6:7], s[6:7]
	s_cbranch_execz .LBB81_10
; %bb.30:                               ;   in Loop: Header=BB81_12 Depth=2
	ds_read_b128 v[0:3], v16
	s_waitcnt lgkmcnt(0)
	scratch_store_dwordx4 off, v[0:3], off offset:3320 ; 16-byte Folded Spill
	s_branch .LBB81_10
.LBB81_31:                              ;   in Loop: Header=BB81_8 Depth=1
	scratch_load_dword v20, off, off offset:3840 ; 4-byte Folded Reload
	s_mov_b32 s2, 0
.LBB81_32:                              ;   Parent Loop BB81_8 Depth=1
                                        ; =>  This Inner Loop Header: Depth=2
	s_add_i32 s3, s2, 0
	scratch_load_dwordx4 v[0:3], off, s3 offset:48
	scratch_load_dwordx4 v[4:7], off, s3 offset:32
	scratch_load_dwordx4 v[8:11], off, s3
	scratch_load_dwordx4 v[12:15], off, s3 offset:16
	s_add_i32 s2, s2, 64
	s_cmpk_lg_i32 s2, 0x1c0
	s_waitcnt vmcnt(2)
	;;#ASMSTART
	v_add_f32 v4, v5, v4 row_shl:1 bound_ctrl:0 
	;;#ASMEND
	s_nop 0
	;;#ASMSTART
	v_add_f32 v4, v6, v4 row_shl:2 bound_ctrl:0 
	;;#ASMEND
	s_waitcnt vmcnt(1)
	;;#ASMSTART
	v_add_f32 v8, v9, v8 row_shl:1 bound_ctrl:0 
	;;#ASMEND
	;;#ASMSTART
	v_add_f32 v4, v7, v4 row_shl:3 bound_ctrl:0 
	;;#ASMEND
	s_nop 0
	;;#ASMSTART
	v_add_f32 v8, v10, v8 row_shl:2 bound_ctrl:0 
	;;#ASMEND
	;;#ASMSTART
	v_add_f32 v4, v0, v4 row_shl:8 bound_ctrl:0 
	;;#ASMEND
	s_nop 0
	;;#ASMSTART
	v_add_f32 v8, v11, v8 row_shl:3 bound_ctrl:0 
	;;#ASMEND
	;;#ASMSTART
	v_add_f32 v4, v1, v4 row_shl:9 bound_ctrl:0 
	;;#ASMEND
	s_waitcnt vmcnt(0)
	;;#ASMSTART
	v_add_f32 v8, v12, v8 row_shl:8 bound_ctrl:0 
	;;#ASMEND
	;;#ASMSTART
	v_add_f32 v4, v2, v4 row_shl:10 bound_ctrl:0 
	;;#ASMEND
	s_nop 0
	;;#ASMSTART
	v_add_f32 v8, v13, v8 row_shl:9 bound_ctrl:0 
	;;#ASMEND
	;;#ASMSTART
	v_add_f32 v4, v3, v4 row_shl:11 bound_ctrl:0 
	;;#ASMEND
	ds_bpermute_b32 v0, v20, v4 offset:208
	;;#ASMSTART
	v_add_f32 v8, v14, v8 row_shl:10 bound_ctrl:0 
	;;#ASMEND
	s_waitcnt lgkmcnt(0)
	v_add_f32_e32 v0, v4, v0
	;;#ASMSTART
	v_add_f32 v8, v15, v8 row_shl:11 bound_ctrl:0 
	;;#ASMEND
	ds_bpermute_b32 v1, v20, v8 offset:144
	ds_bpermute_b32 v0, v20, v0 offset:64
	s_waitcnt lgkmcnt(1)
	v_add_f32_e32 v1, v8, v1
	s_waitcnt lgkmcnt(0)
	v_add_f32_e32 v0, v1, v0
	scratch_store_dword off, v0, s3
	s_cbranch_scc1 .LBB81_32
; %bb.33:                               ;   in Loop: Header=BB81_8 Depth=1
	v_or_b32_e32 v0, 0x90, v20
	v_or_b32_e32 v1, 0xd0, v20
	;; [unrolled: 1-line block ×3, first 2 shown]
	s_movk_i32 s2, 0x1c0
.LBB81_34:                              ;   Parent Loop BB81_8 Depth=1
                                        ; =>  This Inner Loop Header: Depth=2
	s_add_i32 s3, s2, 0
	scratch_load_dwordx4 v[4:7], off, s3 offset:48
	scratch_load_dwordx4 v[8:11], off, s3 offset:32
	scratch_load_dwordx4 v[12:15], off, s3
	scratch_load_dwordx4 v[16:19], off, s3 offset:16
	s_add_i32 s2, s2, 64
	s_cmpk_lg_i32 s2, 0x380
	s_waitcnt vmcnt(2)
	;;#ASMSTART
	v_add_f32 v8, v9, v8 row_shl:1 bound_ctrl:0 
	;;#ASMEND
	s_nop 0
	;;#ASMSTART
	v_add_f32 v8, v10, v8 row_shl:2 bound_ctrl:0 
	;;#ASMEND
	s_waitcnt vmcnt(1)
	;;#ASMSTART
	v_add_f32 v12, v13, v12 row_shl:1 bound_ctrl:0 
	;;#ASMEND
	;;#ASMSTART
	v_add_f32 v8, v11, v8 row_shl:3 bound_ctrl:0 
	;;#ASMEND
	s_nop 0
	;;#ASMSTART
	v_add_f32 v12, v14, v12 row_shl:2 bound_ctrl:0 
	;;#ASMEND
	;;#ASMSTART
	v_add_f32 v8, v4, v8 row_shl:8 bound_ctrl:0 
	;;#ASMEND
	s_nop 0
	;;#ASMSTART
	v_add_f32 v12, v15, v12 row_shl:3 bound_ctrl:0 
	;;#ASMEND
	;;#ASMSTART
	v_add_f32 v8, v5, v8 row_shl:9 bound_ctrl:0 
	;;#ASMEND
	s_waitcnt vmcnt(0)
	;;#ASMSTART
	v_add_f32 v12, v16, v12 row_shl:8 bound_ctrl:0 
	;;#ASMEND
	;;#ASMSTART
	v_add_f32 v8, v6, v8 row_shl:10 bound_ctrl:0 
	;;#ASMEND
	s_nop 0
	;;#ASMSTART
	v_add_f32 v12, v17, v12 row_shl:9 bound_ctrl:0 
	;;#ASMEND
	;;#ASMSTART
	v_add_f32 v8, v7, v8 row_shl:11 bound_ctrl:0 
	;;#ASMEND
	ds_bpermute_b32 v3, v1, v8
	;;#ASMSTART
	v_add_f32 v12, v18, v12 row_shl:10 bound_ctrl:0 
	;;#ASMEND
	s_waitcnt lgkmcnt(0)
	v_add_f32_e32 v3, v8, v3
	;;#ASMSTART
	v_add_f32 v12, v19, v12 row_shl:11 bound_ctrl:0 
	;;#ASMEND
	ds_bpermute_b32 v4, v0, v12
	ds_bpermute_b32 v3, v2, v3
	s_waitcnt lgkmcnt(1)
	v_add_f32_e32 v4, v12, v4
	s_waitcnt lgkmcnt(0)
	v_add_f32_e32 v3, v4, v3
	scratch_store_dword off, v3, s3
	s_cbranch_scc1 .LBB81_34
; %bb.35:                               ;   in Loop: Header=BB81_8 Depth=1
	s_movk_i32 s2, 0x380
.LBB81_36:                              ;   Parent Loop BB81_8 Depth=1
                                        ; =>  This Inner Loop Header: Depth=2
	s_add_i32 s3, s2, 0
	scratch_load_dwordx4 v[4:7], off, s3 offset:48
	scratch_load_dwordx4 v[8:11], off, s3 offset:32
	scratch_load_dwordx4 v[12:15], off, s3
	scratch_load_dwordx4 v[16:19], off, s3 offset:16
	s_add_i32 s2, s2, 64
	s_cmpk_lg_i32 s2, 0x540
	s_waitcnt vmcnt(2)
	;;#ASMSTART
	v_add_f32 v8, v9, v8 row_shl:1 bound_ctrl:0 
	;;#ASMEND
	s_nop 0
	;;#ASMSTART
	v_add_f32 v8, v10, v8 row_shl:2 bound_ctrl:0 
	;;#ASMEND
	s_waitcnt vmcnt(1)
	;;#ASMSTART
	v_add_f32 v12, v13, v12 row_shl:1 bound_ctrl:0 
	;;#ASMEND
	;;#ASMSTART
	v_add_f32 v8, v11, v8 row_shl:3 bound_ctrl:0 
	;;#ASMEND
	s_nop 0
	;;#ASMSTART
	v_add_f32 v12, v14, v12 row_shl:2 bound_ctrl:0 
	;;#ASMEND
	;;#ASMSTART
	v_add_f32 v8, v4, v8 row_shl:8 bound_ctrl:0 
	;;#ASMEND
	s_nop 0
	;;#ASMSTART
	v_add_f32 v12, v15, v12 row_shl:3 bound_ctrl:0 
	;;#ASMEND
	;;#ASMSTART
	v_add_f32 v8, v5, v8 row_shl:9 bound_ctrl:0 
	;;#ASMEND
	s_waitcnt vmcnt(0)
	;;#ASMSTART
	v_add_f32 v12, v16, v12 row_shl:8 bound_ctrl:0 
	;;#ASMEND
	;;#ASMSTART
	v_add_f32 v8, v6, v8 row_shl:10 bound_ctrl:0 
	;;#ASMEND
	s_nop 0
	;;#ASMSTART
	v_add_f32 v12, v17, v12 row_shl:9 bound_ctrl:0 
	;;#ASMEND
	;;#ASMSTART
	v_add_f32 v8, v7, v8 row_shl:11 bound_ctrl:0 
	;;#ASMEND
	ds_bpermute_b32 v3, v1, v8
	;;#ASMSTART
	v_add_f32 v12, v18, v12 row_shl:10 bound_ctrl:0 
	;;#ASMEND
	s_waitcnt lgkmcnt(0)
	v_add_f32_e32 v3, v8, v3
	;;#ASMSTART
	v_add_f32 v12, v19, v12 row_shl:11 bound_ctrl:0 
	;;#ASMEND
	ds_bpermute_b32 v4, v0, v12
	ds_bpermute_b32 v3, v2, v3
	s_waitcnt lgkmcnt(1)
	v_add_f32_e32 v4, v12, v4
	s_waitcnt lgkmcnt(0)
	v_add_f32_e32 v3, v4, v3
	scratch_store_dword off, v3, s3
	s_cbranch_scc1 .LBB81_36
; %bb.37:                               ;   in Loop: Header=BB81_8 Depth=1
	s_movk_i32 s2, 0x540
.LBB81_38:                              ;   Parent Loop BB81_8 Depth=1
                                        ; =>  This Inner Loop Header: Depth=2
	s_add_i32 s3, s2, 0
	scratch_load_dwordx4 v[4:7], off, s3 offset:48
	scratch_load_dwordx4 v[8:11], off, s3 offset:32
	scratch_load_dwordx4 v[12:15], off, s3
	scratch_load_dwordx4 v[16:19], off, s3 offset:16
	s_add_i32 s2, s2, 64
	s_cmpk_lg_i32 s2, 0x700
	s_waitcnt vmcnt(2)
	;;#ASMSTART
	v_add_f32 v8, v9, v8 row_shl:1 bound_ctrl:0 
	;;#ASMEND
	s_nop 0
	;;#ASMSTART
	v_add_f32 v8, v10, v8 row_shl:2 bound_ctrl:0 
	;;#ASMEND
	s_waitcnt vmcnt(1)
	;;#ASMSTART
	v_add_f32 v12, v13, v12 row_shl:1 bound_ctrl:0 
	;;#ASMEND
	;;#ASMSTART
	v_add_f32 v8, v11, v8 row_shl:3 bound_ctrl:0 
	;;#ASMEND
	s_nop 0
	;;#ASMSTART
	v_add_f32 v12, v14, v12 row_shl:2 bound_ctrl:0 
	;;#ASMEND
	;;#ASMSTART
	v_add_f32 v8, v4, v8 row_shl:8 bound_ctrl:0 
	;;#ASMEND
	s_nop 0
	;;#ASMSTART
	v_add_f32 v12, v15, v12 row_shl:3 bound_ctrl:0 
	;;#ASMEND
	;;#ASMSTART
	v_add_f32 v8, v5, v8 row_shl:9 bound_ctrl:0 
	;;#ASMEND
	s_waitcnt vmcnt(0)
	;;#ASMSTART
	v_add_f32 v12, v16, v12 row_shl:8 bound_ctrl:0 
	;;#ASMEND
	;;#ASMSTART
	v_add_f32 v8, v6, v8 row_shl:10 bound_ctrl:0 
	;;#ASMEND
	s_nop 0
	;;#ASMSTART
	v_add_f32 v12, v17, v12 row_shl:9 bound_ctrl:0 
	;;#ASMEND
	;;#ASMSTART
	v_add_f32 v8, v7, v8 row_shl:11 bound_ctrl:0 
	;;#ASMEND
	ds_bpermute_b32 v3, v1, v8
	;;#ASMSTART
	v_add_f32 v12, v18, v12 row_shl:10 bound_ctrl:0 
	;;#ASMEND
	s_waitcnt lgkmcnt(0)
	v_add_f32_e32 v3, v8, v3
	;;#ASMSTART
	v_add_f32 v12, v19, v12 row_shl:11 bound_ctrl:0 
	;;#ASMEND
	ds_bpermute_b32 v4, v0, v12
	ds_bpermute_b32 v3, v2, v3
	s_waitcnt lgkmcnt(1)
	v_add_f32_e32 v4, v12, v4
	s_waitcnt lgkmcnt(0)
	v_add_f32_e32 v3, v4, v3
	scratch_store_dword off, v3, s3
	s_cbranch_scc1 .LBB81_38
; %bb.39:                               ;   in Loop: Header=BB81_8 Depth=1
	s_mov_b64 s[6:7], exec
	scratch_load_dwordx2 v[8:9], off, off offset:3808 ; 8-byte Folded Reload
	s_and_b64 s[2:3], s[6:7], s[0:1]
	s_mov_b64 exec, s[2:3]
	s_cbranch_execz .LBB81_7
; %bb.40:                               ;   in Loop: Header=BB81_8 Depth=1
	scratch_load_dwordx4 v[0:3], off, off
                                        ; implicit-def: $vgpr2
	s_waitcnt vmcnt(0)
	v_mul_f32_e32 v0, s23, v0
	v_mul_f32_e32 v0, s33, v0
	v_and_b32_e32 v1, 0x7f800000, v0
	v_cmp_ne_u32_e32 vcc, s42, v1
	s_and_saveexec_b64 s[2:3], vcc
	s_xor_b64 s[2:3], exec, s[2:3]
; %bb.41:                               ;   in Loop: Header=BB81_8 Depth=1
	v_bfe_u32 v1, v0, 16, 1
	v_add3_u32 v2, v0, v1, s43
                                        ; implicit-def: $vgpr0
; %bb.42:                               ;   in Loop: Header=BB81_8 Depth=1
	s_andn2_saveexec_b64 s[2:3], s[2:3]
	s_cbranch_execz .LBB81_44
; %bb.43:                               ;   in Loop: Header=BB81_8 Depth=1
	scratch_load_dwordx2 v[2:3], off, off offset:1904 ; 8-byte Folded Reload
	v_or_b32_e32 v1, 0x10000, v0
	s_waitcnt vmcnt(0)
	v_cmp_eq_u32_sdwa vcc, v0, v3 src0_sel:WORD_0 src1_sel:DWORD
	s_nop 1
	v_cndmask_b32_e32 v2, v1, v0, vcc
.LBB81_44:                              ;   in Loop: Header=BB81_8 Depth=1
	s_or_b64 exec, exec, s[2:3]
	scratch_load_dwordx2 v[0:1], off, off offset:1904 ; 8-byte Folded Reload
	s_waitcnt vmcnt(0)
	v_mov_b32_e32 v9, v1
	v_lshl_add_u64 v[0:1], v[8:9], 1, s[28:29]
	global_store_short_d16_hi v[0:1], v2, off
	v_add_u32_e32 v2, 1, v8
	v_cmp_gt_u32_e32 vcc, s22, v2
	s_and_saveexec_b64 s[8:9], vcc
	s_cbranch_execz .LBB81_75
; %bb.45:                               ;   in Loop: Header=BB81_8 Depth=1
	scratch_load_dwordx4 v[4:7], off, off offset:64
	s_waitcnt vmcnt(0)
	v_mul_f32_e32 v3, s23, v4
	v_mul_f32_e32 v3, s33, v3
	v_and_b32_e32 v4, 0x7f800000, v3
	v_cmp_ne_u32_e64 s[2:3], s42, v4
                                        ; implicit-def: $vgpr4
	s_and_saveexec_b64 s[10:11], s[2:3]
	s_xor_b64 s[2:3], exec, s[10:11]
; %bb.46:                               ;   in Loop: Header=BB81_8 Depth=1
	v_bfe_u32 v4, v3, 16, 1
	v_add3_u32 v4, v3, v4, s43
                                        ; implicit-def: $vgpr3
; %bb.47:                               ;   in Loop: Header=BB81_8 Depth=1
	s_andn2_saveexec_b64 s[10:11], s[2:3]
	s_cbranch_execz .LBB81_49
; %bb.48:                               ;   in Loop: Header=BB81_8 Depth=1
	scratch_load_dwordx2 v[6:7], off, off offset:1904 ; 8-byte Folded Reload
	v_or_b32_e32 v4, 0x10000, v3
	s_waitcnt vmcnt(0)
	v_cmp_eq_u32_sdwa s[2:3], v3, v7 src0_sel:WORD_0 src1_sel:DWORD
	s_nop 1
	v_cndmask_b32_e64 v4, v4, v3, s[2:3]
.LBB81_49:                              ;   in Loop: Header=BB81_8 Depth=1
	s_or_b64 exec, exec, s[10:11]
	v_add_u32_e32 v3, 2, v8
	v_cmp_gt_u32_e64 s[2:3], s22, v3
	global_store_short_d16_hi v[0:1], v4, off offset:2
	s_and_b64 exec, exec, s[2:3]
	s_cbranch_execz .LBB81_75
; %bb.50:                               ;   in Loop: Header=BB81_8 Depth=1
	scratch_load_dwordx4 v[4:7], off, off offset:128
	s_waitcnt vmcnt(0)
	v_mul_f32_e32 v3, s23, v4
	v_mul_f32_e32 v3, s33, v3
	v_and_b32_e32 v4, 0x7f800000, v3
	v_cmp_ne_u32_e64 s[2:3], s42, v4
                                        ; implicit-def: $vgpr4
	s_and_saveexec_b64 s[10:11], s[2:3]
	s_xor_b64 s[2:3], exec, s[10:11]
; %bb.51:                               ;   in Loop: Header=BB81_8 Depth=1
	v_bfe_u32 v4, v3, 16, 1
	v_add3_u32 v4, v3, v4, s43
                                        ; implicit-def: $vgpr3
; %bb.52:                               ;   in Loop: Header=BB81_8 Depth=1
	s_andn2_saveexec_b64 s[10:11], s[2:3]
	s_cbranch_execz .LBB81_54
; %bb.53:                               ;   in Loop: Header=BB81_8 Depth=1
	scratch_load_dwordx2 v[6:7], off, off offset:1904 ; 8-byte Folded Reload
	v_or_b32_e32 v4, 0x10000, v3
	s_waitcnt vmcnt(0)
	v_cmp_eq_u32_sdwa s[2:3], v3, v7 src0_sel:WORD_0 src1_sel:DWORD
	s_nop 1
	v_cndmask_b32_e64 v4, v4, v3, s[2:3]
.LBB81_54:                              ;   in Loop: Header=BB81_8 Depth=1
	s_or_b64 exec, exec, s[10:11]
	v_add_u32_e32 v3, 3, v8
	v_cmp_gt_u32_e64 s[2:3], s22, v3
	global_store_short_d16_hi v[0:1], v4, off offset:4
	s_and_b64 exec, exec, s[2:3]
	s_cbranch_execz .LBB81_75
; %bb.55:                               ;   in Loop: Header=BB81_8 Depth=1
	scratch_load_dwordx4 v[4:7], off, off offset:192
	s_waitcnt vmcnt(0)
	v_mul_f32_e32 v3, s23, v4
	v_mul_f32_e32 v3, s33, v3
	v_and_b32_e32 v4, 0x7f800000, v3
	v_cmp_ne_u32_e64 s[2:3], s42, v4
                                        ; implicit-def: $vgpr4
	s_and_saveexec_b64 s[10:11], s[2:3]
	s_xor_b64 s[2:3], exec, s[10:11]
; %bb.56:                               ;   in Loop: Header=BB81_8 Depth=1
	v_bfe_u32 v4, v3, 16, 1
	v_add3_u32 v4, v3, v4, s43
                                        ; implicit-def: $vgpr3
; %bb.57:                               ;   in Loop: Header=BB81_8 Depth=1
	s_andn2_saveexec_b64 s[10:11], s[2:3]
	s_cbranch_execz .LBB81_59
; %bb.58:                               ;   in Loop: Header=BB81_8 Depth=1
	scratch_load_dwordx2 v[6:7], off, off offset:1904 ; 8-byte Folded Reload
	v_or_b32_e32 v4, 0x10000, v3
	s_waitcnt vmcnt(0)
	v_cmp_eq_u32_sdwa s[2:3], v3, v7 src0_sel:WORD_0 src1_sel:DWORD
	s_nop 1
	v_cndmask_b32_e64 v4, v4, v3, s[2:3]
.LBB81_59:                              ;   in Loop: Header=BB81_8 Depth=1
	s_or_b64 exec, exec, s[10:11]
	v_add_u32_e32 v3, 4, v8
	v_cmp_gt_u32_e64 s[2:3], s22, v3
	global_store_short_d16_hi v[0:1], v4, off offset:6
	s_and_b64 exec, exec, s[2:3]
	s_cbranch_execz .LBB81_75
; %bb.60:                               ;   in Loop: Header=BB81_8 Depth=1
	scratch_load_dwordx4 v[4:7], off, off offset:256
	s_waitcnt vmcnt(0)
	v_mul_f32_e32 v3, s23, v4
	v_mul_f32_e32 v3, s33, v3
	v_and_b32_e32 v4, 0x7f800000, v3
	v_cmp_ne_u32_e64 s[2:3], s42, v4
                                        ; implicit-def: $vgpr4
	s_and_saveexec_b64 s[10:11], s[2:3]
	s_xor_b64 s[2:3], exec, s[10:11]
; %bb.61:                               ;   in Loop: Header=BB81_8 Depth=1
	v_bfe_u32 v4, v3, 16, 1
	v_add3_u32 v4, v3, v4, s43
                                        ; implicit-def: $vgpr3
; %bb.62:                               ;   in Loop: Header=BB81_8 Depth=1
	s_andn2_saveexec_b64 s[10:11], s[2:3]
	s_cbranch_execz .LBB81_64
; %bb.63:                               ;   in Loop: Header=BB81_8 Depth=1
	scratch_load_dwordx2 v[6:7], off, off offset:1904 ; 8-byte Folded Reload
	v_or_b32_e32 v4, 0x10000, v3
	s_waitcnt vmcnt(0)
	v_cmp_eq_u32_sdwa s[2:3], v3, v7 src0_sel:WORD_0 src1_sel:DWORD
	s_nop 1
	v_cndmask_b32_e64 v4, v4, v3, s[2:3]
.LBB81_64:                              ;   in Loop: Header=BB81_8 Depth=1
	s_or_b64 exec, exec, s[10:11]
	v_add_u32_e32 v3, 5, v8
	v_cmp_gt_u32_e64 s[2:3], s22, v3
	global_store_short_d16_hi v[0:1], v4, off offset:8
	s_and_b64 exec, exec, s[2:3]
	s_cbranch_execz .LBB81_75
; %bb.65:                               ;   in Loop: Header=BB81_8 Depth=1
	scratch_load_dwordx4 v[4:7], off, off offset:320
	s_waitcnt vmcnt(0)
	v_mul_f32_e32 v3, s23, v4
	v_mul_f32_e32 v3, s33, v3
	v_and_b32_e32 v4, 0x7f800000, v3
	v_cmp_ne_u32_e64 s[2:3], s42, v4
                                        ; implicit-def: $vgpr4
	s_and_saveexec_b64 s[10:11], s[2:3]
	s_xor_b64 s[2:3], exec, s[10:11]
; %bb.66:                               ;   in Loop: Header=BB81_8 Depth=1
	v_bfe_u32 v4, v3, 16, 1
	v_add3_u32 v4, v3, v4, s43
                                        ; implicit-def: $vgpr3
; %bb.67:                               ;   in Loop: Header=BB81_8 Depth=1
	s_andn2_saveexec_b64 s[10:11], s[2:3]
	s_cbranch_execz .LBB81_69
; %bb.68:                               ;   in Loop: Header=BB81_8 Depth=1
	scratch_load_dwordx2 v[6:7], off, off offset:1904 ; 8-byte Folded Reload
	v_or_b32_e32 v4, 0x10000, v3
	s_waitcnt vmcnt(0)
	v_cmp_eq_u32_sdwa s[2:3], v3, v7 src0_sel:WORD_0 src1_sel:DWORD
	s_nop 1
	v_cndmask_b32_e64 v4, v4, v3, s[2:3]
.LBB81_69:                              ;   in Loop: Header=BB81_8 Depth=1
	s_or_b64 exec, exec, s[10:11]
	v_add_u32_e32 v3, 6, v8
	v_cmp_gt_u32_e64 s[2:3], s22, v3
	global_store_short_d16_hi v[0:1], v4, off offset:10
	s_and_b64 exec, exec, s[2:3]
	s_cbranch_execz .LBB81_75
; %bb.70:                               ;   in Loop: Header=BB81_8 Depth=1
	scratch_load_dwordx4 v[4:7], off, off offset:384
	s_waitcnt vmcnt(0)
	v_mul_f32_e32 v3, s23, v4
	v_mul_f32_e32 v3, s33, v3
	v_and_b32_e32 v4, 0x7f800000, v3
	v_cmp_ne_u32_e64 s[2:3], s42, v4
                                        ; implicit-def: $vgpr4
	s_and_saveexec_b64 s[10:11], s[2:3]
	s_xor_b64 s[2:3], exec, s[10:11]
; %bb.71:                               ;   in Loop: Header=BB81_8 Depth=1
	v_bfe_u32 v4, v3, 16, 1
	v_add3_u32 v4, v3, v4, s43
                                        ; implicit-def: $vgpr3
; %bb.72:                               ;   in Loop: Header=BB81_8 Depth=1
	s_andn2_saveexec_b64 s[10:11], s[2:3]
	s_cbranch_execz .LBB81_74
; %bb.73:                               ;   in Loop: Header=BB81_8 Depth=1
	scratch_load_dwordx2 v[6:7], off, off offset:1904 ; 8-byte Folded Reload
	v_or_b32_e32 v4, 0x10000, v3
	s_waitcnt vmcnt(0)
	v_cmp_eq_u32_sdwa s[2:3], v3, v7 src0_sel:WORD_0 src1_sel:DWORD
	s_nop 1
	v_cndmask_b32_e64 v4, v4, v3, s[2:3]
.LBB81_74:                              ;   in Loop: Header=BB81_8 Depth=1
	s_or_b64 exec, exec, s[10:11]
	global_store_short_d16_hi v[0:1], v4, off offset:12
.LBB81_75:                              ;   in Loop: Header=BB81_8 Depth=1
	s_or_b64 exec, exec, s[8:9]
	scratch_load_dwordx4 v[4:7], off, off offset:448
	s_waitcnt vmcnt(0)
	v_mul_f32_e32 v0, s23, v4
	v_mul_f32_e32 v1, s33, v0
	v_and_b32_e32 v0, 0x7f800000, v1
	v_cmp_ne_u32_e64 s[2:3], s42, v0
                                        ; implicit-def: $vgpr0
	s_and_saveexec_b64 s[8:9], s[2:3]
	s_xor_b64 s[2:3], exec, s[8:9]
; %bb.76:                               ;   in Loop: Header=BB81_8 Depth=1
	v_bfe_u32 v0, v1, 16, 1
	v_add3_u32 v0, v1, v0, s43
                                        ; implicit-def: $vgpr1
; %bb.77:                               ;   in Loop: Header=BB81_8 Depth=1
	s_andn2_saveexec_b64 s[8:9], s[2:3]
	s_cbranch_execz .LBB81_79
; %bb.78:                               ;   in Loop: Header=BB81_8 Depth=1
	scratch_load_dwordx2 v[4:5], off, off offset:1904 ; 8-byte Folded Reload
	v_or_b32_e32 v0, 0x10000, v1
	s_waitcnt vmcnt(0)
	v_cmp_eq_u32_sdwa s[2:3], v1, v5 src0_sel:WORD_0 src1_sel:DWORD
	s_nop 1
	v_cndmask_b32_e64 v0, v0, v1, s[2:3]
.LBB81_79:                              ;   in Loop: Header=BB81_8 Depth=1
	s_or_b64 exec, exec, s[8:9]
	scratch_load_dwordx2 v[4:5], off, off offset:1904 ; 8-byte Folded Reload
	s_waitcnt vmcnt(0)
	v_add_u32_e32 v4, s22, v8
	v_mov_b32_e32 v9, v5
	v_lshl_add_u64 v[4:5], v[4:5], 1, s[28:29]
	global_store_short_d16_hi v[4:5], v0, off
	s_and_saveexec_b64 s[8:9], vcc
	s_cbranch_execz .LBB81_110
; %bb.80:                               ;   in Loop: Header=BB81_8 Depth=1
	scratch_load_dwordx4 v[4:7], off, off offset:512
	s_waitcnt vmcnt(0)
	v_mul_f32_e32 v0, s23, v4
	v_mul_f32_e32 v1, s33, v0
	v_and_b32_e32 v0, 0x7f800000, v1
	v_cmp_ne_u32_e64 s[2:3], s42, v0
                                        ; implicit-def: $vgpr0
	s_and_saveexec_b64 s[10:11], s[2:3]
	s_xor_b64 s[2:3], exec, s[10:11]
; %bb.81:                               ;   in Loop: Header=BB81_8 Depth=1
	v_bfe_u32 v0, v1, 16, 1
	v_add3_u32 v0, v1, v0, s43
                                        ; implicit-def: $vgpr1
; %bb.82:                               ;   in Loop: Header=BB81_8 Depth=1
	s_andn2_saveexec_b64 s[10:11], s[2:3]
; %bb.83:                               ;   in Loop: Header=BB81_8 Depth=1
	v_mov_b32_e32 v3, v9
	v_or_b32_e32 v0, 0x10000, v1
	v_cmp_eq_u32_sdwa s[2:3], v1, v3 src0_sel:WORD_0 src1_sel:DWORD
	s_nop 1
	v_cndmask_b32_e64 v0, v0, v1, s[2:3]
; %bb.84:                               ;   in Loop: Header=BB81_8 Depth=1
	s_or_b64 exec, exec, s[10:11]
	v_mov_b32_e32 v5, v9
	v_add_u32_e32 v4, s22, v2
	v_lshl_add_u64 v[4:5], v[4:5], 1, s[28:29]
	global_store_short_d16_hi v[4:5], v0, off
	v_add_u32_e32 v0, 2, v8
	v_cmp_gt_u32_e64 s[2:3], s22, v0
	s_and_b64 exec, exec, s[2:3]
	s_cbranch_execz .LBB81_110
; %bb.85:                               ;   in Loop: Header=BB81_8 Depth=1
	scratch_load_dwordx4 v[4:7], off, off offset:576
	s_waitcnt vmcnt(0)
	v_mul_f32_e32 v1, s23, v4
	v_mul_f32_e32 v3, s33, v1
	v_and_b32_e32 v1, 0x7f800000, v3
	v_cmp_ne_u32_e64 s[2:3], s42, v1
                                        ; implicit-def: $vgpr1
	s_and_saveexec_b64 s[10:11], s[2:3]
	s_xor_b64 s[2:3], exec, s[10:11]
; %bb.86:                               ;   in Loop: Header=BB81_8 Depth=1
	v_bfe_u32 v1, v3, 16, 1
	v_add3_u32 v1, v3, v1, s43
                                        ; implicit-def: $vgpr3
; %bb.87:                               ;   in Loop: Header=BB81_8 Depth=1
	s_andn2_saveexec_b64 s[10:11], s[2:3]
; %bb.88:                               ;   in Loop: Header=BB81_8 Depth=1
	v_mov_b32_e32 v5, v9
	v_or_b32_e32 v1, 0x10000, v3
	v_cmp_eq_u32_sdwa s[2:3], v3, v5 src0_sel:WORD_0 src1_sel:DWORD
	s_nop 1
	v_cndmask_b32_e64 v1, v1, v3, s[2:3]
; %bb.89:                               ;   in Loop: Header=BB81_8 Depth=1
	s_or_b64 exec, exec, s[10:11]
	v_mov_b32_e32 v5, v9
	v_add_u32_e32 v4, s22, v0
	v_add_u32_e32 v0, 3, v8
	v_lshl_add_u64 v[4:5], v[4:5], 1, s[28:29]
	v_cmp_gt_u32_e64 s[2:3], s22, v0
	global_store_short_d16_hi v[4:5], v1, off
	s_and_b64 exec, exec, s[2:3]
	s_cbranch_execz .LBB81_110
; %bb.90:                               ;   in Loop: Header=BB81_8 Depth=1
	scratch_load_dwordx4 v[4:7], off, off offset:640
	s_waitcnt vmcnt(0)
	v_mul_f32_e32 v1, s23, v4
	v_mul_f32_e32 v3, s33, v1
	v_and_b32_e32 v1, 0x7f800000, v3
	v_cmp_ne_u32_e64 s[2:3], s42, v1
                                        ; implicit-def: $vgpr1
	s_and_saveexec_b64 s[10:11], s[2:3]
	s_xor_b64 s[2:3], exec, s[10:11]
; %bb.91:                               ;   in Loop: Header=BB81_8 Depth=1
	v_bfe_u32 v1, v3, 16, 1
	v_add3_u32 v1, v3, v1, s43
                                        ; implicit-def: $vgpr3
; %bb.92:                               ;   in Loop: Header=BB81_8 Depth=1
	s_andn2_saveexec_b64 s[10:11], s[2:3]
; %bb.93:                               ;   in Loop: Header=BB81_8 Depth=1
	v_mov_b32_e32 v5, v9
	v_or_b32_e32 v1, 0x10000, v3
	v_cmp_eq_u32_sdwa s[2:3], v3, v5 src0_sel:WORD_0 src1_sel:DWORD
	s_nop 1
	v_cndmask_b32_e64 v1, v1, v3, s[2:3]
; %bb.94:                               ;   in Loop: Header=BB81_8 Depth=1
	s_or_b64 exec, exec, s[10:11]
	v_mov_b32_e32 v5, v9
	v_add_u32_e32 v4, s22, v0
	v_add_u32_e32 v0, 4, v8
	v_lshl_add_u64 v[4:5], v[4:5], 1, s[28:29]
	v_cmp_gt_u32_e64 s[2:3], s22, v0
	global_store_short_d16_hi v[4:5], v1, off
	;; [unrolled: 32-line block ×3, first 2 shown]
	s_and_b64 exec, exec, s[2:3]
	s_cbranch_execz .LBB81_110
; %bb.100:                              ;   in Loop: Header=BB81_8 Depth=1
	scratch_load_dwordx4 v[4:7], off, off offset:768
	s_waitcnt vmcnt(0)
	v_mul_f32_e32 v1, s23, v4
	v_mul_f32_e32 v3, s33, v1
	v_and_b32_e32 v1, 0x7f800000, v3
	v_cmp_ne_u32_e64 s[2:3], s42, v1
                                        ; implicit-def: $vgpr1
	s_and_saveexec_b64 s[10:11], s[2:3]
	s_xor_b64 s[2:3], exec, s[10:11]
; %bb.101:                              ;   in Loop: Header=BB81_8 Depth=1
	v_bfe_u32 v1, v3, 16, 1
	v_add3_u32 v1, v3, v1, s43
                                        ; implicit-def: $vgpr3
; %bb.102:                              ;   in Loop: Header=BB81_8 Depth=1
	s_andn2_saveexec_b64 s[10:11], s[2:3]
; %bb.103:                              ;   in Loop: Header=BB81_8 Depth=1
	v_mov_b32_e32 v5, v9
	v_or_b32_e32 v1, 0x10000, v3
	v_cmp_eq_u32_sdwa s[2:3], v3, v5 src0_sel:WORD_0 src1_sel:DWORD
	s_nop 1
	v_cndmask_b32_e64 v1, v1, v3, s[2:3]
; %bb.104:                              ;   in Loop: Header=BB81_8 Depth=1
	s_or_b64 exec, exec, s[10:11]
	v_mov_b32_e32 v5, v9
	v_add_u32_e32 v4, s22, v0
	v_add_u32_e32 v0, 6, v8
	v_lshl_add_u64 v[4:5], v[4:5], 1, s[28:29]
	v_cmp_gt_u32_e64 s[2:3], s22, v0
	global_store_short_d16_hi v[4:5], v1, off
	s_and_b64 exec, exec, s[2:3]
	s_cbranch_execz .LBB81_110
; %bb.105:                              ;   in Loop: Header=BB81_8 Depth=1
	scratch_load_dwordx4 v[4:7], off, off offset:832
	s_waitcnt vmcnt(0)
	v_mul_f32_e32 v1, s23, v4
	v_mul_f32_e32 v3, s33, v1
	v_and_b32_e32 v1, 0x7f800000, v3
	v_cmp_ne_u32_e64 s[2:3], s42, v1
                                        ; implicit-def: $vgpr1
	s_and_saveexec_b64 s[10:11], s[2:3]
	s_xor_b64 s[2:3], exec, s[10:11]
; %bb.106:                              ;   in Loop: Header=BB81_8 Depth=1
	v_bfe_u32 v1, v3, 16, 1
	v_add3_u32 v1, v3, v1, s43
                                        ; implicit-def: $vgpr3
; %bb.107:                              ;   in Loop: Header=BB81_8 Depth=1
	s_andn2_saveexec_b64 s[10:11], s[2:3]
; %bb.108:                              ;   in Loop: Header=BB81_8 Depth=1
	v_mov_b32_e32 v5, v9
	v_or_b32_e32 v1, 0x10000, v3
	v_cmp_eq_u32_sdwa s[2:3], v3, v5 src0_sel:WORD_0 src1_sel:DWORD
	s_nop 1
	v_cndmask_b32_e64 v1, v1, v3, s[2:3]
; %bb.109:                              ;   in Loop: Header=BB81_8 Depth=1
	s_or_b64 exec, exec, s[10:11]
	v_mov_b32_e32 v5, v9
	v_add_u32_e32 v4, s22, v0
	v_lshl_add_u64 v[4:5], v[4:5], 1, s[28:29]
	global_store_short_d16_hi v[4:5], v1, off
.LBB81_110:                             ;   in Loop: Header=BB81_8 Depth=1
	s_or_b64 exec, exec, s[8:9]
	scratch_load_dwordx4 v[4:7], off, off offset:896
	s_waitcnt vmcnt(0)
	v_mul_f32_e32 v0, s23, v4
	v_mul_f32_e32 v1, s33, v0
	v_and_b32_e32 v0, 0x7f800000, v1
	v_cmp_ne_u32_e64 s[2:3], s42, v0
                                        ; implicit-def: $vgpr0
	s_and_saveexec_b64 s[8:9], s[2:3]
	s_xor_b64 s[2:3], exec, s[8:9]
; %bb.111:                              ;   in Loop: Header=BB81_8 Depth=1
	v_bfe_u32 v0, v1, 16, 1
	v_add3_u32 v0, v1, v0, s43
                                        ; implicit-def: $vgpr1
; %bb.112:                              ;   in Loop: Header=BB81_8 Depth=1
	s_andn2_saveexec_b64 s[8:9], s[2:3]
; %bb.113:                              ;   in Loop: Header=BB81_8 Depth=1
	v_mov_b32_e32 v3, v9
	v_or_b32_e32 v0, 0x10000, v1
	v_cmp_eq_u32_sdwa s[2:3], v1, v3 src0_sel:WORD_0 src1_sel:DWORD
	s_nop 1
	v_cndmask_b32_e64 v0, v0, v1, s[2:3]
; %bb.114:                              ;   in Loop: Header=BB81_8 Depth=1
	s_or_b64 exec, exec, s[8:9]
	v_mov_b32_e32 v5, v9
	v_add_u32_e32 v4, s39, v8
	v_lshl_add_u64 v[4:5], v[4:5], 1, s[28:29]
	global_store_short_d16_hi v[4:5], v0, off
	s_and_saveexec_b64 s[8:9], vcc
	s_cbranch_execz .LBB81_145
; %bb.115:                              ;   in Loop: Header=BB81_8 Depth=1
	scratch_load_dwordx4 v[4:7], off, off offset:960
	s_waitcnt vmcnt(0)
	v_mul_f32_e32 v0, s23, v4
	v_mul_f32_e32 v1, s33, v0
	v_and_b32_e32 v0, 0x7f800000, v1
	v_cmp_ne_u32_e64 s[2:3], s42, v0
                                        ; implicit-def: $vgpr0
	s_and_saveexec_b64 s[10:11], s[2:3]
	s_xor_b64 s[2:3], exec, s[10:11]
; %bb.116:                              ;   in Loop: Header=BB81_8 Depth=1
	v_bfe_u32 v0, v1, 16, 1
	v_add3_u32 v0, v1, v0, s43
                                        ; implicit-def: $vgpr1
; %bb.117:                              ;   in Loop: Header=BB81_8 Depth=1
	s_andn2_saveexec_b64 s[10:11], s[2:3]
; %bb.118:                              ;   in Loop: Header=BB81_8 Depth=1
	v_mov_b32_e32 v3, v9
	v_or_b32_e32 v0, 0x10000, v1
	v_cmp_eq_u32_sdwa s[2:3], v1, v3 src0_sel:WORD_0 src1_sel:DWORD
	s_nop 1
	v_cndmask_b32_e64 v0, v0, v1, s[2:3]
; %bb.119:                              ;   in Loop: Header=BB81_8 Depth=1
	s_or_b64 exec, exec, s[10:11]
	v_mov_b32_e32 v5, v9
	v_add_u32_e32 v4, s39, v2
	v_lshl_add_u64 v[4:5], v[4:5], 1, s[28:29]
	global_store_short_d16_hi v[4:5], v0, off
	v_add_u32_e32 v0, 2, v8
	v_cmp_gt_u32_e64 s[2:3], s22, v0
	s_and_b64 exec, exec, s[2:3]
	s_cbranch_execz .LBB81_145
; %bb.120:                              ;   in Loop: Header=BB81_8 Depth=1
	scratch_load_dwordx4 v[4:7], off, off offset:1024
	s_waitcnt vmcnt(0)
	v_mul_f32_e32 v1, s23, v4
	v_mul_f32_e32 v3, s33, v1
	v_and_b32_e32 v1, 0x7f800000, v3
	v_cmp_ne_u32_e64 s[2:3], s42, v1
                                        ; implicit-def: $vgpr1
	s_and_saveexec_b64 s[10:11], s[2:3]
	s_xor_b64 s[2:3], exec, s[10:11]
; %bb.121:                              ;   in Loop: Header=BB81_8 Depth=1
	v_bfe_u32 v1, v3, 16, 1
	v_add3_u32 v1, v3, v1, s43
                                        ; implicit-def: $vgpr3
; %bb.122:                              ;   in Loop: Header=BB81_8 Depth=1
	s_andn2_saveexec_b64 s[10:11], s[2:3]
; %bb.123:                              ;   in Loop: Header=BB81_8 Depth=1
	v_mov_b32_e32 v5, v9
	v_or_b32_e32 v1, 0x10000, v3
	v_cmp_eq_u32_sdwa s[2:3], v3, v5 src0_sel:WORD_0 src1_sel:DWORD
	s_nop 1
	v_cndmask_b32_e64 v1, v1, v3, s[2:3]
; %bb.124:                              ;   in Loop: Header=BB81_8 Depth=1
	s_or_b64 exec, exec, s[10:11]
	v_mov_b32_e32 v5, v9
	v_add_u32_e32 v4, s39, v0
	v_add_u32_e32 v0, 3, v8
	v_lshl_add_u64 v[4:5], v[4:5], 1, s[28:29]
	v_cmp_gt_u32_e64 s[2:3], s22, v0
	global_store_short_d16_hi v[4:5], v1, off
	s_and_b64 exec, exec, s[2:3]
	s_cbranch_execz .LBB81_145
; %bb.125:                              ;   in Loop: Header=BB81_8 Depth=1
	scratch_load_dwordx4 v[4:7], off, off offset:1088
	s_waitcnt vmcnt(0)
	v_mul_f32_e32 v1, s23, v4
	v_mul_f32_e32 v3, s33, v1
	v_and_b32_e32 v1, 0x7f800000, v3
	v_cmp_ne_u32_e64 s[2:3], s42, v1
                                        ; implicit-def: $vgpr1
	s_and_saveexec_b64 s[10:11], s[2:3]
	s_xor_b64 s[2:3], exec, s[10:11]
; %bb.126:                              ;   in Loop: Header=BB81_8 Depth=1
	v_bfe_u32 v1, v3, 16, 1
	v_add3_u32 v1, v3, v1, s43
                                        ; implicit-def: $vgpr3
; %bb.127:                              ;   in Loop: Header=BB81_8 Depth=1
	s_andn2_saveexec_b64 s[10:11], s[2:3]
; %bb.128:                              ;   in Loop: Header=BB81_8 Depth=1
	v_mov_b32_e32 v5, v9
	v_or_b32_e32 v1, 0x10000, v3
	v_cmp_eq_u32_sdwa s[2:3], v3, v5 src0_sel:WORD_0 src1_sel:DWORD
	s_nop 1
	v_cndmask_b32_e64 v1, v1, v3, s[2:3]
; %bb.129:                              ;   in Loop: Header=BB81_8 Depth=1
	s_or_b64 exec, exec, s[10:11]
	v_mov_b32_e32 v5, v9
	v_add_u32_e32 v4, s39, v0
	v_add_u32_e32 v0, 4, v8
	v_lshl_add_u64 v[4:5], v[4:5], 1, s[28:29]
	v_cmp_gt_u32_e64 s[2:3], s22, v0
	global_store_short_d16_hi v[4:5], v1, off
	;; [unrolled: 32-line block ×4, first 2 shown]
	s_and_b64 exec, exec, s[2:3]
	s_cbranch_execz .LBB81_145
; %bb.140:                              ;   in Loop: Header=BB81_8 Depth=1
	scratch_load_dwordx4 v[4:7], off, off offset:1280
	s_waitcnt vmcnt(0)
	v_mul_f32_e32 v1, s23, v4
	v_mul_f32_e32 v3, s33, v1
	v_and_b32_e32 v1, 0x7f800000, v3
	v_cmp_ne_u32_e64 s[2:3], s42, v1
                                        ; implicit-def: $vgpr1
	s_and_saveexec_b64 s[10:11], s[2:3]
	s_xor_b64 s[2:3], exec, s[10:11]
; %bb.141:                              ;   in Loop: Header=BB81_8 Depth=1
	v_bfe_u32 v1, v3, 16, 1
	v_add3_u32 v1, v3, v1, s43
                                        ; implicit-def: $vgpr3
; %bb.142:                              ;   in Loop: Header=BB81_8 Depth=1
	s_andn2_saveexec_b64 s[10:11], s[2:3]
; %bb.143:                              ;   in Loop: Header=BB81_8 Depth=1
	v_mov_b32_e32 v5, v9
	v_or_b32_e32 v1, 0x10000, v3
	v_cmp_eq_u32_sdwa s[2:3], v3, v5 src0_sel:WORD_0 src1_sel:DWORD
	s_nop 1
	v_cndmask_b32_e64 v1, v1, v3, s[2:3]
; %bb.144:                              ;   in Loop: Header=BB81_8 Depth=1
	s_or_b64 exec, exec, s[10:11]
	v_mov_b32_e32 v5, v9
	v_add_u32_e32 v4, s39, v0
	v_lshl_add_u64 v[4:5], v[4:5], 1, s[28:29]
	global_store_short_d16_hi v[4:5], v1, off
.LBB81_145:                             ;   in Loop: Header=BB81_8 Depth=1
	s_or_b64 exec, exec, s[8:9]
	scratch_load_dwordx4 v[4:7], off, off offset:1344
	s_waitcnt vmcnt(0)
	v_mul_f32_e32 v0, s23, v4
	v_mul_f32_e32 v1, s33, v0
	v_and_b32_e32 v0, 0x7f800000, v1
	v_cmp_ne_u32_e64 s[2:3], s42, v0
                                        ; implicit-def: $vgpr0
	s_and_saveexec_b64 s[8:9], s[2:3]
	s_xor_b64 s[2:3], exec, s[8:9]
; %bb.146:                              ;   in Loop: Header=BB81_8 Depth=1
	v_bfe_u32 v0, v1, 16, 1
	v_add3_u32 v0, v1, v0, s43
                                        ; implicit-def: $vgpr1
; %bb.147:                              ;   in Loop: Header=BB81_8 Depth=1
	s_andn2_saveexec_b64 s[8:9], s[2:3]
; %bb.148:                              ;   in Loop: Header=BB81_8 Depth=1
	v_mov_b32_e32 v3, v9
	v_or_b32_e32 v0, 0x10000, v1
	v_cmp_eq_u32_sdwa s[2:3], v1, v3 src0_sel:WORD_0 src1_sel:DWORD
	s_nop 1
	v_cndmask_b32_e64 v0, v0, v1, s[2:3]
; %bb.149:                              ;   in Loop: Header=BB81_8 Depth=1
	s_or_b64 exec, exec, s[8:9]
	v_mov_b32_e32 v5, v9
	v_add_u32_e32 v4, s40, v8
	v_mov_b32_e32 v1, v9
	v_lshl_add_u64 v[4:5], v[4:5], 1, s[28:29]
	scratch_store_dwordx2 off, v[0:1], off offset:1904 ; 8-byte Folded Spill
	global_store_short_d16_hi v[4:5], v0, off
	s_and_b64 exec, exec, vcc
	s_cbranch_execz .LBB81_7
; %bb.150:                              ;   in Loop: Header=BB81_8 Depth=1
	scratch_load_dwordx4 v[4:7], off, off offset:1408
	s_waitcnt vmcnt(0)
	v_mul_f32_e32 v0, s23, v4
	v_mul_f32_e32 v1, s33, v0
	v_and_b32_e32 v0, 0x7f800000, v1
	v_cmp_ne_u32_e32 vcc, s42, v0
                                        ; implicit-def: $vgpr0
	s_and_saveexec_b64 s[2:3], vcc
	s_xor_b64 s[2:3], exec, s[2:3]
; %bb.151:                              ;   in Loop: Header=BB81_8 Depth=1
	v_bfe_u32 v0, v1, 16, 1
	v_add3_u32 v0, v1, v0, s43
                                        ; implicit-def: $vgpr1
; %bb.152:                              ;   in Loop: Header=BB81_8 Depth=1
	s_andn2_saveexec_b64 s[2:3], s[2:3]
	s_cbranch_execz .LBB81_154
; %bb.153:                              ;   in Loop: Header=BB81_8 Depth=1
	scratch_load_dwordx2 v[4:5], off, off offset:1904 ; 8-byte Folded Reload
	v_or_b32_e32 v0, 0x10000, v1
	s_waitcnt vmcnt(0)
	v_cmp_eq_u32_sdwa vcc, v1, v5 src0_sel:WORD_0 src1_sel:DWORD
	s_nop 1
	v_cndmask_b32_e32 v0, v0, v1, vcc
.LBB81_154:                             ;   in Loop: Header=BB81_8 Depth=1
	s_or_b64 exec, exec, s[2:3]
	scratch_load_dwordx2 v[4:5], off, off offset:1904 ; 8-byte Folded Reload
	v_add_u32_e32 v2, s40, v2
	s_waitcnt vmcnt(0)
	v_mov_b32_e32 v3, v5
	v_mov_b32_e32 v1, v5
	v_lshl_add_u64 v[2:3], v[2:3], 1, s[28:29]
	scratch_store_dwordx2 off, v[0:1], off offset:1904 ; 8-byte Folded Spill
	global_store_short_d16_hi v[2:3], v0, off
	v_add_u32_e32 v0, 2, v8
	v_cmp_gt_u32_e32 vcc, s22, v0
	s_and_b64 exec, exec, vcc
	s_cbranch_execz .LBB81_7
; %bb.155:                              ;   in Loop: Header=BB81_8 Depth=1
	scratch_load_dwordx4 v[2:5], off, off offset:1472
	s_waitcnt vmcnt(0)
	v_mul_f32_e32 v1, s23, v2
	v_mul_f32_e32 v2, s33, v1
	v_and_b32_e32 v1, 0x7f800000, v2
	v_cmp_ne_u32_e32 vcc, s42, v1
                                        ; implicit-def: $vgpr1
	s_and_saveexec_b64 s[2:3], vcc
	s_xor_b64 s[2:3], exec, s[2:3]
; %bb.156:                              ;   in Loop: Header=BB81_8 Depth=1
	v_bfe_u32 v1, v2, 16, 1
	v_add3_u32 v1, v2, v1, s43
                                        ; implicit-def: $vgpr2
; %bb.157:                              ;   in Loop: Header=BB81_8 Depth=1
	s_andn2_saveexec_b64 s[2:3], s[2:3]
	s_cbranch_execz .LBB81_159
; %bb.158:                              ;   in Loop: Header=BB81_8 Depth=1
	scratch_load_dwordx2 v[4:5], off, off offset:1904 ; 8-byte Folded Reload
	v_or_b32_e32 v1, 0x10000, v2
	s_waitcnt vmcnt(0)
	v_cmp_eq_u32_sdwa vcc, v2, v5 src0_sel:WORD_0 src1_sel:DWORD
	s_nop 1
	v_cndmask_b32_e32 v1, v1, v2, vcc
.LBB81_159:                             ;   in Loop: Header=BB81_8 Depth=1
	s_or_b64 exec, exec, s[2:3]
	scratch_load_dwordx2 v[2:3], off, off offset:1904 ; 8-byte Folded Reload
	v_add_u32_e32 v4, s40, v0
	v_add_u32_e32 v0, 3, v8
	v_cmp_gt_u32_e32 vcc, s22, v0
	s_waitcnt vmcnt(0)
	v_mov_b32_e32 v5, v3
	scratch_store_dwordx2 off, v[2:3], off offset:1904 ; 8-byte Folded Spill
	v_lshl_add_u64 v[2:3], v[4:5], 1, s[28:29]
	global_store_short_d16_hi v[2:3], v1, off
	s_and_b64 exec, exec, vcc
	s_cbranch_execz .LBB81_7
; %bb.160:                              ;   in Loop: Header=BB81_8 Depth=1
	scratch_load_dwordx4 v[2:5], off, off offset:1536
	s_waitcnt vmcnt(0)
	v_mul_f32_e32 v1, s23, v2
	v_mul_f32_e32 v2, s33, v1
	v_and_b32_e32 v1, 0x7f800000, v2
	v_cmp_ne_u32_e32 vcc, s42, v1
                                        ; implicit-def: $vgpr1
	s_and_saveexec_b64 s[2:3], vcc
	s_xor_b64 s[2:3], exec, s[2:3]
; %bb.161:                              ;   in Loop: Header=BB81_8 Depth=1
	v_bfe_u32 v1, v2, 16, 1
	v_add3_u32 v1, v2, v1, s43
                                        ; implicit-def: $vgpr2
; %bb.162:                              ;   in Loop: Header=BB81_8 Depth=1
	s_andn2_saveexec_b64 s[2:3], s[2:3]
	s_cbranch_execz .LBB81_164
; %bb.163:                              ;   in Loop: Header=BB81_8 Depth=1
	scratch_load_dwordx2 v[4:5], off, off offset:1904 ; 8-byte Folded Reload
	v_or_b32_e32 v1, 0x10000, v2
	s_waitcnt vmcnt(0)
	v_cmp_eq_u32_sdwa vcc, v2, v5 src0_sel:WORD_0 src1_sel:DWORD
	s_nop 1
	v_cndmask_b32_e32 v1, v1, v2, vcc
.LBB81_164:                             ;   in Loop: Header=BB81_8 Depth=1
	s_or_b64 exec, exec, s[2:3]
	scratch_load_dwordx2 v[2:3], off, off offset:1904 ; 8-byte Folded Reload
	v_add_u32_e32 v4, s40, v0
	v_add_u32_e32 v0, 4, v8
	v_cmp_gt_u32_e32 vcc, s22, v0
	s_waitcnt vmcnt(0)
	v_mov_b32_e32 v5, v3
	scratch_store_dwordx2 off, v[2:3], off offset:1904 ; 8-byte Folded Spill
	v_lshl_add_u64 v[2:3], v[4:5], 1, s[28:29]
	global_store_short_d16_hi v[2:3], v1, off
	;; [unrolled: 37-line block ×4, first 2 shown]
	s_and_b64 exec, exec, vcc
	s_cbranch_execz .LBB81_7
; %bb.175:                              ;   in Loop: Header=BB81_8 Depth=1
	scratch_load_dwordx4 v[2:5], off, off offset:1728
	s_waitcnt vmcnt(0)
	v_mul_f32_e32 v1, s23, v2
	v_mul_f32_e32 v2, s33, v1
	v_and_b32_e32 v1, 0x7f800000, v2
	v_cmp_ne_u32_e32 vcc, s42, v1
                                        ; implicit-def: $vgpr1
	s_and_saveexec_b64 s[2:3], vcc
	s_xor_b64 s[2:3], exec, s[2:3]
; %bb.176:                              ;   in Loop: Header=BB81_8 Depth=1
	v_bfe_u32 v1, v2, 16, 1
	v_add3_u32 v1, v2, v1, s43
                                        ; implicit-def: $vgpr2
; %bb.177:                              ;   in Loop: Header=BB81_8 Depth=1
	s_andn2_saveexec_b64 s[2:3], s[2:3]
	s_cbranch_execz .LBB81_6
; %bb.178:                              ;   in Loop: Header=BB81_8 Depth=1
	scratch_load_dwordx2 v[4:5], off, off offset:1904 ; 8-byte Folded Reload
	v_or_b32_e32 v1, 0x10000, v2
	s_waitcnt vmcnt(0)
	v_cmp_eq_u32_sdwa vcc, v2, v5 src0_sel:WORD_0 src1_sel:DWORD
	s_nop 1
	v_cndmask_b32_e32 v1, v1, v2, vcc
	s_branch .LBB81_6
.LBB81_179:
	s_endpgm
	.section	.rodata,"a",@progbits
	.p2align	6, 0x0
	.amdhsa_kernel _ZN5aiter13wvSplitKQ_hf_I14__hip_bfloat16hLi64ELi7ELi16ELi16ELi1ELi4EEEviiiPKT0_S4_PT_PKfS8_ii
		.amdhsa_group_segment_fixed_size 65536
		.amdhsa_private_segment_fixed_size 3904
		.amdhsa_kernarg_size 64
		.amdhsa_user_sgpr_count 2
		.amdhsa_user_sgpr_dispatch_ptr 0
		.amdhsa_user_sgpr_queue_ptr 0
		.amdhsa_user_sgpr_kernarg_segment_ptr 1
		.amdhsa_user_sgpr_dispatch_id 0
		.amdhsa_user_sgpr_kernarg_preload_length 0
		.amdhsa_user_sgpr_kernarg_preload_offset 0
		.amdhsa_user_sgpr_private_segment_size 0
		.amdhsa_uses_dynamic_stack 0
		.amdhsa_enable_private_segment 1
		.amdhsa_system_sgpr_workgroup_id_x 1
		.amdhsa_system_sgpr_workgroup_id_y 0
		.amdhsa_system_sgpr_workgroup_id_z 0
		.amdhsa_system_sgpr_workgroup_info 0
		.amdhsa_system_vgpr_workitem_id 1
		.amdhsa_next_free_vgpr 128
		.amdhsa_next_free_sgpr 45
		.amdhsa_accum_offset 128
		.amdhsa_reserve_vcc 1
		.amdhsa_float_round_mode_32 0
		.amdhsa_float_round_mode_16_64 0
		.amdhsa_float_denorm_mode_32 3
		.amdhsa_float_denorm_mode_16_64 3
		.amdhsa_dx10_clamp 1
		.amdhsa_ieee_mode 1
		.amdhsa_fp16_overflow 0
		.amdhsa_tg_split 0
		.amdhsa_exception_fp_ieee_invalid_op 0
		.amdhsa_exception_fp_denorm_src 0
		.amdhsa_exception_fp_ieee_div_zero 0
		.amdhsa_exception_fp_ieee_overflow 0
		.amdhsa_exception_fp_ieee_underflow 0
		.amdhsa_exception_fp_ieee_inexact 0
		.amdhsa_exception_int_div_zero 0
	.end_amdhsa_kernel
	.section	.text._ZN5aiter13wvSplitKQ_hf_I14__hip_bfloat16hLi64ELi7ELi16ELi16ELi1ELi4EEEviiiPKT0_S4_PT_PKfS8_ii,"axG",@progbits,_ZN5aiter13wvSplitKQ_hf_I14__hip_bfloat16hLi64ELi7ELi16ELi16ELi1ELi4EEEviiiPKT0_S4_PT_PKfS8_ii,comdat
.Lfunc_end81:
	.size	_ZN5aiter13wvSplitKQ_hf_I14__hip_bfloat16hLi64ELi7ELi16ELi16ELi1ELi4EEEviiiPKT0_S4_PT_PKfS8_ii, .Lfunc_end81-_ZN5aiter13wvSplitKQ_hf_I14__hip_bfloat16hLi64ELi7ELi16ELi16ELi1ELi4EEEviiiPKT0_S4_PT_PKfS8_ii
                                        ; -- End function
	.section	.AMDGPU.csdata,"",@progbits
; Kernel info:
; codeLenInByte = 13120
; NumSgprs: 51
; NumVgprs: 128
; NumAgprs: 0
; TotalNumVgprs: 128
; ScratchSize: 3904
; MemoryBound: 1
; FloatMode: 240
; IeeeMode: 1
; LDSByteSize: 65536 bytes/workgroup (compile time only)
; SGPRBlocks: 6
; VGPRBlocks: 15
; NumSGPRsForWavesPerEU: 51
; NumVGPRsForWavesPerEU: 128
; AccumOffset: 128
; Occupancy: 4
; WaveLimiterHint : 1
; COMPUTE_PGM_RSRC2:SCRATCH_EN: 1
; COMPUTE_PGM_RSRC2:USER_SGPR: 2
; COMPUTE_PGM_RSRC2:TRAP_HANDLER: 0
; COMPUTE_PGM_RSRC2:TGID_X_EN: 1
; COMPUTE_PGM_RSRC2:TGID_Y_EN: 0
; COMPUTE_PGM_RSRC2:TGID_Z_EN: 0
; COMPUTE_PGM_RSRC2:TIDIG_COMP_CNT: 1
; COMPUTE_PGM_RSRC3_GFX90A:ACCUM_OFFSET: 31
; COMPUTE_PGM_RSRC3_GFX90A:TG_SPLIT: 0
	.section	.text._ZN5aiter14HGEMV_WFPerRowILi64ELi512ELi4ELi8EEEviiPKDF16_iS2_PDF16_,"axG",@progbits,_ZN5aiter14HGEMV_WFPerRowILi64ELi512ELi4ELi8EEEviiPKDF16_iS2_PDF16_,comdat
	.protected	_ZN5aiter14HGEMV_WFPerRowILi64ELi512ELi4ELi8EEEviiPKDF16_iS2_PDF16_ ; -- Begin function _ZN5aiter14HGEMV_WFPerRowILi64ELi512ELi4ELi8EEEviiPKDF16_iS2_PDF16_
	.globl	_ZN5aiter14HGEMV_WFPerRowILi64ELi512ELi4ELi8EEEviiPKDF16_iS2_PDF16_
	.p2align	8
	.type	_ZN5aiter14HGEMV_WFPerRowILi64ELi512ELi4ELi8EEEviiPKDF16_iS2_PDF16_,@function
_ZN5aiter14HGEMV_WFPerRowILi64ELi512ELi4ELi8EEEviiPKDF16_iS2_PDF16_: ; @_ZN5aiter14HGEMV_WFPerRowILi64ELi512ELi4ELi8EEEviiPKDF16_iS2_PDF16_
; %bb.0:
	s_load_dwordx2 s[8:9], s[0:1], 0x0
	v_bfe_u32 v1, v0, 10, 10
	v_lshlrev_b32_e32 v1, 2, v1
	v_lshl_add_u32 v2, s2, 5, v1
	s_waitcnt lgkmcnt(0)
	v_cmp_gt_i32_e32 vcc, s8, v2
	s_and_saveexec_b64 s[2:3], vcc
	s_cbranch_execz .LBB82_9
; %bb.1:
	v_and_b32_e32 v14, 0x3ff, v0
	v_mbcnt_lo_u32_b32 v0, -1, 0
	v_mbcnt_hi_u32_b32 v0, -1, v0
	v_and_b32_e32 v1, 63, v0
	v_cmp_gt_u32_e64 s[2:3], 32, v1
	s_load_dword s12, s[0:1], 0x28
	s_load_dwordx2 s[10:11], s[0:1], 0x8
	s_load_dwordx4 s[4:7], s[0:1], 0x18
	v_cndmask_b32_e64 v3, 0, 1, s[2:3]
	v_lshlrev_b32_e32 v3, 5, v3
	v_cmp_gt_u32_e64 s[2:3], 48, v1
	v_add_lshl_u32 v15, v3, v0, 2
	s_waitcnt lgkmcnt(0)
	s_lshl_b32 s18, s12, 5
	v_cndmask_b32_e64 v3, 0, 1, s[2:3]
	v_lshlrev_b32_e32 v3, 4, v3
	v_cmp_gt_u32_e64 s[2:3], 56, v1
	v_add_lshl_u32 v16, v3, v0, 2
	v_mul_lo_u32 v21, s9, v2
	v_cndmask_b32_e64 v3, 0, 1, s[2:3]
	v_lshlrev_b32_e32 v3, 3, v3
	v_cmp_gt_u32_e64 s[2:3], 60, v1
	v_add_lshl_u32 v17, v3, v0, 2
	s_mul_i32 s12, s12, s9
	v_cndmask_b32_e64 v3, 0, 1, s[2:3]
	v_lshlrev_b32_e32 v3, 2, v3
	v_cmp_gt_u32_e64 s[2:3], 62, v1
	v_add_lshl_u32 v18, v3, v0, 2
	v_cmp_gt_i32_e32 vcc, s9, v14
	v_cndmask_b32_e64 v3, 0, 1, s[2:3]
	v_lshlrev_b32_e32 v3, 1, v3
	v_cmp_ne_u32_e64 s[2:3], 63, v1
	v_add_lshl_u32 v19, v3, v0, 2
	v_mov_b32_e32 v1, 0
	v_addc_co_u32_e64 v0, s[2:3], 0, v0, s[2:3]
	v_lshlrev_b32_e32 v20, 2, v0
	v_lshlrev_b32_e32 v0, 1, v14
	v_add_u32_e32 v3, 2, v2
	v_lshl_add_u64 v[0:1], v[0:1], 0, s[4:5]
	s_mov_b64 s[2:3], 0x380
	v_mul_lo_u32 v23, s9, v3
	v_add_u32_e32 v3, 3, v2
	v_cmp_eq_u32_e64 s[0:1], 0, v14
	v_lshl_add_u64 v[0:1], v[0:1], 0, s[2:3]
	s_lshl_b32 s19, s12, 5
	v_add_u32_e32 v22, s9, v21
	v_mul_lo_u32 v24, s9, v3
	s_mov_b64 s[4:5], 0
	s_mov_b64 s[12:13], 0x400
	s_branch .LBB82_3
.LBB82_2:                               ;   in Loop: Header=BB82_3 Depth=1
	s_or_b64 exec, exec, s[2:3]
	v_add_u32_e32 v2, s18, v2
	v_cmp_le_i32_e64 s[2:3], s8, v2
	v_add_u32_e32 v21, s19, v21
	v_add_u32_e32 v22, s19, v22
	;; [unrolled: 1-line block ×3, first 2 shown]
	s_or_b64 s[4:5], s[2:3], s[4:5]
	v_add_u32_e32 v24, s19, v24
	s_andn2_b64 exec, exec, s[4:5]
	s_cbranch_execz .LBB82_9
.LBB82_3:                               ; =>This Loop Header: Depth=1
                                        ;     Child Loop BB82_5 Depth 2
	v_mov_b32_e32 v5, 0
	v_mov_b32_e32 v4, 0
	s_waitcnt lgkmcnt(2)
	v_mov_b32_e32 v9, 0
	v_mov_b32_e32 v8, 0
	s_waitcnt lgkmcnt(0)
	v_mov_b32_e32 v11, 0
	v_mov_b32_e32 v10, 0
	;; [unrolled: 1-line block ×4, first 2 shown]
	s_and_saveexec_b64 s[14:15], vcc
	s_cbranch_execz .LBB82_7
; %bb.4:                                ;   in Loop: Header=BB82_3 Depth=1
	v_mov_b32_e32 v6, 0
	s_mov_b64 s[16:17], 0
	v_mov_b64_e32 v[12:13], v[0:1]
	v_mov_b32_e32 v3, v14
	v_mov_b32_e32 v7, v6
	;; [unrolled: 1-line block ×8, first 2 shown]
.LBB82_5:                               ;   Parent Loop BB82_3 Depth=1
                                        ; =>  This Inner Loop Header: Depth=2
	v_add_u32_e32 v26, v21, v3
	global_load_ushort v25, v[12:13], off offset:-896
	global_load_ushort v34, v[12:13], off offset:-768
	;; [unrolled: 1-line block ×7, first 2 shown]
	global_load_ushort v40, v[12:13], off
	v_add_u32_e32 v28, v22, v3
	v_add_u32_e32 v30, v23, v3
	;; [unrolled: 1-line block ×3, first 2 shown]
	v_ashrrev_i32_e32 v27, 31, v26
	v_ashrrev_i32_e32 v29, 31, v28
	;; [unrolled: 1-line block ×4, first 2 shown]
	v_lshl_add_u64 v[26:27], v[26:27], 1, s[10:11]
	v_lshl_add_u64 v[28:29], v[28:29], 1, s[10:11]
	;; [unrolled: 1-line block ×4, first 2 shown]
	global_load_ushort v41, v[26:27], off
	global_load_ushort v42, v[26:27], off offset:128
	global_load_ushort v43, v[26:27], off offset:256
	;; [unrolled: 1-line block ×7, first 2 shown]
	global_load_ushort v49, v[28:29], off
	global_load_ushort v50, v[28:29], off offset:128
	global_load_ushort v51, v[28:29], off offset:256
	global_load_ushort v52, v[28:29], off offset:384
	global_load_ushort v53, v[28:29], off offset:512
	global_load_ushort v54, v[28:29], off offset:640
	global_load_ushort v55, v[28:29], off offset:768
                                        ; kill: killed $vgpr26_vgpr27
	global_load_ushort v56, v[28:29], off offset:896
	global_load_ushort v57, v[30:31], off
	global_load_ushort v58, v[30:31], off offset:128
	global_load_ushort v59, v[30:31], off offset:256
	;; [unrolled: 1-line block ×7, first 2 shown]
	global_load_ushort v65, v[32:33], off
	global_load_ushort v66, v[32:33], off offset:128
	global_load_ushort v67, v[32:33], off offset:256
	;; [unrolled: 1-line block ×5, first 2 shown]
                                        ; kill: killed $vgpr28_vgpr29
                                        ; kill: killed $vgpr30_vgpr31
	global_load_ushort v71, v[32:33], off offset:768
	global_load_ushort v72, v[32:33], off offset:896
	v_add_u32_e32 v3, 0x200, v3
	v_cmp_le_i32_e64 s[2:3], s9, v3
	v_lshl_add_u64 v[12:13], v[12:13], 0, s[12:13]
	s_or_b64 s[16:17], s[2:3], s[16:17]
	s_waitcnt vmcnt(39)
	v_cvt_f32_f16_e32 v26, v25
	s_waitcnt vmcnt(38)
	v_cvt_f32_f16_e32 v27, v34
	s_waitcnt vmcnt(37)
	v_cvt_f32_f16_e32 v28, v35
	s_waitcnt vmcnt(36)
	v_cvt_f32_f16_e32 v29, v36
	s_waitcnt vmcnt(35)
	v_cvt_f32_f16_e32 v30, v37
	s_waitcnt vmcnt(34)
	v_cvt_f32_f16_e32 v31, v38
	s_waitcnt vmcnt(31)
	v_cvt_f32_f16_e32 v34, v41
	s_waitcnt vmcnt(30)
	v_cvt_f32_f16_e32 v35, v42
	s_waitcnt vmcnt(29)
	v_cvt_f32_f16_e32 v36, v43
	s_waitcnt vmcnt(28)
	v_cvt_f32_f16_e32 v37, v44
	s_waitcnt vmcnt(27)
	v_cvt_f32_f16_e32 v38, v45
	s_waitcnt vmcnt(23)
	v_cvt_f32_f16_e32 v42, v49
	s_waitcnt vmcnt(22)
	v_cvt_f32_f16_e32 v43, v50
	s_waitcnt vmcnt(21)
	v_cvt_f32_f16_e32 v44, v51
	s_waitcnt vmcnt(20)
	v_cvt_f32_f16_e32 v45, v52
	s_waitcnt vmcnt(15)
	v_cvt_f32_f16_e32 v50, v57
	s_waitcnt vmcnt(14)
	v_cvt_f32_f16_e32 v51, v58
	s_waitcnt vmcnt(13)
	v_cvt_f32_f16_e32 v52, v59
	s_waitcnt vmcnt(7)
	v_cvt_f32_f16_e32 v58, v65
	s_waitcnt vmcnt(6)
	v_cvt_f32_f16_e32 v59, v66
	v_cvt_f32_f16_e32 v32, v39
	v_cvt_f32_f16_e32 v33, v40
	;; [unrolled: 1-line block ×8, first 2 shown]
	s_waitcnt vmcnt(5)
	v_cvt_f32_f16_e32 v60, v67
	s_waitcnt vmcnt(4)
	v_cvt_f32_f16_e32 v61, v68
	v_cvt_f32_f16_e32 v41, v48
	;; [unrolled: 1-line block ×6, first 2 shown]
	s_waitcnt vmcnt(3)
	v_cvt_f32_f16_e32 v62, v69
	s_waitcnt vmcnt(2)
	v_cvt_f32_f16_e32 v63, v70
	v_cvt_f32_f16_e32 v57, v64
	s_waitcnt vmcnt(1)
	v_cvt_f32_f16_e32 v64, v71
	s_waitcnt vmcnt(0)
	v_cvt_f32_f16_e32 v65, v72
	v_pk_fma_f32 v[6:7], v[26:27], v[34:35], v[6:7]
	v_pk_fma_f32 v[10:11], v[26:27], v[42:43], v[10:11]
	;; [unrolled: 1-line block ×16, first 2 shown]
	s_andn2_b64 exec, exec, s[16:17]
	s_cbranch_execnz .LBB82_5
; %bb.6:                                ;   in Loop: Header=BB82_3 Depth=1
	s_or_b64 exec, exec, s[16:17]
.LBB82_7:                               ;   in Loop: Header=BB82_3 Depth=1
	s_or_b64 exec, exec, s[14:15]
	v_mov_b32_e32 v12, v7
	v_pk_add_f32 v[6:7], v[6:7], v[12:13] op_sel_hi:[1,0]
	v_mov_b32_e32 v12, v11
	v_pk_add_f32 v[10:11], v[10:11], v[12:13] op_sel_hi:[1,0]
	;; [unrolled: 2-line block ×4, first 2 shown]
	ds_bpermute_b32 v12, v15, v8
	ds_bpermute_b32 v13, v15, v4
	ds_bpermute_b32 v26, v15, v6
	ds_bpermute_b32 v27, v15, v10
	v_mov_b32_e32 v9, v4
	v_mov_b32_e32 v7, v10
	s_waitcnt lgkmcnt(2)
	v_pk_add_f32 v[4:5], v[8:9], v[12:13]
	ds_bpermute_b32 v10, v16, v4
	s_waitcnt lgkmcnt(1)
	v_pk_add_f32 v[6:7], v[6:7], v[26:27]
	ds_bpermute_b32 v8, v16, v6
	ds_bpermute_b32 v11, v16, v5
	ds_bpermute_b32 v9, v16, v7
	s_waitcnt lgkmcnt(1)
	v_pk_add_f32 v[4:5], v[4:5], v[10:11]
	s_waitcnt lgkmcnt(0)
	v_pk_add_f32 v[6:7], v[6:7], v[8:9]
	ds_bpermute_b32 v8, v17, v6
	ds_bpermute_b32 v10, v17, v4
	ds_bpermute_b32 v11, v17, v5
	ds_bpermute_b32 v9, v17, v7
	s_waitcnt lgkmcnt(1)
	v_pk_add_f32 v[4:5], v[4:5], v[10:11]
	s_waitcnt lgkmcnt(0)
	v_pk_add_f32 v[6:7], v[6:7], v[8:9]
	ds_bpermute_b32 v8, v18, v6
	;; [unrolled: 8-line block ×4, first 2 shown]
	ds_bpermute_b32 v9, v20, v7
	ds_bpermute_b32 v10, v20, v4
	;; [unrolled: 1-line block ×3, first 2 shown]
	s_and_saveexec_b64 s[2:3], s[0:1]
	s_cbranch_execz .LBB82_2
; %bb.8:                                ;   in Loop: Header=BB82_3 Depth=1
	s_waitcnt lgkmcnt(0)
	v_pk_add_f32 v[4:5], v[4:5], v[10:11]
	v_pk_add_f32 v[6:7], v[6:7], v[8:9]
	v_cvt_f16_f32_e32 v8, v5
	v_cvt_f16_f32_e32 v9, v4
	;; [unrolled: 1-line block ×4, first 2 shown]
	v_ashrrev_i32_e32 v3, 31, v2
	v_lshl_add_u64 v[4:5], v[2:3], 1, s[6:7]
	v_pack_b32_f16 v7, v9, v8
	v_pack_b32_f16 v6, v6, v10
	global_store_dwordx2 v[4:5], v[6:7], off
	s_branch .LBB82_2
.LBB82_9:
	s_endpgm
	.section	.rodata,"a",@progbits
	.p2align	6, 0x0
	.amdhsa_kernel _ZN5aiter14HGEMV_WFPerRowILi64ELi512ELi4ELi8EEEviiPKDF16_iS2_PDF16_
		.amdhsa_group_segment_fixed_size 0
		.amdhsa_private_segment_fixed_size 0
		.amdhsa_kernarg_size 296
		.amdhsa_user_sgpr_count 2
		.amdhsa_user_sgpr_dispatch_ptr 0
		.amdhsa_user_sgpr_queue_ptr 0
		.amdhsa_user_sgpr_kernarg_segment_ptr 1
		.amdhsa_user_sgpr_dispatch_id 0
		.amdhsa_user_sgpr_kernarg_preload_length 0
		.amdhsa_user_sgpr_kernarg_preload_offset 0
		.amdhsa_user_sgpr_private_segment_size 0
		.amdhsa_uses_dynamic_stack 0
		.amdhsa_enable_private_segment 0
		.amdhsa_system_sgpr_workgroup_id_x 1
		.amdhsa_system_sgpr_workgroup_id_y 0
		.amdhsa_system_sgpr_workgroup_id_z 0
		.amdhsa_system_sgpr_workgroup_info 0
		.amdhsa_system_vgpr_workitem_id 1
		.amdhsa_next_free_vgpr 73
		.amdhsa_next_free_sgpr 20
		.amdhsa_accum_offset 76
		.amdhsa_reserve_vcc 1
		.amdhsa_float_round_mode_32 0
		.amdhsa_float_round_mode_16_64 0
		.amdhsa_float_denorm_mode_32 3
		.amdhsa_float_denorm_mode_16_64 3
		.amdhsa_dx10_clamp 1
		.amdhsa_ieee_mode 1
		.amdhsa_fp16_overflow 0
		.amdhsa_tg_split 0
		.amdhsa_exception_fp_ieee_invalid_op 0
		.amdhsa_exception_fp_denorm_src 0
		.amdhsa_exception_fp_ieee_div_zero 0
		.amdhsa_exception_fp_ieee_overflow 0
		.amdhsa_exception_fp_ieee_underflow 0
		.amdhsa_exception_fp_ieee_inexact 0
		.amdhsa_exception_int_div_zero 0
	.end_amdhsa_kernel
	.section	.text._ZN5aiter14HGEMV_WFPerRowILi64ELi512ELi4ELi8EEEviiPKDF16_iS2_PDF16_,"axG",@progbits,_ZN5aiter14HGEMV_WFPerRowILi64ELi512ELi4ELi8EEEviiPKDF16_iS2_PDF16_,comdat
.Lfunc_end82:
	.size	_ZN5aiter14HGEMV_WFPerRowILi64ELi512ELi4ELi8EEEviiPKDF16_iS2_PDF16_, .Lfunc_end82-_ZN5aiter14HGEMV_WFPerRowILi64ELi512ELi4ELi8EEEviiPKDF16_iS2_PDF16_
                                        ; -- End function
	.section	.AMDGPU.csdata,"",@progbits
; Kernel info:
; codeLenInByte = 1780
; NumSgprs: 26
; NumVgprs: 73
; NumAgprs: 0
; TotalNumVgprs: 73
; ScratchSize: 0
; MemoryBound: 0
; FloatMode: 240
; IeeeMode: 1
; LDSByteSize: 0 bytes/workgroup (compile time only)
; SGPRBlocks: 3
; VGPRBlocks: 9
; NumSGPRsForWavesPerEU: 26
; NumVGPRsForWavesPerEU: 73
; AccumOffset: 76
; Occupancy: 6
; WaveLimiterHint : 1
; COMPUTE_PGM_RSRC2:SCRATCH_EN: 0
; COMPUTE_PGM_RSRC2:USER_SGPR: 2
; COMPUTE_PGM_RSRC2:TRAP_HANDLER: 0
; COMPUTE_PGM_RSRC2:TGID_X_EN: 1
; COMPUTE_PGM_RSRC2:TGID_Y_EN: 0
; COMPUTE_PGM_RSRC2:TGID_Z_EN: 0
; COMPUTE_PGM_RSRC2:TIDIG_COMP_CNT: 1
; COMPUTE_PGM_RSRC3_GFX90A:ACCUM_OFFSET: 18
; COMPUTE_PGM_RSRC3_GFX90A:TG_SPLIT: 0
	.section	.text._ZN5aiter14HGEMV_WFPerRowILi64ELi512ELi2ELi8EEEviiPKDF16_iS2_PDF16_,"axG",@progbits,_ZN5aiter14HGEMV_WFPerRowILi64ELi512ELi2ELi8EEEviiPKDF16_iS2_PDF16_,comdat
	.protected	_ZN5aiter14HGEMV_WFPerRowILi64ELi512ELi2ELi8EEEviiPKDF16_iS2_PDF16_ ; -- Begin function _ZN5aiter14HGEMV_WFPerRowILi64ELi512ELi2ELi8EEEviiPKDF16_iS2_PDF16_
	.globl	_ZN5aiter14HGEMV_WFPerRowILi64ELi512ELi2ELi8EEEviiPKDF16_iS2_PDF16_
	.p2align	8
	.type	_ZN5aiter14HGEMV_WFPerRowILi64ELi512ELi2ELi8EEEviiPKDF16_iS2_PDF16_,@function
_ZN5aiter14HGEMV_WFPerRowILi64ELi512ELi2ELi8EEEviiPKDF16_iS2_PDF16_: ; @_ZN5aiter14HGEMV_WFPerRowILi64ELi512ELi2ELi8EEEviiPKDF16_iS2_PDF16_
; %bb.0:
	s_load_dwordx2 s[8:9], s[0:1], 0x0
	v_bfe_u32 v1, v0, 10, 10
	v_lshlrev_b32_e32 v1, 1, v1
	v_lshl_add_u32 v2, s2, 4, v1
	s_waitcnt lgkmcnt(0)
	v_cmp_gt_i32_e32 vcc, s8, v2
	s_and_saveexec_b64 s[2:3], vcc
	s_cbranch_execz .LBB83_9
; %bb.1:
	v_and_b32_e32 v10, 0x3ff, v0
	v_mbcnt_lo_u32_b32 v0, -1, 0
	v_mbcnt_hi_u32_b32 v0, -1, v0
	v_and_b32_e32 v1, 63, v0
	v_cmp_gt_u32_e64 s[2:3], 32, v1
	s_load_dword s12, s[0:1], 0x28
	s_load_dwordx2 s[10:11], s[0:1], 0x8
	s_load_dwordx4 s[4:7], s[0:1], 0x18
	v_cndmask_b32_e64 v3, 0, 1, s[2:3]
	v_lshlrev_b32_e32 v3, 5, v3
	v_cmp_gt_u32_e64 s[2:3], 48, v1
	v_add_lshl_u32 v11, v3, v0, 2
	s_waitcnt lgkmcnt(0)
	s_lshl_b32 s18, s12, 4
	v_cndmask_b32_e64 v3, 0, 1, s[2:3]
	v_lshlrev_b32_e32 v3, 4, v3
	v_cmp_gt_u32_e64 s[2:3], 56, v1
	v_add_lshl_u32 v12, v3, v0, 2
	v_mul_lo_u32 v17, s9, v2
	v_cndmask_b32_e64 v3, 0, 1, s[2:3]
	v_lshlrev_b32_e32 v3, 3, v3
	v_cmp_gt_u32_e64 s[2:3], 60, v1
	v_add_lshl_u32 v13, v3, v0, 2
	s_mul_i32 s12, s12, s9
	v_cndmask_b32_e64 v3, 0, 1, s[2:3]
	v_lshlrev_b32_e32 v3, 2, v3
	v_cmp_gt_u32_e64 s[2:3], 62, v1
	v_add_lshl_u32 v14, v3, v0, 2
	v_cmp_gt_i32_e32 vcc, s9, v10
	v_cndmask_b32_e64 v3, 0, 1, s[2:3]
	v_lshlrev_b32_e32 v3, 1, v3
	v_cmp_ne_u32_e64 s[2:3], 63, v1
	v_add_lshl_u32 v15, v3, v0, 2
	v_mov_b32_e32 v1, 0
	v_addc_co_u32_e64 v0, s[2:3], 0, v0, s[2:3]
	v_lshlrev_b32_e32 v16, 2, v0
	v_lshlrev_b32_e32 v0, 1, v10
	v_lshl_add_u64 v[0:1], v[0:1], 0, s[4:5]
	s_mov_b64 s[2:3], 0x380
	v_cmp_eq_u32_e64 s[0:1], 0, v10
	v_lshl_add_u64 v[0:1], v[0:1], 0, s[2:3]
	s_lshl_b32 s19, s12, 4
	v_add_u32_e32 v18, s9, v17
	s_mov_b64 s[4:5], 0
	s_mov_b64 s[12:13], 0x400
	s_branch .LBB83_3
.LBB83_2:                               ;   in Loop: Header=BB83_3 Depth=1
	s_or_b64 exec, exec, s[2:3]
	v_add_u32_e32 v2, s18, v2
	v_cmp_le_i32_e64 s[2:3], s8, v2
	v_add_u32_e32 v17, s19, v17
	s_or_b64 s[4:5], s[2:3], s[4:5]
	v_add_u32_e32 v18, s19, v18
	s_andn2_b64 exec, exec, s[4:5]
	s_cbranch_execz .LBB83_9
.LBB83_3:                               ; =>This Loop Header: Depth=1
                                        ;     Child Loop BB83_5 Depth 2
	s_waitcnt lgkmcnt(0)
	v_mov_b32_e32 v7, 0
	v_mov_b32_e32 v6, 0
	;; [unrolled: 1-line block ×4, first 2 shown]
	s_and_saveexec_b64 s[14:15], vcc
	s_cbranch_execz .LBB83_7
; %bb.4:                                ;   in Loop: Header=BB83_3 Depth=1
	v_mov_b32_e32 v4, 0
	s_mov_b64 s[16:17], 0
	v_mov_b64_e32 v[8:9], v[0:1]
	v_mov_b32_e32 v3, v10
	v_mov_b32_e32 v5, v4
	;; [unrolled: 1-line block ×4, first 2 shown]
.LBB83_5:                               ;   Parent Loop BB83_3 Depth=1
                                        ; =>  This Inner Loop Header: Depth=2
	global_load_ushort v19, v[8:9], off offset:-896
	global_load_ushort v24, v[8:9], off offset:-768
	;; [unrolled: 1-line block ×7, first 2 shown]
	global_load_ushort v30, v[8:9], off
	v_add_u32_e32 v20, v17, v3
	v_add_u32_e32 v22, v18, v3
	v_ashrrev_i32_e32 v21, 31, v20
	v_ashrrev_i32_e32 v23, 31, v22
	v_lshl_add_u64 v[20:21], v[20:21], 1, s[10:11]
	v_lshl_add_u64 v[22:23], v[22:23], 1, s[10:11]
	global_load_ushort v31, v[20:21], off
	global_load_ushort v32, v[20:21], off offset:128
	global_load_ushort v33, v[20:21], off offset:256
	;; [unrolled: 1-line block ×7, first 2 shown]
	global_load_ushort v39, v[22:23], off
	global_load_ushort v40, v[22:23], off offset:128
	global_load_ushort v41, v[22:23], off offset:256
	;; [unrolled: 1-line block ×6, first 2 shown]
                                        ; kill: killed $vgpr20_vgpr21
	global_load_ushort v46, v[22:23], off offset:896
	v_add_u32_e32 v3, 0x200, v3
	v_cmp_le_i32_e64 s[2:3], s9, v3
	v_lshl_add_u64 v[8:9], v[8:9], 0, s[12:13]
	s_or_b64 s[16:17], s[2:3], s[16:17]
	s_waitcnt vmcnt(23)
	v_cvt_f32_f16_e32 v20, v19
	s_waitcnt vmcnt(22)
	v_cvt_f32_f16_e32 v21, v24
	;; [unrolled: 2-line block ×16, first 2 shown]
	v_cvt_f32_f16_e32 v32, v35
	v_cvt_f32_f16_e32 v35, v38
	s_waitcnt vmcnt(5)
	v_cvt_f32_f16_e32 v38, v41
	s_waitcnt vmcnt(4)
	;; [unrolled: 2-line block ×6, first 2 shown]
	v_cvt_f32_f16_e32 v43, v46
	v_pk_fma_f32 v[4:5], v[20:21], v[28:29], v[4:5]
	v_pk_fma_f32 v[6:7], v[20:21], v[36:37], v[6:7]
	;; [unrolled: 1-line block ×8, first 2 shown]
	s_andn2_b64 exec, exec, s[16:17]
	s_cbranch_execnz .LBB83_5
; %bb.6:                                ;   in Loop: Header=BB83_3 Depth=1
	s_or_b64 exec, exec, s[16:17]
.LBB83_7:                               ;   in Loop: Header=BB83_3 Depth=1
	s_or_b64 exec, exec, s[14:15]
	v_mov_b32_e32 v8, v5
	v_pk_add_f32 v[4:5], v[4:5], v[8:9] op_sel_hi:[1,0]
	v_mov_b32_e32 v8, v7
	v_pk_add_f32 v[6:7], v[6:7], v[8:9] op_sel_hi:[1,0]
	ds_bpermute_b32 v8, v11, v4
	ds_bpermute_b32 v9, v11, v6
	v_mov_b32_e32 v5, v6
	s_waitcnt lgkmcnt(0)
	v_pk_add_f32 v[4:5], v[4:5], v[8:9]
	ds_bpermute_b32 v6, v12, v4
	ds_bpermute_b32 v7, v12, v5
	s_waitcnt lgkmcnt(0)
	v_pk_add_f32 v[4:5], v[4:5], v[6:7]
	ds_bpermute_b32 v6, v13, v4
	ds_bpermute_b32 v7, v13, v5
	;; [unrolled: 4-line block ×5, first 2 shown]
	s_and_saveexec_b64 s[2:3], s[0:1]
	s_cbranch_execz .LBB83_2
; %bb.8:                                ;   in Loop: Header=BB83_3 Depth=1
	s_waitcnt lgkmcnt(0)
	v_pk_add_f32 v[4:5], v[4:5], v[6:7]
	v_ashrrev_i32_e32 v3, 31, v2
	v_cvt_f16_f32_e32 v6, v5
	v_cvt_f16_f32_e32 v7, v4
	v_lshl_add_u64 v[4:5], v[2:3], 1, s[6:7]
	v_pack_b32_f16 v3, v7, v6
	global_store_dword v[4:5], v3, off
	s_branch .LBB83_2
.LBB83_9:
	s_endpgm
	.section	.rodata,"a",@progbits
	.p2align	6, 0x0
	.amdhsa_kernel _ZN5aiter14HGEMV_WFPerRowILi64ELi512ELi2ELi8EEEviiPKDF16_iS2_PDF16_
		.amdhsa_group_segment_fixed_size 0
		.amdhsa_private_segment_fixed_size 0
		.amdhsa_kernarg_size 296
		.amdhsa_user_sgpr_count 2
		.amdhsa_user_sgpr_dispatch_ptr 0
		.amdhsa_user_sgpr_queue_ptr 0
		.amdhsa_user_sgpr_kernarg_segment_ptr 1
		.amdhsa_user_sgpr_dispatch_id 0
		.amdhsa_user_sgpr_kernarg_preload_length 0
		.amdhsa_user_sgpr_kernarg_preload_offset 0
		.amdhsa_user_sgpr_private_segment_size 0
		.amdhsa_uses_dynamic_stack 0
		.amdhsa_enable_private_segment 0
		.amdhsa_system_sgpr_workgroup_id_x 1
		.amdhsa_system_sgpr_workgroup_id_y 0
		.amdhsa_system_sgpr_workgroup_id_z 0
		.amdhsa_system_sgpr_workgroup_info 0
		.amdhsa_system_vgpr_workitem_id 1
		.amdhsa_next_free_vgpr 47
		.amdhsa_next_free_sgpr 20
		.amdhsa_accum_offset 48
		.amdhsa_reserve_vcc 1
		.amdhsa_float_round_mode_32 0
		.amdhsa_float_round_mode_16_64 0
		.amdhsa_float_denorm_mode_32 3
		.amdhsa_float_denorm_mode_16_64 3
		.amdhsa_dx10_clamp 1
		.amdhsa_ieee_mode 1
		.amdhsa_fp16_overflow 0
		.amdhsa_tg_split 0
		.amdhsa_exception_fp_ieee_invalid_op 0
		.amdhsa_exception_fp_denorm_src 0
		.amdhsa_exception_fp_ieee_div_zero 0
		.amdhsa_exception_fp_ieee_overflow 0
		.amdhsa_exception_fp_ieee_underflow 0
		.amdhsa_exception_fp_ieee_inexact 0
		.amdhsa_exception_int_div_zero 0
	.end_amdhsa_kernel
	.section	.text._ZN5aiter14HGEMV_WFPerRowILi64ELi512ELi2ELi8EEEviiPKDF16_iS2_PDF16_,"axG",@progbits,_ZN5aiter14HGEMV_WFPerRowILi64ELi512ELi2ELi8EEEviiPKDF16_iS2_PDF16_,comdat
.Lfunc_end83:
	.size	_ZN5aiter14HGEMV_WFPerRowILi64ELi512ELi2ELi8EEEviiPKDF16_iS2_PDF16_, .Lfunc_end83-_ZN5aiter14HGEMV_WFPerRowILi64ELi512ELi2ELi8EEEviiPKDF16_iS2_PDF16_
                                        ; -- End function
	.section	.AMDGPU.csdata,"",@progbits
; Kernel info:
; codeLenInByte = 1200
; NumSgprs: 26
; NumVgprs: 47
; NumAgprs: 0
; TotalNumVgprs: 47
; ScratchSize: 0
; MemoryBound: 0
; FloatMode: 240
; IeeeMode: 1
; LDSByteSize: 0 bytes/workgroup (compile time only)
; SGPRBlocks: 3
; VGPRBlocks: 5
; NumSGPRsForWavesPerEU: 26
; NumVGPRsForWavesPerEU: 47
; AccumOffset: 48
; Occupancy: 8
; WaveLimiterHint : 1
; COMPUTE_PGM_RSRC2:SCRATCH_EN: 0
; COMPUTE_PGM_RSRC2:USER_SGPR: 2
; COMPUTE_PGM_RSRC2:TRAP_HANDLER: 0
; COMPUTE_PGM_RSRC2:TGID_X_EN: 1
; COMPUTE_PGM_RSRC2:TGID_Y_EN: 0
; COMPUTE_PGM_RSRC2:TGID_Z_EN: 0
; COMPUTE_PGM_RSRC2:TIDIG_COMP_CNT: 1
; COMPUTE_PGM_RSRC3_GFX90A:ACCUM_OFFSET: 11
; COMPUTE_PGM_RSRC3_GFX90A:TG_SPLIT: 0
	.section	.text._ZN5aiter14HGEMV_WFPerRowILi64ELi512ELi1ELi8EEEviiPKDF16_iS2_PDF16_,"axG",@progbits,_ZN5aiter14HGEMV_WFPerRowILi64ELi512ELi1ELi8EEEviiPKDF16_iS2_PDF16_,comdat
	.protected	_ZN5aiter14HGEMV_WFPerRowILi64ELi512ELi1ELi8EEEviiPKDF16_iS2_PDF16_ ; -- Begin function _ZN5aiter14HGEMV_WFPerRowILi64ELi512ELi1ELi8EEEviiPKDF16_iS2_PDF16_
	.globl	_ZN5aiter14HGEMV_WFPerRowILi64ELi512ELi1ELi8EEEviiPKDF16_iS2_PDF16_
	.p2align	8
	.type	_ZN5aiter14HGEMV_WFPerRowILi64ELi512ELi1ELi8EEEviiPKDF16_iS2_PDF16_,@function
_ZN5aiter14HGEMV_WFPerRowILi64ELi512ELi1ELi8EEEviiPKDF16_iS2_PDF16_: ; @_ZN5aiter14HGEMV_WFPerRowILi64ELi512ELi1ELi8EEEviiPKDF16_iS2_PDF16_
; %bb.0:
	s_load_dwordx2 s[8:9], s[0:1], 0x0
	v_bfe_u32 v1, v0, 10, 10
	v_lshl_add_u32 v2, s2, 3, v1
	s_waitcnt lgkmcnt(0)
	v_cmp_gt_i32_e32 vcc, s8, v2
	s_and_saveexec_b64 s[2:3], vcc
	s_cbranch_execz .LBB84_9
; %bb.1:
	v_and_b32_e32 v8, 0x3ff, v0
	v_mbcnt_lo_u32_b32 v0, -1, 0
	v_mbcnt_hi_u32_b32 v0, -1, v0
	v_and_b32_e32 v1, 63, v0
	v_cmp_gt_u32_e64 s[2:3], 32, v1
	s_load_dword s12, s[0:1], 0x28
	s_load_dwordx2 s[10:11], s[0:1], 0x8
	s_load_dwordx4 s[4:7], s[0:1], 0x18
	v_cndmask_b32_e64 v3, 0, 1, s[2:3]
	v_lshlrev_b32_e32 v3, 5, v3
	v_cmp_gt_u32_e64 s[2:3], 48, v1
	v_add_lshl_u32 v9, v3, v0, 2
	s_waitcnt lgkmcnt(0)
	s_lshl_b32 s18, s12, 3
	v_cndmask_b32_e64 v3, 0, 1, s[2:3]
	v_lshlrev_b32_e32 v3, 4, v3
	v_cmp_gt_u32_e64 s[2:3], 56, v1
	v_add_lshl_u32 v10, v3, v0, 2
	s_mul_i32 s12, s12, s9
	v_cndmask_b32_e64 v3, 0, 1, s[2:3]
	v_lshlrev_b32_e32 v3, 3, v3
	v_cmp_gt_u32_e64 s[2:3], 60, v1
	v_add_lshl_u32 v11, v3, v0, 2
	v_cmp_gt_i32_e32 vcc, s9, v8
	v_cndmask_b32_e64 v3, 0, 1, s[2:3]
	v_lshlrev_b32_e32 v3, 2, v3
	v_cmp_gt_u32_e64 s[2:3], 62, v1
	v_add_lshl_u32 v12, v3, v0, 2
	v_cmp_eq_u32_e64 s[0:1], 0, v8
	v_cndmask_b32_e64 v3, 0, 1, s[2:3]
	v_lshlrev_b32_e32 v3, 1, v3
	v_cmp_ne_u32_e64 s[2:3], 63, v1
	v_add_lshl_u32 v13, v3, v0, 2
	v_mov_b32_e32 v1, 0
	v_addc_co_u32_e64 v0, s[2:3], 0, v0, s[2:3]
	v_lshlrev_b32_e32 v14, 2, v0
	v_lshlrev_b32_e32 v0, 1, v8
	v_lshl_add_u64 v[0:1], v[0:1], 0, s[4:5]
	s_mov_b64 s[2:3], 0x380
	v_lshl_add_u64 v[0:1], v[0:1], 0, s[2:3]
	v_mul_lo_u32 v15, s9, v2
	s_lshl_b32 s19, s12, 3
	s_mov_b64 s[4:5], 0
	s_mov_b64 s[12:13], 0x400
	s_branch .LBB84_3
.LBB84_2:                               ;   in Loop: Header=BB84_3 Depth=1
	s_or_b64 exec, exec, s[2:3]
	v_add_u32_e32 v2, s18, v2
	v_cmp_le_i32_e64 s[2:3], s8, v2
	s_or_b64 s[4:5], s[2:3], s[4:5]
	v_add_u32_e32 v15, s19, v15
	s_andn2_b64 exec, exec, s[4:5]
	s_cbranch_execz .LBB84_9
.LBB84_3:                               ; =>This Loop Header: Depth=1
                                        ;     Child Loop BB84_5 Depth 2
	v_mov_b32_e32 v5, 0
	s_waitcnt lgkmcnt(0)
	v_mov_b32_e32 v4, 0
	s_and_saveexec_b64 s[14:15], vcc
	s_cbranch_execz .LBB84_7
; %bb.4:                                ;   in Loop: Header=BB84_3 Depth=1
	v_mov_b32_e32 v4, 0
	s_mov_b64 s[16:17], 0
	v_mov_b64_e32 v[6:7], v[0:1]
	v_mov_b32_e32 v3, v8
	v_mov_b32_e32 v5, v4
.LBB84_5:                               ;   Parent Loop BB84_3 Depth=1
                                        ; =>  This Inner Loop Header: Depth=2
	global_load_ushort v18, v[6:7], off offset:-896
	global_load_ushort v19, v[6:7], off offset:-768
	;; [unrolled: 1-line block ×7, first 2 shown]
	global_load_ushort v25, v[6:7], off
	v_add_u32_e32 v16, v15, v3
	v_ashrrev_i32_e32 v17, 31, v16
	v_lshl_add_u64 v[16:17], v[16:17], 1, s[10:11]
	global_load_ushort v26, v[16:17], off
	global_load_ushort v27, v[16:17], off offset:128
	global_load_ushort v28, v[16:17], off offset:256
	;; [unrolled: 1-line block ×7, first 2 shown]
	v_add_u32_e32 v3, 0x200, v3
	v_cmp_le_i32_e64 s[2:3], s9, v3
	v_lshl_add_u64 v[6:7], v[6:7], 0, s[12:13]
	s_or_b64 s[16:17], s[2:3], s[16:17]
	s_waitcnt vmcnt(15)
	v_cvt_f32_f16_e32 v16, v18
	s_waitcnt vmcnt(14)
	v_cvt_f32_f16_e32 v17, v19
	s_waitcnt vmcnt(13)
	v_cvt_f32_f16_e32 v18, v20
	s_waitcnt vmcnt(12)
	v_cvt_f32_f16_e32 v19, v21
	s_waitcnt vmcnt(11)
	v_cvt_f32_f16_e32 v20, v22
	s_waitcnt vmcnt(10)
	v_cvt_f32_f16_e32 v21, v23
	s_waitcnt vmcnt(9)
	v_cvt_f32_f16_e32 v22, v24
	s_waitcnt vmcnt(8)
	v_cvt_f32_f16_e32 v23, v25
	s_waitcnt vmcnt(7)
	v_cvt_f32_f16_e32 v24, v26
	s_waitcnt vmcnt(6)
	v_cvt_f32_f16_e32 v25, v27
	s_waitcnt vmcnt(5)
	v_cvt_f32_f16_e32 v26, v28
	s_waitcnt vmcnt(4)
	v_cvt_f32_f16_e32 v27, v29
	s_waitcnt vmcnt(3)
	v_cvt_f32_f16_e32 v28, v30
	s_waitcnt vmcnt(2)
	v_cvt_f32_f16_e32 v29, v31
	s_waitcnt vmcnt(1)
	v_cvt_f32_f16_e32 v30, v32
	s_waitcnt vmcnt(0)
	v_cvt_f32_f16_e32 v31, v33
	v_pk_fma_f32 v[4:5], v[16:17], v[24:25], v[4:5]
	s_nop 0
	v_pk_fma_f32 v[4:5], v[18:19], v[26:27], v[4:5]
	s_nop 0
	;; [unrolled: 2-line block ×3, first 2 shown]
	v_pk_fma_f32 v[4:5], v[22:23], v[30:31], v[4:5]
	s_andn2_b64 exec, exec, s[16:17]
	s_cbranch_execnz .LBB84_5
; %bb.6:                                ;   in Loop: Header=BB84_3 Depth=1
	s_or_b64 exec, exec, s[16:17]
.LBB84_7:                               ;   in Loop: Header=BB84_3 Depth=1
	s_or_b64 exec, exec, s[14:15]
	v_mov_b32_e32 v6, v5
	v_pk_add_f32 v[4:5], v[4:5], v[6:7] op_sel_hi:[1,0]
	ds_bpermute_b32 v3, v9, v4
	s_waitcnt lgkmcnt(0)
	v_add_f32_e32 v3, v4, v3
	ds_bpermute_b32 v4, v10, v3
	s_waitcnt lgkmcnt(0)
	v_add_f32_e32 v3, v3, v4
	;; [unrolled: 3-line block ×5, first 2 shown]
	ds_bpermute_b32 v4, v14, v3
	s_and_saveexec_b64 s[2:3], s[0:1]
	s_cbranch_execz .LBB84_2
; %bb.8:                                ;   in Loop: Header=BB84_3 Depth=1
	s_waitcnt lgkmcnt(0)
	v_add_f32_e32 v3, v3, v4
	v_cvt_f16_f32_e32 v6, v3
	v_ashrrev_i32_e32 v3, 31, v2
	v_lshl_add_u64 v[4:5], v[2:3], 1, s[6:7]
	global_store_short v[4:5], v6, off
	s_branch .LBB84_2
.LBB84_9:
	s_endpgm
	.section	.rodata,"a",@progbits
	.p2align	6, 0x0
	.amdhsa_kernel _ZN5aiter14HGEMV_WFPerRowILi64ELi512ELi1ELi8EEEviiPKDF16_iS2_PDF16_
		.amdhsa_group_segment_fixed_size 0
		.amdhsa_private_segment_fixed_size 0
		.amdhsa_kernarg_size 296
		.amdhsa_user_sgpr_count 2
		.amdhsa_user_sgpr_dispatch_ptr 0
		.amdhsa_user_sgpr_queue_ptr 0
		.amdhsa_user_sgpr_kernarg_segment_ptr 1
		.amdhsa_user_sgpr_dispatch_id 0
		.amdhsa_user_sgpr_kernarg_preload_length 0
		.amdhsa_user_sgpr_kernarg_preload_offset 0
		.amdhsa_user_sgpr_private_segment_size 0
		.amdhsa_uses_dynamic_stack 0
		.amdhsa_enable_private_segment 0
		.amdhsa_system_sgpr_workgroup_id_x 1
		.amdhsa_system_sgpr_workgroup_id_y 0
		.amdhsa_system_sgpr_workgroup_id_z 0
		.amdhsa_system_sgpr_workgroup_info 0
		.amdhsa_system_vgpr_workitem_id 1
		.amdhsa_next_free_vgpr 34
		.amdhsa_next_free_sgpr 20
		.amdhsa_accum_offset 36
		.amdhsa_reserve_vcc 1
		.amdhsa_float_round_mode_32 0
		.amdhsa_float_round_mode_16_64 0
		.amdhsa_float_denorm_mode_32 3
		.amdhsa_float_denorm_mode_16_64 3
		.amdhsa_dx10_clamp 1
		.amdhsa_ieee_mode 1
		.amdhsa_fp16_overflow 0
		.amdhsa_tg_split 0
		.amdhsa_exception_fp_ieee_invalid_op 0
		.amdhsa_exception_fp_denorm_src 0
		.amdhsa_exception_fp_ieee_div_zero 0
		.amdhsa_exception_fp_ieee_overflow 0
		.amdhsa_exception_fp_ieee_underflow 0
		.amdhsa_exception_fp_ieee_inexact 0
		.amdhsa_exception_int_div_zero 0
	.end_amdhsa_kernel
	.section	.text._ZN5aiter14HGEMV_WFPerRowILi64ELi512ELi1ELi8EEEviiPKDF16_iS2_PDF16_,"axG",@progbits,_ZN5aiter14HGEMV_WFPerRowILi64ELi512ELi1ELi8EEEviiPKDF16_iS2_PDF16_,comdat
.Lfunc_end84:
	.size	_ZN5aiter14HGEMV_WFPerRowILi64ELi512ELi1ELi8EEEviiPKDF16_iS2_PDF16_, .Lfunc_end84-_ZN5aiter14HGEMV_WFPerRowILi64ELi512ELi1ELi8EEEviiPKDF16_iS2_PDF16_
                                        ; -- End function
	.section	.AMDGPU.csdata,"",@progbits
; Kernel info:
; codeLenInByte = 916
; NumSgprs: 26
; NumVgprs: 34
; NumAgprs: 0
; TotalNumVgprs: 34
; ScratchSize: 0
; MemoryBound: 0
; FloatMode: 240
; IeeeMode: 1
; LDSByteSize: 0 bytes/workgroup (compile time only)
; SGPRBlocks: 3
; VGPRBlocks: 4
; NumSGPRsForWavesPerEU: 26
; NumVGPRsForWavesPerEU: 34
; AccumOffset: 36
; Occupancy: 8
; WaveLimiterHint : 1
; COMPUTE_PGM_RSRC2:SCRATCH_EN: 0
; COMPUTE_PGM_RSRC2:USER_SGPR: 2
; COMPUTE_PGM_RSRC2:TRAP_HANDLER: 0
; COMPUTE_PGM_RSRC2:TGID_X_EN: 1
; COMPUTE_PGM_RSRC2:TGID_Y_EN: 0
; COMPUTE_PGM_RSRC2:TGID_Z_EN: 0
; COMPUTE_PGM_RSRC2:TIDIG_COMP_CNT: 1
; COMPUTE_PGM_RSRC3_GFX90A:ACCUM_OFFSET: 8
; COMPUTE_PGM_RSRC3_GFX90A:TG_SPLIT: 0
	.text
	.p2alignl 6, 3212836864
	.fill 256, 4, 3212836864
	.type	__hip_cuid_c2b306cefdc11a1,@object ; @__hip_cuid_c2b306cefdc11a1
	.section	.bss,"aw",@nobits
	.globl	__hip_cuid_c2b306cefdc11a1
__hip_cuid_c2b306cefdc11a1:
	.byte	0                               ; 0x0
	.size	__hip_cuid_c2b306cefdc11a1, 1

	.ident	"AMD clang version 19.0.0git (https://github.com/RadeonOpenCompute/llvm-project roc-6.4.0 25133 c7fe45cf4b819c5991fe208aaa96edf142730f1d)"
	.section	".note.GNU-stack","",@progbits
	.addrsig
	.addrsig_sym __hip_cuid_c2b306cefdc11a1
	.amdgpu_metadata
---
amdhsa.kernels:
  - .agpr_count:     0
    .args:           []
    .group_segment_fixed_size: 0
    .kernarg_segment_align: 4
    .kernarg_segment_size: 0
    .language:       OpenCL C
    .language_version:
      - 2
      - 0
    .max_flat_workgroup_size: 1024
    .name:           _ZN7ck_tileL11flush_cacheEv
    .private_segment_fixed_size: 0
    .sgpr_count:     6
    .sgpr_spill_count: 0
    .symbol:         _ZN7ck_tileL11flush_cacheEv.kd
    .uniform_work_group_size: 1
    .uses_dynamic_stack: false
    .vgpr_count:     0
    .vgpr_spill_count: 0
    .wavefront_size: 64
  - .agpr_count:     0
    .args:
      - .address_space:  global
        .offset:         0
        .size:           8
        .value_kind:     global_buffer
      - .address_space:  global
        .offset:         8
        .size:           8
        .value_kind:     global_buffer
      - .address_space:  global
        .offset:         16
        .size:           8
        .value_kind:     global_buffer
      - .offset:         24
        .size:           4
        .value_kind:     by_value
      - .offset:         28
        .size:           4
        .value_kind:     by_value
      - .offset:         32
        .size:           4
        .value_kind:     by_value
      - .offset:         36
        .size:           4
        .value_kind:     by_value
      - .offset:         40
        .size:           4
        .value_kind:     by_value
      - .offset:         44
        .size:           4
        .value_kind:     by_value
      - .offset:         48
        .size:           4
        .value_kind:     hidden_block_count_x
      - .offset:         52
        .size:           4
        .value_kind:     hidden_block_count_y
      - .offset:         56
        .size:           4
        .value_kind:     hidden_block_count_z
      - .offset:         60
        .size:           2
        .value_kind:     hidden_group_size_x
      - .offset:         62
        .size:           2
        .value_kind:     hidden_group_size_y
      - .offset:         64
        .size:           2
        .value_kind:     hidden_group_size_z
      - .offset:         66
        .size:           2
        .value_kind:     hidden_remainder_x
      - .offset:         68
        .size:           2
        .value_kind:     hidden_remainder_y
      - .offset:         70
        .size:           2
        .value_kind:     hidden_remainder_z
      - .offset:         88
        .size:           8
        .value_kind:     hidden_global_offset_x
      - .offset:         96
        .size:           8
        .value_kind:     hidden_global_offset_y
      - .offset:         104
        .size:           8
        .value_kind:     hidden_global_offset_z
      - .offset:         112
        .size:           2
        .value_kind:     hidden_grid_dims
    .group_segment_fixed_size: 8192
    .kernarg_segment_align: 8
    .kernarg_segment_size: 304
    .language:       OpenCL C
    .language_version:
      - 2
      - 0
    .max_flat_workgroup_size: 1024
    .name:           _ZN5aiter20matrixMultiplySharedEPfS0_S0_iiiiii
    .private_segment_fixed_size: 0
    .sgpr_count:     26
    .sgpr_spill_count: 0
    .symbol:         _ZN5aiter20matrixMultiplySharedEPfS0_S0_iiiiii.kd
    .uniform_work_group_size: 1
    .uses_dynamic_stack: false
    .vgpr_count:     40
    .vgpr_spill_count: 0
    .wavefront_size: 64
  - .agpr_count:     0
    .args:
      - .address_space:  global
        .offset:         0
        .size:           8
        .value_kind:     global_buffer
      - .address_space:  global
        .offset:         8
        .size:           8
        .value_kind:     global_buffer
      - .address_space:  global
        .offset:         16
        .size:           8
        .value_kind:     global_buffer
      - .offset:         24
        .size:           4
        .value_kind:     by_value
      - .offset:         32
        .size:           4
        .value_kind:     hidden_block_count_x
      - .offset:         36
        .size:           4
        .value_kind:     hidden_block_count_y
      - .offset:         40
        .size:           4
        .value_kind:     hidden_block_count_z
      - .offset:         44
        .size:           2
        .value_kind:     hidden_group_size_x
      - .offset:         46
        .size:           2
        .value_kind:     hidden_group_size_y
      - .offset:         48
        .size:           2
        .value_kind:     hidden_group_size_z
      - .offset:         50
        .size:           2
        .value_kind:     hidden_remainder_x
      - .offset:         52
        .size:           2
        .value_kind:     hidden_remainder_y
      - .offset:         54
        .size:           2
        .value_kind:     hidden_remainder_z
      - .offset:         72
        .size:           8
        .value_kind:     hidden_global_offset_x
      - .offset:         80
        .size:           8
        .value_kind:     hidden_global_offset_y
      - .offset:         88
        .size:           8
        .value_kind:     hidden_global_offset_z
      - .offset:         96
        .size:           2
        .value_kind:     hidden_grid_dims
    .group_segment_fixed_size: 512
    .kernarg_segment_align: 8
    .kernarg_segment_size: 288
    .language:       OpenCL C
    .language_version:
      - 2
      - 0
    .max_flat_workgroup_size: 1024
    .name:           _ZN5aiter14LLGemm1_kernelI6__halfLi2EEEvPKT_S4_PS2_i
    .private_segment_fixed_size: 0
    .sgpr_count:     18
    .sgpr_spill_count: 0
    .symbol:         _ZN5aiter14LLGemm1_kernelI6__halfLi2EEEvPKT_S4_PS2_i.kd
    .uniform_work_group_size: 1
    .uses_dynamic_stack: false
    .vgpr_count:     36
    .vgpr_spill_count: 0
    .wavefront_size: 64
  - .agpr_count:     0
    .args:
      - .address_space:  global
        .offset:         0
        .size:           8
        .value_kind:     global_buffer
      - .address_space:  global
        .offset:         8
        .size:           8
        .value_kind:     global_buffer
      - .address_space:  global
        .offset:         16
        .size:           8
        .value_kind:     global_buffer
      - .offset:         24
        .size:           4
        .value_kind:     by_value
      - .offset:         32
        .size:           4
        .value_kind:     hidden_block_count_x
      - .offset:         36
        .size:           4
        .value_kind:     hidden_block_count_y
      - .offset:         40
        .size:           4
        .value_kind:     hidden_block_count_z
      - .offset:         44
        .size:           2
        .value_kind:     hidden_group_size_x
      - .offset:         46
        .size:           2
        .value_kind:     hidden_group_size_y
      - .offset:         48
        .size:           2
        .value_kind:     hidden_group_size_z
      - .offset:         50
        .size:           2
        .value_kind:     hidden_remainder_x
      - .offset:         52
        .size:           2
        .value_kind:     hidden_remainder_y
      - .offset:         54
        .size:           2
        .value_kind:     hidden_remainder_z
      - .offset:         72
        .size:           8
        .value_kind:     hidden_global_offset_x
      - .offset:         80
        .size:           8
        .value_kind:     hidden_global_offset_y
      - .offset:         88
        .size:           8
        .value_kind:     hidden_global_offset_z
      - .offset:         96
        .size:           2
        .value_kind:     hidden_grid_dims
    .group_segment_fixed_size: 1024
    .kernarg_segment_align: 8
    .kernarg_segment_size: 288
    .language:       OpenCL C
    .language_version:
      - 2
      - 0
    .max_flat_workgroup_size: 1024
    .name:           _ZN5aiter14LLGemm1_kernelI6__halfLi4EEEvPKT_S4_PS2_i
    .private_segment_fixed_size: 0
    .sgpr_count:     20
    .sgpr_spill_count: 0
    .symbol:         _ZN5aiter14LLGemm1_kernelI6__halfLi4EEEvPKT_S4_PS2_i.kd
    .uniform_work_group_size: 1
    .uses_dynamic_stack: false
    .vgpr_count:     52
    .vgpr_spill_count: 0
    .wavefront_size: 64
  - .agpr_count:     0
    .args:
      - .address_space:  global
        .offset:         0
        .size:           8
        .value_kind:     global_buffer
      - .address_space:  global
        .offset:         8
        .size:           8
        .value_kind:     global_buffer
      - .address_space:  global
        .offset:         16
        .size:           8
        .value_kind:     global_buffer
      - .offset:         24
        .size:           4
        .value_kind:     by_value
      - .offset:         32
        .size:           4
        .value_kind:     hidden_block_count_x
      - .offset:         36
        .size:           4
        .value_kind:     hidden_block_count_y
      - .offset:         40
        .size:           4
        .value_kind:     hidden_block_count_z
      - .offset:         44
        .size:           2
        .value_kind:     hidden_group_size_x
      - .offset:         46
        .size:           2
        .value_kind:     hidden_group_size_y
      - .offset:         48
        .size:           2
        .value_kind:     hidden_group_size_z
      - .offset:         50
        .size:           2
        .value_kind:     hidden_remainder_x
      - .offset:         52
        .size:           2
        .value_kind:     hidden_remainder_y
      - .offset:         54
        .size:           2
        .value_kind:     hidden_remainder_z
      - .offset:         72
        .size:           8
        .value_kind:     hidden_global_offset_x
      - .offset:         80
        .size:           8
        .value_kind:     hidden_global_offset_y
      - .offset:         88
        .size:           8
        .value_kind:     hidden_global_offset_z
      - .offset:         96
        .size:           2
        .value_kind:     hidden_grid_dims
    .group_segment_fixed_size: 2048
    .kernarg_segment_align: 8
    .kernarg_segment_size: 288
    .language:       OpenCL C
    .language_version:
      - 2
      - 0
    .max_flat_workgroup_size: 1024
    .name:           _ZN5aiter14LLGemm1_kernelI6__halfLi8EEEvPKT_S4_PS2_i
    .private_segment_fixed_size: 0
    .sgpr_count:     25
    .sgpr_spill_count: 0
    .symbol:         _ZN5aiter14LLGemm1_kernelI6__halfLi8EEEvPKT_S4_PS2_i.kd
    .uniform_work_group_size: 1
    .uses_dynamic_stack: false
    .vgpr_count:     72
    .vgpr_spill_count: 0
    .wavefront_size: 64
  - .agpr_count:     0
    .args:
      - .address_space:  global
        .offset:         0
        .size:           8
        .value_kind:     global_buffer
      - .address_space:  global
        .offset:         8
        .size:           8
        .value_kind:     global_buffer
      - .address_space:  global
        .offset:         16
        .size:           8
        .value_kind:     global_buffer
      - .offset:         24
        .size:           4
        .value_kind:     by_value
      - .offset:         32
        .size:           4
        .value_kind:     hidden_block_count_x
      - .offset:         36
        .size:           4
        .value_kind:     hidden_block_count_y
      - .offset:         40
        .size:           4
        .value_kind:     hidden_block_count_z
      - .offset:         44
        .size:           2
        .value_kind:     hidden_group_size_x
      - .offset:         46
        .size:           2
        .value_kind:     hidden_group_size_y
      - .offset:         48
        .size:           2
        .value_kind:     hidden_group_size_z
      - .offset:         50
        .size:           2
        .value_kind:     hidden_remainder_x
      - .offset:         52
        .size:           2
        .value_kind:     hidden_remainder_y
      - .offset:         54
        .size:           2
        .value_kind:     hidden_remainder_z
      - .offset:         72
        .size:           8
        .value_kind:     hidden_global_offset_x
      - .offset:         80
        .size:           8
        .value_kind:     hidden_global_offset_y
      - .offset:         88
        .size:           8
        .value_kind:     hidden_global_offset_z
      - .offset:         96
        .size:           2
        .value_kind:     hidden_grid_dims
    .group_segment_fixed_size: 4096
    .kernarg_segment_align: 8
    .kernarg_segment_size: 288
    .language:       OpenCL C
    .language_version:
      - 2
      - 0
    .max_flat_workgroup_size: 1024
    .name:           _ZN5aiter14LLGemm1_kernelI6__halfLi16EEEvPKT_S4_PS2_i
    .private_segment_fixed_size: 28
    .sgpr_count:     42
    .sgpr_spill_count: 0
    .symbol:         _ZN5aiter14LLGemm1_kernelI6__halfLi16EEEvPKT_S4_PS2_i.kd
    .uniform_work_group_size: 1
    .uses_dynamic_stack: false
    .vgpr_count:     128
    .vgpr_spill_count: 6
    .wavefront_size: 64
  - .agpr_count:     0
    .args:
      - .address_space:  global
        .offset:         0
        .size:           8
        .value_kind:     global_buffer
      - .address_space:  global
        .offset:         8
        .size:           8
        .value_kind:     global_buffer
      - .address_space:  global
        .offset:         16
        .size:           8
        .value_kind:     global_buffer
      - .offset:         24
        .size:           4
        .value_kind:     by_value
      - .offset:         32
        .size:           4
        .value_kind:     hidden_block_count_x
      - .offset:         36
        .size:           4
        .value_kind:     hidden_block_count_y
      - .offset:         40
        .size:           4
        .value_kind:     hidden_block_count_z
      - .offset:         44
        .size:           2
        .value_kind:     hidden_group_size_x
      - .offset:         46
        .size:           2
        .value_kind:     hidden_group_size_y
      - .offset:         48
        .size:           2
        .value_kind:     hidden_group_size_z
      - .offset:         50
        .size:           2
        .value_kind:     hidden_remainder_x
      - .offset:         52
        .size:           2
        .value_kind:     hidden_remainder_y
      - .offset:         54
        .size:           2
        .value_kind:     hidden_remainder_z
      - .offset:         72
        .size:           8
        .value_kind:     hidden_global_offset_x
      - .offset:         80
        .size:           8
        .value_kind:     hidden_global_offset_y
      - .offset:         88
        .size:           8
        .value_kind:     hidden_global_offset_z
      - .offset:         96
        .size:           2
        .value_kind:     hidden_grid_dims
    .group_segment_fixed_size: 512
    .kernarg_segment_align: 8
    .kernarg_segment_size: 288
    .language:       OpenCL C
    .language_version:
      - 2
      - 0
    .max_flat_workgroup_size: 1024
    .name:           _ZN5aiter14LLGemm1_kernelI12hip_bfloat16Li2EEEvPKT_S4_PS2_i
    .private_segment_fixed_size: 0
    .sgpr_count:     18
    .sgpr_spill_count: 0
    .symbol:         _ZN5aiter14LLGemm1_kernelI12hip_bfloat16Li2EEEvPKT_S4_PS2_i.kd
    .uniform_work_group_size: 1
    .uses_dynamic_stack: false
    .vgpr_count:     36
    .vgpr_spill_count: 0
    .wavefront_size: 64
  - .agpr_count:     0
    .args:
      - .address_space:  global
        .offset:         0
        .size:           8
        .value_kind:     global_buffer
      - .address_space:  global
        .offset:         8
        .size:           8
        .value_kind:     global_buffer
      - .address_space:  global
        .offset:         16
        .size:           8
        .value_kind:     global_buffer
      - .offset:         24
        .size:           4
        .value_kind:     by_value
      - .offset:         32
        .size:           4
        .value_kind:     hidden_block_count_x
      - .offset:         36
        .size:           4
        .value_kind:     hidden_block_count_y
      - .offset:         40
        .size:           4
        .value_kind:     hidden_block_count_z
      - .offset:         44
        .size:           2
        .value_kind:     hidden_group_size_x
      - .offset:         46
        .size:           2
        .value_kind:     hidden_group_size_y
      - .offset:         48
        .size:           2
        .value_kind:     hidden_group_size_z
      - .offset:         50
        .size:           2
        .value_kind:     hidden_remainder_x
      - .offset:         52
        .size:           2
        .value_kind:     hidden_remainder_y
      - .offset:         54
        .size:           2
        .value_kind:     hidden_remainder_z
      - .offset:         72
        .size:           8
        .value_kind:     hidden_global_offset_x
      - .offset:         80
        .size:           8
        .value_kind:     hidden_global_offset_y
      - .offset:         88
        .size:           8
        .value_kind:     hidden_global_offset_z
      - .offset:         96
        .size:           2
        .value_kind:     hidden_grid_dims
    .group_segment_fixed_size: 1024
    .kernarg_segment_align: 8
    .kernarg_segment_size: 288
    .language:       OpenCL C
    .language_version:
      - 2
      - 0
    .max_flat_workgroup_size: 1024
    .name:           _ZN5aiter14LLGemm1_kernelI12hip_bfloat16Li4EEEvPKT_S4_PS2_i
    .private_segment_fixed_size: 0
    .sgpr_count:     20
    .sgpr_spill_count: 0
    .symbol:         _ZN5aiter14LLGemm1_kernelI12hip_bfloat16Li4EEEvPKT_S4_PS2_i.kd
    .uniform_work_group_size: 1
    .uses_dynamic_stack: false
    .vgpr_count:     52
    .vgpr_spill_count: 0
    .wavefront_size: 64
  - .agpr_count:     0
    .args:
      - .address_space:  global
        .offset:         0
        .size:           8
        .value_kind:     global_buffer
      - .address_space:  global
        .offset:         8
        .size:           8
        .value_kind:     global_buffer
      - .address_space:  global
        .offset:         16
        .size:           8
        .value_kind:     global_buffer
      - .offset:         24
        .size:           4
        .value_kind:     by_value
      - .offset:         32
        .size:           4
        .value_kind:     hidden_block_count_x
      - .offset:         36
        .size:           4
        .value_kind:     hidden_block_count_y
      - .offset:         40
        .size:           4
        .value_kind:     hidden_block_count_z
      - .offset:         44
        .size:           2
        .value_kind:     hidden_group_size_x
      - .offset:         46
        .size:           2
        .value_kind:     hidden_group_size_y
      - .offset:         48
        .size:           2
        .value_kind:     hidden_group_size_z
      - .offset:         50
        .size:           2
        .value_kind:     hidden_remainder_x
      - .offset:         52
        .size:           2
        .value_kind:     hidden_remainder_y
      - .offset:         54
        .size:           2
        .value_kind:     hidden_remainder_z
      - .offset:         72
        .size:           8
        .value_kind:     hidden_global_offset_x
      - .offset:         80
        .size:           8
        .value_kind:     hidden_global_offset_y
      - .offset:         88
        .size:           8
        .value_kind:     hidden_global_offset_z
      - .offset:         96
        .size:           2
        .value_kind:     hidden_grid_dims
    .group_segment_fixed_size: 2048
    .kernarg_segment_align: 8
    .kernarg_segment_size: 288
    .language:       OpenCL C
    .language_version:
      - 2
      - 0
    .max_flat_workgroup_size: 1024
    .name:           _ZN5aiter14LLGemm1_kernelI12hip_bfloat16Li8EEEvPKT_S4_PS2_i
    .private_segment_fixed_size: 0
    .sgpr_count:     25
    .sgpr_spill_count: 0
    .symbol:         _ZN5aiter14LLGemm1_kernelI12hip_bfloat16Li8EEEvPKT_S4_PS2_i.kd
    .uniform_work_group_size: 1
    .uses_dynamic_stack: false
    .vgpr_count:     74
    .vgpr_spill_count: 0
    .wavefront_size: 64
  - .agpr_count:     0
    .args:
      - .address_space:  global
        .offset:         0
        .size:           8
        .value_kind:     global_buffer
      - .address_space:  global
        .offset:         8
        .size:           8
        .value_kind:     global_buffer
      - .address_space:  global
        .offset:         16
        .size:           8
        .value_kind:     global_buffer
      - .offset:         24
        .size:           4
        .value_kind:     by_value
      - .offset:         32
        .size:           4
        .value_kind:     hidden_block_count_x
      - .offset:         36
        .size:           4
        .value_kind:     hidden_block_count_y
      - .offset:         40
        .size:           4
        .value_kind:     hidden_block_count_z
      - .offset:         44
        .size:           2
        .value_kind:     hidden_group_size_x
      - .offset:         46
        .size:           2
        .value_kind:     hidden_group_size_y
      - .offset:         48
        .size:           2
        .value_kind:     hidden_group_size_z
      - .offset:         50
        .size:           2
        .value_kind:     hidden_remainder_x
      - .offset:         52
        .size:           2
        .value_kind:     hidden_remainder_y
      - .offset:         54
        .size:           2
        .value_kind:     hidden_remainder_z
      - .offset:         72
        .size:           8
        .value_kind:     hidden_global_offset_x
      - .offset:         80
        .size:           8
        .value_kind:     hidden_global_offset_y
      - .offset:         88
        .size:           8
        .value_kind:     hidden_global_offset_z
      - .offset:         96
        .size:           2
        .value_kind:     hidden_grid_dims
    .group_segment_fixed_size: 4096
    .kernarg_segment_align: 8
    .kernarg_segment_size: 288
    .language:       OpenCL C
    .language_version:
      - 2
      - 0
    .max_flat_workgroup_size: 1024
    .name:           _ZN5aiter14LLGemm1_kernelI12hip_bfloat16Li16EEEvPKT_S4_PS2_i
    .private_segment_fixed_size: 28
    .sgpr_count:     42
    .sgpr_spill_count: 0
    .symbol:         _ZN5aiter14LLGemm1_kernelI12hip_bfloat16Li16EEEvPKT_S4_PS2_i.kd
    .uniform_work_group_size: 1
    .uses_dynamic_stack: false
    .vgpr_count:     128
    .vgpr_spill_count: 6
    .wavefront_size: 64
  - .agpr_count:     0
    .args:
      - .offset:         0
        .size:           4
        .value_kind:     by_value
      - .offset:         4
        .size:           4
        .value_kind:     by_value
      - .address_space:  global
        .offset:         8
        .size:           8
        .value_kind:     global_buffer
      - .actual_access:  read_only
        .address_space:  global
        .offset:         16
        .size:           8
        .value_kind:     global_buffer
      - .address_space:  global
        .offset:         24
        .size:           8
        .value_kind:     global_buffer
      - .offset:         32
        .size:           4
        .value_kind:     by_value
      - .offset:         36
        .size:           4
        .value_kind:     by_value
    .group_segment_fixed_size: 0
    .kernarg_segment_align: 8
    .kernarg_segment_size: 40
    .language:       OpenCL C
    .language_version:
      - 2
      - 0
    .max_flat_workgroup_size: 64
    .name:           _ZN5aiter32wv_splitk_small_fp16_bf16_kernelI6__halfLi64ELi1ELi1ELi8ELi4ELi1EEEviiPKT_S4_PS2_ii
    .private_segment_fixed_size: 0
    .sgpr_count:     33
    .sgpr_spill_count: 0
    .symbol:         _ZN5aiter32wv_splitk_small_fp16_bf16_kernelI6__halfLi64ELi1ELi1ELi8ELi4ELi1EEEviiPKT_S4_PS2_ii.kd
    .uniform_work_group_size: 1
    .uses_dynamic_stack: false
    .vgpr_count:     46
    .vgpr_spill_count: 0
    .wavefront_size: 64
  - .agpr_count:     0
    .args:
      - .offset:         0
        .size:           4
        .value_kind:     by_value
      - .offset:         4
        .size:           4
        .value_kind:     by_value
      - .address_space:  global
        .offset:         8
        .size:           8
        .value_kind:     global_buffer
      - .actual_access:  read_only
        .address_space:  global
        .offset:         16
        .size:           8
        .value_kind:     global_buffer
      - .address_space:  global
        .offset:         24
        .size:           8
        .value_kind:     global_buffer
      - .offset:         32
        .size:           4
        .value_kind:     by_value
      - .offset:         36
        .size:           4
        .value_kind:     by_value
    .group_segment_fixed_size: 0
    .kernarg_segment_align: 8
    .kernarg_segment_size: 40
    .language:       OpenCL C
    .language_version:
      - 2
      - 0
    .max_flat_workgroup_size: 64
    .name:           _ZN5aiter32wv_splitk_small_fp16_bf16_kernelI6__halfLi64ELi1ELi1ELi8ELi4ELi2EEEviiPKT_S4_PS2_ii
    .private_segment_fixed_size: 0
    .sgpr_count:     33
    .sgpr_spill_count: 0
    .symbol:         _ZN5aiter32wv_splitk_small_fp16_bf16_kernelI6__halfLi64ELi1ELi1ELi8ELi4ELi2EEEviiPKT_S4_PS2_ii.kd
    .uniform_work_group_size: 1
    .uses_dynamic_stack: false
    .vgpr_count:     66
    .vgpr_spill_count: 0
    .wavefront_size: 64
  - .agpr_count:     0
    .args:
      - .offset:         0
        .size:           4
        .value_kind:     by_value
      - .offset:         4
        .size:           4
        .value_kind:     by_value
      - .address_space:  global
        .offset:         8
        .size:           8
        .value_kind:     global_buffer
      - .actual_access:  read_only
        .address_space:  global
        .offset:         16
        .size:           8
        .value_kind:     global_buffer
      - .address_space:  global
        .offset:         24
        .size:           8
        .value_kind:     global_buffer
      - .offset:         32
        .size:           4
        .value_kind:     by_value
      - .offset:         36
        .size:           4
        .value_kind:     by_value
    .group_segment_fixed_size: 0
    .kernarg_segment_align: 8
    .kernarg_segment_size: 40
    .language:       OpenCL C
    .language_version:
      - 2
      - 0
    .max_flat_workgroup_size: 64
    .name:           _ZN5aiter32wv_splitk_small_fp16_bf16_kernelI6__halfLi64ELi1ELi1ELi8ELi4ELi3EEEviiPKT_S4_PS2_ii
    .private_segment_fixed_size: 0
    .sgpr_count:     33
    .sgpr_spill_count: 0
    .symbol:         _ZN5aiter32wv_splitk_small_fp16_bf16_kernelI6__halfLi64ELi1ELi1ELi8ELi4ELi3EEEviiPKT_S4_PS2_ii.kd
    .uniform_work_group_size: 1
    .uses_dynamic_stack: false
    .vgpr_count:     84
    .vgpr_spill_count: 0
    .wavefront_size: 64
  - .agpr_count:     0
    .args:
      - .offset:         0
        .size:           4
        .value_kind:     by_value
      - .offset:         4
        .size:           4
        .value_kind:     by_value
      - .address_space:  global
        .offset:         8
        .size:           8
        .value_kind:     global_buffer
      - .actual_access:  read_only
        .address_space:  global
        .offset:         16
        .size:           8
        .value_kind:     global_buffer
      - .address_space:  global
        .offset:         24
        .size:           8
        .value_kind:     global_buffer
      - .offset:         32
        .size:           4
        .value_kind:     by_value
      - .offset:         36
        .size:           4
        .value_kind:     by_value
    .group_segment_fixed_size: 0
    .kernarg_segment_align: 8
    .kernarg_segment_size: 40
    .language:       OpenCL C
    .language_version:
      - 2
      - 0
    .max_flat_workgroup_size: 64
    .name:           _ZN5aiter32wv_splitk_small_fp16_bf16_kernelI6__halfLi64ELi1ELi1ELi8ELi4ELi4EEEviiPKT_S4_PS2_ii
    .private_segment_fixed_size: 0
    .sgpr_count:     33
    .sgpr_spill_count: 0
    .symbol:         _ZN5aiter32wv_splitk_small_fp16_bf16_kernelI6__halfLi64ELi1ELi1ELi8ELi4ELi4EEEviiPKT_S4_PS2_ii.kd
    .uniform_work_group_size: 1
    .uses_dynamic_stack: false
    .vgpr_count:     106
    .vgpr_spill_count: 0
    .wavefront_size: 64
  - .agpr_count:     0
    .args:
      - .offset:         0
        .size:           4
        .value_kind:     by_value
      - .offset:         4
        .size:           4
        .value_kind:     by_value
      - .address_space:  global
        .offset:         8
        .size:           8
        .value_kind:     global_buffer
      - .actual_access:  read_only
        .address_space:  global
        .offset:         16
        .size:           8
        .value_kind:     global_buffer
      - .address_space:  global
        .offset:         24
        .size:           8
        .value_kind:     global_buffer
      - .offset:         32
        .size:           4
        .value_kind:     by_value
      - .offset:         36
        .size:           4
        .value_kind:     by_value
    .group_segment_fixed_size: 0
    .kernarg_segment_align: 8
    .kernarg_segment_size: 40
    .language:       OpenCL C
    .language_version:
      - 2
      - 0
    .max_flat_workgroup_size: 64
    .name:           _ZN5aiter32wv_splitk_small_fp16_bf16_kernelI6__halfLi64ELi1ELi1ELi8ELi4ELi5EEEviiPKT_S4_PS2_ii
    .private_segment_fixed_size: 0
    .sgpr_count:     33
    .sgpr_spill_count: 0
    .symbol:         _ZN5aiter32wv_splitk_small_fp16_bf16_kernelI6__halfLi64ELi1ELi1ELi8ELi4ELi5EEEviiPKT_S4_PS2_ii.kd
    .uniform_work_group_size: 1
    .uses_dynamic_stack: false
    .vgpr_count:     124
    .vgpr_spill_count: 0
    .wavefront_size: 64
  - .agpr_count:     0
    .args:
      - .offset:         0
        .size:           4
        .value_kind:     by_value
      - .offset:         4
        .size:           4
        .value_kind:     by_value
      - .address_space:  global
        .offset:         8
        .size:           8
        .value_kind:     global_buffer
      - .actual_access:  read_only
        .address_space:  global
        .offset:         16
        .size:           8
        .value_kind:     global_buffer
      - .address_space:  global
        .offset:         24
        .size:           8
        .value_kind:     global_buffer
      - .offset:         32
        .size:           4
        .value_kind:     by_value
      - .offset:         36
        .size:           4
        .value_kind:     by_value
    .group_segment_fixed_size: 0
    .kernarg_segment_align: 8
    .kernarg_segment_size: 40
    .language:       OpenCL C
    .language_version:
      - 2
      - 0
    .max_flat_workgroup_size: 64
    .name:           _ZN5aiter32wv_splitk_small_fp16_bf16_kernelI6__halfLi64ELi1ELi1ELi8ELi4ELi6EEEviiPKT_S4_PS2_ii
    .private_segment_fixed_size: 0
    .sgpr_count:     33
    .sgpr_spill_count: 0
    .symbol:         _ZN5aiter32wv_splitk_small_fp16_bf16_kernelI6__halfLi64ELi1ELi1ELi8ELi4ELi6EEEviiPKT_S4_PS2_ii.kd
    .uniform_work_group_size: 1
    .uses_dynamic_stack: false
    .vgpr_count:     144
    .vgpr_spill_count: 0
    .wavefront_size: 64
  - .agpr_count:     0
    .args:
      - .offset:         0
        .size:           4
        .value_kind:     by_value
      - .offset:         4
        .size:           4
        .value_kind:     by_value
      - .address_space:  global
        .offset:         8
        .size:           8
        .value_kind:     global_buffer
      - .actual_access:  read_only
        .address_space:  global
        .offset:         16
        .size:           8
        .value_kind:     global_buffer
      - .address_space:  global
        .offset:         24
        .size:           8
        .value_kind:     global_buffer
      - .offset:         32
        .size:           4
        .value_kind:     by_value
      - .offset:         36
        .size:           4
        .value_kind:     by_value
    .group_segment_fixed_size: 0
    .kernarg_segment_align: 8
    .kernarg_segment_size: 40
    .language:       OpenCL C
    .language_version:
      - 2
      - 0
    .max_flat_workgroup_size: 64
    .name:           _ZN5aiter32wv_splitk_small_fp16_bf16_kernelI6__halfLi64ELi1ELi1ELi8ELi4ELi7EEEviiPKT_S4_PS2_ii
    .private_segment_fixed_size: 0
    .sgpr_count:     33
    .sgpr_spill_count: 0
    .symbol:         _ZN5aiter32wv_splitk_small_fp16_bf16_kernelI6__halfLi64ELi1ELi1ELi8ELi4ELi7EEEviiPKT_S4_PS2_ii.kd
    .uniform_work_group_size: 1
    .uses_dynamic_stack: false
    .vgpr_count:     164
    .vgpr_spill_count: 0
    .wavefront_size: 64
  - .agpr_count:     0
    .args:
      - .offset:         0
        .size:           4
        .value_kind:     by_value
      - .offset:         4
        .size:           4
        .value_kind:     by_value
      - .address_space:  global
        .offset:         8
        .size:           8
        .value_kind:     global_buffer
      - .actual_access:  read_only
        .address_space:  global
        .offset:         16
        .size:           8
        .value_kind:     global_buffer
      - .address_space:  global
        .offset:         24
        .size:           8
        .value_kind:     global_buffer
      - .offset:         32
        .size:           4
        .value_kind:     by_value
      - .offset:         36
        .size:           4
        .value_kind:     by_value
    .group_segment_fixed_size: 0
    .kernarg_segment_align: 8
    .kernarg_segment_size: 40
    .language:       OpenCL C
    .language_version:
      - 2
      - 0
    .max_flat_workgroup_size: 64
    .name:           _ZN5aiter32wv_splitk_small_fp16_bf16_kernelI6__halfLi64ELi1ELi1ELi8ELi4ELi8EEEviiPKT_S4_PS2_ii
    .private_segment_fixed_size: 0
    .sgpr_count:     33
    .sgpr_spill_count: 0
    .symbol:         _ZN5aiter32wv_splitk_small_fp16_bf16_kernelI6__halfLi64ELi1ELi1ELi8ELi4ELi8EEEviiPKT_S4_PS2_ii.kd
    .uniform_work_group_size: 1
    .uses_dynamic_stack: false
    .vgpr_count:     184
    .vgpr_spill_count: 0
    .wavefront_size: 64
  - .agpr_count:     0
    .args:
      - .offset:         0
        .size:           4
        .value_kind:     by_value
      - .offset:         4
        .size:           4
        .value_kind:     by_value
      - .address_space:  global
        .offset:         8
        .size:           8
        .value_kind:     global_buffer
      - .actual_access:  read_only
        .address_space:  global
        .offset:         16
        .size:           8
        .value_kind:     global_buffer
      - .address_space:  global
        .offset:         24
        .size:           8
        .value_kind:     global_buffer
      - .offset:         32
        .size:           4
        .value_kind:     by_value
      - .offset:         36
        .size:           4
        .value_kind:     by_value
    .group_segment_fixed_size: 0
    .kernarg_segment_align: 8
    .kernarg_segment_size: 40
    .language:       OpenCL C
    .language_version:
      - 2
      - 0
    .max_flat_workgroup_size: 64
    .name:           _ZN5aiter32wv_splitk_small_fp16_bf16_kernelI6__halfLi64ELi1ELi1ELi8ELi4ELi9EEEviiPKT_S4_PS2_ii
    .private_segment_fixed_size: 0
    .sgpr_count:     33
    .sgpr_spill_count: 0
    .symbol:         _ZN5aiter32wv_splitk_small_fp16_bf16_kernelI6__halfLi64ELi1ELi1ELi8ELi4ELi9EEEviiPKT_S4_PS2_ii.kd
    .uniform_work_group_size: 1
    .uses_dynamic_stack: false
    .vgpr_count:     204
    .vgpr_spill_count: 0
    .wavefront_size: 64
  - .agpr_count:     0
    .args:
      - .offset:         0
        .size:           4
        .value_kind:     by_value
      - .offset:         4
        .size:           4
        .value_kind:     by_value
      - .address_space:  global
        .offset:         8
        .size:           8
        .value_kind:     global_buffer
      - .actual_access:  read_only
        .address_space:  global
        .offset:         16
        .size:           8
        .value_kind:     global_buffer
      - .address_space:  global
        .offset:         24
        .size:           8
        .value_kind:     global_buffer
      - .offset:         32
        .size:           4
        .value_kind:     by_value
      - .offset:         36
        .size:           4
        .value_kind:     by_value
    .group_segment_fixed_size: 0
    .kernarg_segment_align: 8
    .kernarg_segment_size: 40
    .language:       OpenCL C
    .language_version:
      - 2
      - 0
    .max_flat_workgroup_size: 64
    .name:           _ZN5aiter32wv_splitk_small_fp16_bf16_kernelI6__halfLi64ELi1ELi1ELi8ELi4ELi10EEEviiPKT_S4_PS2_ii
    .private_segment_fixed_size: 0
    .sgpr_count:     33
    .sgpr_spill_count: 0
    .symbol:         _ZN5aiter32wv_splitk_small_fp16_bf16_kernelI6__halfLi64ELi1ELi1ELi8ELi4ELi10EEEviiPKT_S4_PS2_ii.kd
    .uniform_work_group_size: 1
    .uses_dynamic_stack: false
    .vgpr_count:     224
    .vgpr_spill_count: 0
    .wavefront_size: 64
  - .agpr_count:     0
    .args:
      - .offset:         0
        .size:           4
        .value_kind:     by_value
      - .offset:         4
        .size:           4
        .value_kind:     by_value
      - .address_space:  global
        .offset:         8
        .size:           8
        .value_kind:     global_buffer
      - .actual_access:  read_only
        .address_space:  global
        .offset:         16
        .size:           8
        .value_kind:     global_buffer
      - .address_space:  global
        .offset:         24
        .size:           8
        .value_kind:     global_buffer
      - .offset:         32
        .size:           4
        .value_kind:     by_value
      - .offset:         36
        .size:           4
        .value_kind:     by_value
    .group_segment_fixed_size: 0
    .kernarg_segment_align: 8
    .kernarg_segment_size: 40
    .language:       OpenCL C
    .language_version:
      - 2
      - 0
    .max_flat_workgroup_size: 64
    .name:           _ZN5aiter32wv_splitk_small_fp16_bf16_kernelI6__halfLi64ELi1ELi1ELi8ELi4ELi11EEEviiPKT_S4_PS2_ii
    .private_segment_fixed_size: 0
    .sgpr_count:     33
    .sgpr_spill_count: 0
    .symbol:         _ZN5aiter32wv_splitk_small_fp16_bf16_kernelI6__halfLi64ELi1ELi1ELi8ELi4ELi11EEEviiPKT_S4_PS2_ii.kd
    .uniform_work_group_size: 1
    .uses_dynamic_stack: false
    .vgpr_count:     244
    .vgpr_spill_count: 0
    .wavefront_size: 64
  - .agpr_count:     8
    .args:
      - .offset:         0
        .size:           4
        .value_kind:     by_value
      - .offset:         4
        .size:           4
        .value_kind:     by_value
      - .address_space:  global
        .offset:         8
        .size:           8
        .value_kind:     global_buffer
      - .actual_access:  read_only
        .address_space:  global
        .offset:         16
        .size:           8
        .value_kind:     global_buffer
      - .address_space:  global
        .offset:         24
        .size:           8
        .value_kind:     global_buffer
      - .offset:         32
        .size:           4
        .value_kind:     by_value
      - .offset:         36
        .size:           4
        .value_kind:     by_value
    .group_segment_fixed_size: 0
    .kernarg_segment_align: 8
    .kernarg_segment_size: 40
    .language:       OpenCL C
    .language_version:
      - 2
      - 0
    .max_flat_workgroup_size: 64
    .name:           _ZN5aiter32wv_splitk_small_fp16_bf16_kernelI6__halfLi64ELi1ELi1ELi8ELi4ELi12EEEviiPKT_S4_PS2_ii
    .private_segment_fixed_size: 0
    .sgpr_count:     33
    .sgpr_spill_count: 0
    .symbol:         _ZN5aiter32wv_splitk_small_fp16_bf16_kernelI6__halfLi64ELi1ELi1ELi8ELi4ELi12EEEviiPKT_S4_PS2_ii.kd
    .uniform_work_group_size: 1
    .uses_dynamic_stack: false
    .vgpr_count:     264
    .vgpr_spill_count: 0
    .wavefront_size: 64
  - .agpr_count:     28
    .args:
      - .offset:         0
        .size:           4
        .value_kind:     by_value
      - .offset:         4
        .size:           4
        .value_kind:     by_value
      - .address_space:  global
        .offset:         8
        .size:           8
        .value_kind:     global_buffer
      - .actual_access:  read_only
        .address_space:  global
        .offset:         16
        .size:           8
        .value_kind:     global_buffer
      - .address_space:  global
        .offset:         24
        .size:           8
        .value_kind:     global_buffer
      - .offset:         32
        .size:           4
        .value_kind:     by_value
      - .offset:         36
        .size:           4
        .value_kind:     by_value
    .group_segment_fixed_size: 0
    .kernarg_segment_align: 8
    .kernarg_segment_size: 40
    .language:       OpenCL C
    .language_version:
      - 2
      - 0
    .max_flat_workgroup_size: 64
    .name:           _ZN5aiter32wv_splitk_small_fp16_bf16_kernelI6__halfLi64ELi1ELi1ELi8ELi4ELi13EEEviiPKT_S4_PS2_ii
    .private_segment_fixed_size: 0
    .sgpr_count:     33
    .sgpr_spill_count: 0
    .symbol:         _ZN5aiter32wv_splitk_small_fp16_bf16_kernelI6__halfLi64ELi1ELi1ELi8ELi4ELi13EEEviiPKT_S4_PS2_ii.kd
    .uniform_work_group_size: 1
    .uses_dynamic_stack: false
    .vgpr_count:     284
    .vgpr_spill_count: 0
    .wavefront_size: 64
  - .agpr_count:     50
    .args:
      - .offset:         0
        .size:           4
        .value_kind:     by_value
      - .offset:         4
        .size:           4
        .value_kind:     by_value
      - .address_space:  global
        .offset:         8
        .size:           8
        .value_kind:     global_buffer
      - .actual_access:  read_only
        .address_space:  global
        .offset:         16
        .size:           8
        .value_kind:     global_buffer
      - .address_space:  global
        .offset:         24
        .size:           8
        .value_kind:     global_buffer
      - .offset:         32
        .size:           4
        .value_kind:     by_value
      - .offset:         36
        .size:           4
        .value_kind:     by_value
    .group_segment_fixed_size: 0
    .kernarg_segment_align: 8
    .kernarg_segment_size: 40
    .language:       OpenCL C
    .language_version:
      - 2
      - 0
    .max_flat_workgroup_size: 64
    .name:           _ZN5aiter32wv_splitk_small_fp16_bf16_kernelI6__halfLi64ELi1ELi1ELi8ELi4ELi14EEEviiPKT_S4_PS2_ii
    .private_segment_fixed_size: 0
    .sgpr_count:     33
    .sgpr_spill_count: 0
    .symbol:         _ZN5aiter32wv_splitk_small_fp16_bf16_kernelI6__halfLi64ELi1ELi1ELi8ELi4ELi14EEEviiPKT_S4_PS2_ii.kd
    .uniform_work_group_size: 1
    .uses_dynamic_stack: false
    .vgpr_count:     306
    .vgpr_spill_count: 0
    .wavefront_size: 64
  - .agpr_count:     68
    .args:
      - .offset:         0
        .size:           4
        .value_kind:     by_value
      - .offset:         4
        .size:           4
        .value_kind:     by_value
      - .address_space:  global
        .offset:         8
        .size:           8
        .value_kind:     global_buffer
      - .actual_access:  read_only
        .address_space:  global
        .offset:         16
        .size:           8
        .value_kind:     global_buffer
      - .address_space:  global
        .offset:         24
        .size:           8
        .value_kind:     global_buffer
      - .offset:         32
        .size:           4
        .value_kind:     by_value
      - .offset:         36
        .size:           4
        .value_kind:     by_value
    .group_segment_fixed_size: 0
    .kernarg_segment_align: 8
    .kernarg_segment_size: 40
    .language:       OpenCL C
    .language_version:
      - 2
      - 0
    .max_flat_workgroup_size: 64
    .name:           _ZN5aiter32wv_splitk_small_fp16_bf16_kernelI6__halfLi64ELi1ELi1ELi8ELi4ELi15EEEviiPKT_S4_PS2_ii
    .private_segment_fixed_size: 0
    .sgpr_count:     33
    .sgpr_spill_count: 0
    .symbol:         _ZN5aiter32wv_splitk_small_fp16_bf16_kernelI6__halfLi64ELi1ELi1ELi8ELi4ELi15EEEviiPKT_S4_PS2_ii.kd
    .uniform_work_group_size: 1
    .uses_dynamic_stack: false
    .vgpr_count:     324
    .vgpr_spill_count: 0
    .wavefront_size: 64
  - .agpr_count:     98
    .args:
      - .offset:         0
        .size:           4
        .value_kind:     by_value
      - .offset:         4
        .size:           4
        .value_kind:     by_value
      - .address_space:  global
        .offset:         8
        .size:           8
        .value_kind:     global_buffer
      - .actual_access:  read_only
        .address_space:  global
        .offset:         16
        .size:           8
        .value_kind:     global_buffer
      - .address_space:  global
        .offset:         24
        .size:           8
        .value_kind:     global_buffer
      - .offset:         32
        .size:           4
        .value_kind:     by_value
      - .offset:         36
        .size:           4
        .value_kind:     by_value
    .group_segment_fixed_size: 0
    .kernarg_segment_align: 8
    .kernarg_segment_size: 40
    .language:       OpenCL C
    .language_version:
      - 2
      - 0
    .max_flat_workgroup_size: 64
    .name:           _ZN5aiter32wv_splitk_small_fp16_bf16_kernelI6__halfLi64ELi1ELi1ELi8ELi4ELi16EEEviiPKT_S4_PS2_ii
    .private_segment_fixed_size: 0
    .sgpr_count:     33
    .sgpr_spill_count: 0
    .symbol:         _ZN5aiter32wv_splitk_small_fp16_bf16_kernelI6__halfLi64ELi1ELi1ELi8ELi4ELi16EEEviiPKT_S4_PS2_ii.kd
    .uniform_work_group_size: 1
    .uses_dynamic_stack: false
    .vgpr_count:     354
    .vgpr_spill_count: 0
    .wavefront_size: 64
  - .agpr_count:     0
    .args:
      - .offset:         0
        .size:           4
        .value_kind:     by_value
      - .offset:         4
        .size:           4
        .value_kind:     by_value
      - .address_space:  global
        .offset:         8
        .size:           8
        .value_kind:     global_buffer
      - .actual_access:  read_only
        .address_space:  global
        .offset:         16
        .size:           8
        .value_kind:     global_buffer
      - .address_space:  global
        .offset:         24
        .size:           8
        .value_kind:     global_buffer
      - .offset:         32
        .size:           4
        .value_kind:     by_value
      - .offset:         36
        .size:           4
        .value_kind:     by_value
    .group_segment_fixed_size: 0
    .kernarg_segment_align: 8
    .kernarg_segment_size: 40
    .language:       OpenCL C
    .language_version:
      - 2
      - 0
    .max_flat_workgroup_size: 64
    .name:           _ZN5aiter32wv_splitk_small_fp16_bf16_kernelI14__hip_bfloat16Li64ELi1ELi1ELi8ELi4ELi1EEEviiPKT_S4_PS2_ii
    .private_segment_fixed_size: 0
    .sgpr_count:     35
    .sgpr_spill_count: 0
    .symbol:         _ZN5aiter32wv_splitk_small_fp16_bf16_kernelI14__hip_bfloat16Li64ELi1ELi1ELi8ELi4ELi1EEEviiPKT_S4_PS2_ii.kd
    .uniform_work_group_size: 1
    .uses_dynamic_stack: false
    .vgpr_count:     50
    .vgpr_spill_count: 0
    .wavefront_size: 64
  - .agpr_count:     0
    .args:
      - .offset:         0
        .size:           4
        .value_kind:     by_value
      - .offset:         4
        .size:           4
        .value_kind:     by_value
      - .address_space:  global
        .offset:         8
        .size:           8
        .value_kind:     global_buffer
      - .actual_access:  read_only
        .address_space:  global
        .offset:         16
        .size:           8
        .value_kind:     global_buffer
      - .address_space:  global
        .offset:         24
        .size:           8
        .value_kind:     global_buffer
      - .offset:         32
        .size:           4
        .value_kind:     by_value
      - .offset:         36
        .size:           4
        .value_kind:     by_value
    .group_segment_fixed_size: 0
    .kernarg_segment_align: 8
    .kernarg_segment_size: 40
    .language:       OpenCL C
    .language_version:
      - 2
      - 0
    .max_flat_workgroup_size: 64
    .name:           _ZN5aiter32wv_splitk_small_fp16_bf16_kernelI14__hip_bfloat16Li64ELi1ELi1ELi8ELi4ELi2EEEviiPKT_S4_PS2_ii
    .private_segment_fixed_size: 0
    .sgpr_count:     37
    .sgpr_spill_count: 0
    .symbol:         _ZN5aiter32wv_splitk_small_fp16_bf16_kernelI14__hip_bfloat16Li64ELi1ELi1ELi8ELi4ELi2EEEviiPKT_S4_PS2_ii.kd
    .uniform_work_group_size: 1
    .uses_dynamic_stack: false
    .vgpr_count:     88
    .vgpr_spill_count: 0
    .wavefront_size: 64
  - .agpr_count:     0
    .args:
      - .offset:         0
        .size:           4
        .value_kind:     by_value
      - .offset:         4
        .size:           4
        .value_kind:     by_value
      - .address_space:  global
        .offset:         8
        .size:           8
        .value_kind:     global_buffer
      - .actual_access:  read_only
        .address_space:  global
        .offset:         16
        .size:           8
        .value_kind:     global_buffer
      - .address_space:  global
        .offset:         24
        .size:           8
        .value_kind:     global_buffer
      - .offset:         32
        .size:           4
        .value_kind:     by_value
      - .offset:         36
        .size:           4
        .value_kind:     by_value
    .group_segment_fixed_size: 0
    .kernarg_segment_align: 8
    .kernarg_segment_size: 40
    .language:       OpenCL C
    .language_version:
      - 2
      - 0
    .max_flat_workgroup_size: 64
    .name:           _ZN5aiter32wv_splitk_small_fp16_bf16_kernelI14__hip_bfloat16Li64ELi1ELi1ELi8ELi4ELi3EEEviiPKT_S4_PS2_ii
    .private_segment_fixed_size: 0
    .sgpr_count:     37
    .sgpr_spill_count: 0
    .symbol:         _ZN5aiter32wv_splitk_small_fp16_bf16_kernelI14__hip_bfloat16Li64ELi1ELi1ELi8ELi4ELi3EEEviiPKT_S4_PS2_ii.kd
    .uniform_work_group_size: 1
    .uses_dynamic_stack: false
    .vgpr_count:     100
    .vgpr_spill_count: 0
    .wavefront_size: 64
  - .agpr_count:     0
    .args:
      - .offset:         0
        .size:           4
        .value_kind:     by_value
      - .offset:         4
        .size:           4
        .value_kind:     by_value
      - .address_space:  global
        .offset:         8
        .size:           8
        .value_kind:     global_buffer
      - .actual_access:  read_only
        .address_space:  global
        .offset:         16
        .size:           8
        .value_kind:     global_buffer
      - .address_space:  global
        .offset:         24
        .size:           8
        .value_kind:     global_buffer
      - .offset:         32
        .size:           4
        .value_kind:     by_value
      - .offset:         36
        .size:           4
        .value_kind:     by_value
    .group_segment_fixed_size: 0
    .kernarg_segment_align: 8
    .kernarg_segment_size: 40
    .language:       OpenCL C
    .language_version:
      - 2
      - 0
    .max_flat_workgroup_size: 64
    .name:           _ZN5aiter32wv_splitk_small_fp16_bf16_kernelI14__hip_bfloat16Li64ELi1ELi1ELi8ELi4ELi4EEEviiPKT_S4_PS2_ii
    .private_segment_fixed_size: 0
    .sgpr_count:     37
    .sgpr_spill_count: 0
    .symbol:         _ZN5aiter32wv_splitk_small_fp16_bf16_kernelI14__hip_bfloat16Li64ELi1ELi1ELi8ELi4ELi4EEEviiPKT_S4_PS2_ii.kd
    .uniform_work_group_size: 1
    .uses_dynamic_stack: false
    .vgpr_count:     136
    .vgpr_spill_count: 0
    .wavefront_size: 64
  - .agpr_count:     0
    .args:
      - .offset:         0
        .size:           4
        .value_kind:     by_value
      - .offset:         4
        .size:           4
        .value_kind:     by_value
      - .address_space:  global
        .offset:         8
        .size:           8
        .value_kind:     global_buffer
      - .actual_access:  read_only
        .address_space:  global
        .offset:         16
        .size:           8
        .value_kind:     global_buffer
      - .address_space:  global
        .offset:         24
        .size:           8
        .value_kind:     global_buffer
      - .offset:         32
        .size:           4
        .value_kind:     by_value
      - .offset:         36
        .size:           4
        .value_kind:     by_value
    .group_segment_fixed_size: 0
    .kernarg_segment_align: 8
    .kernarg_segment_size: 40
    .language:       OpenCL C
    .language_version:
      - 2
      - 0
    .max_flat_workgroup_size: 64
    .name:           _ZN5aiter32wv_splitk_small_fp16_bf16_kernelI14__hip_bfloat16Li64ELi1ELi1ELi8ELi4ELi5EEEviiPKT_S4_PS2_ii
    .private_segment_fixed_size: 0
    .sgpr_count:     37
    .sgpr_spill_count: 0
    .symbol:         _ZN5aiter32wv_splitk_small_fp16_bf16_kernelI14__hip_bfloat16Li64ELi1ELi1ELi8ELi4ELi5EEEviiPKT_S4_PS2_ii.kd
    .uniform_work_group_size: 1
    .uses_dynamic_stack: false
    .vgpr_count:     154
    .vgpr_spill_count: 0
    .wavefront_size: 64
  - .agpr_count:     0
    .args:
      - .offset:         0
        .size:           4
        .value_kind:     by_value
      - .offset:         4
        .size:           4
        .value_kind:     by_value
      - .address_space:  global
        .offset:         8
        .size:           8
        .value_kind:     global_buffer
      - .actual_access:  read_only
        .address_space:  global
        .offset:         16
        .size:           8
        .value_kind:     global_buffer
      - .address_space:  global
        .offset:         24
        .size:           8
        .value_kind:     global_buffer
      - .offset:         32
        .size:           4
        .value_kind:     by_value
      - .offset:         36
        .size:           4
        .value_kind:     by_value
    .group_segment_fixed_size: 0
    .kernarg_segment_align: 8
    .kernarg_segment_size: 40
    .language:       OpenCL C
    .language_version:
      - 2
      - 0
    .max_flat_workgroup_size: 64
    .name:           _ZN5aiter32wv_splitk_small_fp16_bf16_kernelI14__hip_bfloat16Li64ELi1ELi1ELi8ELi4ELi6EEEviiPKT_S4_PS2_ii
    .private_segment_fixed_size: 0
    .sgpr_count:     37
    .sgpr_spill_count: 0
    .symbol:         _ZN5aiter32wv_splitk_small_fp16_bf16_kernelI14__hip_bfloat16Li64ELi1ELi1ELi8ELi4ELi6EEEviiPKT_S4_PS2_ii.kd
    .uniform_work_group_size: 1
    .uses_dynamic_stack: false
    .vgpr_count:     182
    .vgpr_spill_count: 0
    .wavefront_size: 64
  - .agpr_count:     0
    .args:
      - .offset:         0
        .size:           4
        .value_kind:     by_value
      - .offset:         4
        .size:           4
        .value_kind:     by_value
      - .address_space:  global
        .offset:         8
        .size:           8
        .value_kind:     global_buffer
      - .actual_access:  read_only
        .address_space:  global
        .offset:         16
        .size:           8
        .value_kind:     global_buffer
      - .address_space:  global
        .offset:         24
        .size:           8
        .value_kind:     global_buffer
      - .offset:         32
        .size:           4
        .value_kind:     by_value
      - .offset:         36
        .size:           4
        .value_kind:     by_value
    .group_segment_fixed_size: 0
    .kernarg_segment_align: 8
    .kernarg_segment_size: 40
    .language:       OpenCL C
    .language_version:
      - 2
      - 0
    .max_flat_workgroup_size: 64
    .name:           _ZN5aiter32wv_splitk_small_fp16_bf16_kernelI14__hip_bfloat16Li64ELi1ELi1ELi8ELi4ELi7EEEviiPKT_S4_PS2_ii
    .private_segment_fixed_size: 0
    .sgpr_count:     37
    .sgpr_spill_count: 0
    .symbol:         _ZN5aiter32wv_splitk_small_fp16_bf16_kernelI14__hip_bfloat16Li64ELi1ELi1ELi8ELi4ELi7EEEviiPKT_S4_PS2_ii.kd
    .uniform_work_group_size: 1
    .uses_dynamic_stack: false
    .vgpr_count:     200
    .vgpr_spill_count: 0
    .wavefront_size: 64
  - .agpr_count:     0
    .args:
      - .offset:         0
        .size:           4
        .value_kind:     by_value
      - .offset:         4
        .size:           4
        .value_kind:     by_value
      - .address_space:  global
        .offset:         8
        .size:           8
        .value_kind:     global_buffer
      - .actual_access:  read_only
        .address_space:  global
        .offset:         16
        .size:           8
        .value_kind:     global_buffer
      - .address_space:  global
        .offset:         24
        .size:           8
        .value_kind:     global_buffer
      - .offset:         32
        .size:           4
        .value_kind:     by_value
      - .offset:         36
        .size:           4
        .value_kind:     by_value
    .group_segment_fixed_size: 0
    .kernarg_segment_align: 8
    .kernarg_segment_size: 40
    .language:       OpenCL C
    .language_version:
      - 2
      - 0
    .max_flat_workgroup_size: 64
    .name:           _ZN5aiter32wv_splitk_small_fp16_bf16_kernelI14__hip_bfloat16Li64ELi1ELi1ELi8ELi4ELi8EEEviiPKT_S4_PS2_ii
    .private_segment_fixed_size: 0
    .sgpr_count:     37
    .sgpr_spill_count: 0
    .symbol:         _ZN5aiter32wv_splitk_small_fp16_bf16_kernelI14__hip_bfloat16Li64ELi1ELi1ELi8ELi4ELi8EEEviiPKT_S4_PS2_ii.kd
    .uniform_work_group_size: 1
    .uses_dynamic_stack: false
    .vgpr_count:     230
    .vgpr_spill_count: 0
    .wavefront_size: 64
  - .agpr_count:     0
    .args:
      - .offset:         0
        .size:           4
        .value_kind:     by_value
      - .offset:         4
        .size:           4
        .value_kind:     by_value
      - .address_space:  global
        .offset:         8
        .size:           8
        .value_kind:     global_buffer
      - .actual_access:  read_only
        .address_space:  global
        .offset:         16
        .size:           8
        .value_kind:     global_buffer
      - .address_space:  global
        .offset:         24
        .size:           8
        .value_kind:     global_buffer
      - .offset:         32
        .size:           4
        .value_kind:     by_value
      - .offset:         36
        .size:           4
        .value_kind:     by_value
    .group_segment_fixed_size: 0
    .kernarg_segment_align: 8
    .kernarg_segment_size: 40
    .language:       OpenCL C
    .language_version:
      - 2
      - 0
    .max_flat_workgroup_size: 64
    .name:           _ZN5aiter32wv_splitk_small_fp16_bf16_kernelI14__hip_bfloat16Li64ELi1ELi1ELi8ELi4ELi9EEEviiPKT_S4_PS2_ii
    .private_segment_fixed_size: 0
    .sgpr_count:     37
    .sgpr_spill_count: 0
    .symbol:         _ZN5aiter32wv_splitk_small_fp16_bf16_kernelI14__hip_bfloat16Li64ELi1ELi1ELi8ELi4ELi9EEEviiPKT_S4_PS2_ii.kd
    .uniform_work_group_size: 1
    .uses_dynamic_stack: false
    .vgpr_count:     246
    .vgpr_spill_count: 0
    .wavefront_size: 64
  - .agpr_count:     12
    .args:
      - .offset:         0
        .size:           4
        .value_kind:     by_value
      - .offset:         4
        .size:           4
        .value_kind:     by_value
      - .address_space:  global
        .offset:         8
        .size:           8
        .value_kind:     global_buffer
      - .actual_access:  read_only
        .address_space:  global
        .offset:         16
        .size:           8
        .value_kind:     global_buffer
      - .address_space:  global
        .offset:         24
        .size:           8
        .value_kind:     global_buffer
      - .offset:         32
        .size:           4
        .value_kind:     by_value
      - .offset:         36
        .size:           4
        .value_kind:     by_value
    .group_segment_fixed_size: 0
    .kernarg_segment_align: 8
    .kernarg_segment_size: 40
    .language:       OpenCL C
    .language_version:
      - 2
      - 0
    .max_flat_workgroup_size: 64
    .name:           _ZN5aiter32wv_splitk_small_fp16_bf16_kernelI14__hip_bfloat16Li64ELi1ELi1ELi8ELi4ELi10EEEviiPKT_S4_PS2_ii
    .private_segment_fixed_size: 0
    .sgpr_count:     37
    .sgpr_spill_count: 0
    .symbol:         _ZN5aiter32wv_splitk_small_fp16_bf16_kernelI14__hip_bfloat16Li64ELi1ELi1ELi8ELi4ELi10EEEviiPKT_S4_PS2_ii.kd
    .uniform_work_group_size: 1
    .uses_dynamic_stack: false
    .vgpr_count:     268
    .vgpr_spill_count: 0
    .wavefront_size: 64
  - .agpr_count:     31
    .args:
      - .offset:         0
        .size:           4
        .value_kind:     by_value
      - .offset:         4
        .size:           4
        .value_kind:     by_value
      - .address_space:  global
        .offset:         8
        .size:           8
        .value_kind:     global_buffer
      - .actual_access:  read_only
        .address_space:  global
        .offset:         16
        .size:           8
        .value_kind:     global_buffer
      - .address_space:  global
        .offset:         24
        .size:           8
        .value_kind:     global_buffer
      - .offset:         32
        .size:           4
        .value_kind:     by_value
      - .offset:         36
        .size:           4
        .value_kind:     by_value
    .group_segment_fixed_size: 0
    .kernarg_segment_align: 8
    .kernarg_segment_size: 40
    .language:       OpenCL C
    .language_version:
      - 2
      - 0
    .max_flat_workgroup_size: 64
    .name:           _ZN5aiter32wv_splitk_small_fp16_bf16_kernelI14__hip_bfloat16Li64ELi1ELi1ELi8ELi4ELi11EEEviiPKT_S4_PS2_ii
    .private_segment_fixed_size: 0
    .sgpr_count:     37
    .sgpr_spill_count: 0
    .symbol:         _ZN5aiter32wv_splitk_small_fp16_bf16_kernelI14__hip_bfloat16Li64ELi1ELi1ELi8ELi4ELi11EEEviiPKT_S4_PS2_ii.kd
    .uniform_work_group_size: 1
    .uses_dynamic_stack: false
    .vgpr_count:     287
    .vgpr_spill_count: 0
    .wavefront_size: 64
  - .agpr_count:     63
    .args:
      - .offset:         0
        .size:           4
        .value_kind:     by_value
      - .offset:         4
        .size:           4
        .value_kind:     by_value
      - .address_space:  global
        .offset:         8
        .size:           8
        .value_kind:     global_buffer
      - .actual_access:  read_only
        .address_space:  global
        .offset:         16
        .size:           8
        .value_kind:     global_buffer
      - .address_space:  global
        .offset:         24
        .size:           8
        .value_kind:     global_buffer
      - .offset:         32
        .size:           4
        .value_kind:     by_value
      - .offset:         36
        .size:           4
        .value_kind:     by_value
    .group_segment_fixed_size: 0
    .kernarg_segment_align: 8
    .kernarg_segment_size: 40
    .language:       OpenCL C
    .language_version:
      - 2
      - 0
    .max_flat_workgroup_size: 64
    .name:           _ZN5aiter32wv_splitk_small_fp16_bf16_kernelI14__hip_bfloat16Li64ELi1ELi1ELi8ELi4ELi12EEEviiPKT_S4_PS2_ii
    .private_segment_fixed_size: 0
    .sgpr_count:     37
    .sgpr_spill_count: 0
    .symbol:         _ZN5aiter32wv_splitk_small_fp16_bf16_kernelI14__hip_bfloat16Li64ELi1ELi1ELi8ELi4ELi12EEEviiPKT_S4_PS2_ii.kd
    .uniform_work_group_size: 1
    .uses_dynamic_stack: false
    .vgpr_count:     319
    .vgpr_spill_count: 0
    .wavefront_size: 64
  - .agpr_count:     78
    .args:
      - .offset:         0
        .size:           4
        .value_kind:     by_value
      - .offset:         4
        .size:           4
        .value_kind:     by_value
      - .address_space:  global
        .offset:         8
        .size:           8
        .value_kind:     global_buffer
      - .actual_access:  read_only
        .address_space:  global
        .offset:         16
        .size:           8
        .value_kind:     global_buffer
      - .address_space:  global
        .offset:         24
        .size:           8
        .value_kind:     global_buffer
      - .offset:         32
        .size:           4
        .value_kind:     by_value
      - .offset:         36
        .size:           4
        .value_kind:     by_value
    .group_segment_fixed_size: 0
    .kernarg_segment_align: 8
    .kernarg_segment_size: 40
    .language:       OpenCL C
    .language_version:
      - 2
      - 0
    .max_flat_workgroup_size: 64
    .name:           _ZN5aiter32wv_splitk_small_fp16_bf16_kernelI14__hip_bfloat16Li64ELi1ELi1ELi8ELi4ELi13EEEviiPKT_S4_PS2_ii
    .private_segment_fixed_size: 0
    .sgpr_count:     37
    .sgpr_spill_count: 0
    .symbol:         _ZN5aiter32wv_splitk_small_fp16_bf16_kernelI14__hip_bfloat16Li64ELi1ELi1ELi8ELi4ELi13EEEviiPKT_S4_PS2_ii.kd
    .uniform_work_group_size: 1
    .uses_dynamic_stack: false
    .vgpr_count:     334
    .vgpr_spill_count: 0
    .wavefront_size: 64
  - .agpr_count:     110
    .args:
      - .offset:         0
        .size:           4
        .value_kind:     by_value
      - .offset:         4
        .size:           4
        .value_kind:     by_value
      - .address_space:  global
        .offset:         8
        .size:           8
        .value_kind:     global_buffer
      - .actual_access:  read_only
        .address_space:  global
        .offset:         16
        .size:           8
        .value_kind:     global_buffer
      - .address_space:  global
        .offset:         24
        .size:           8
        .value_kind:     global_buffer
      - .offset:         32
        .size:           4
        .value_kind:     by_value
      - .offset:         36
        .size:           4
        .value_kind:     by_value
    .group_segment_fixed_size: 0
    .kernarg_segment_align: 8
    .kernarg_segment_size: 40
    .language:       OpenCL C
    .language_version:
      - 2
      - 0
    .max_flat_workgroup_size: 64
    .name:           _ZN5aiter32wv_splitk_small_fp16_bf16_kernelI14__hip_bfloat16Li64ELi1ELi1ELi8ELi4ELi14EEEviiPKT_S4_PS2_ii
    .private_segment_fixed_size: 0
    .sgpr_count:     37
    .sgpr_spill_count: 0
    .symbol:         _ZN5aiter32wv_splitk_small_fp16_bf16_kernelI14__hip_bfloat16Li64ELi1ELi1ELi8ELi4ELi14EEEviiPKT_S4_PS2_ii.kd
    .uniform_work_group_size: 1
    .uses_dynamic_stack: false
    .vgpr_count:     366
    .vgpr_spill_count: 0
    .wavefront_size: 64
  - .agpr_count:     128
    .args:
      - .offset:         0
        .size:           4
        .value_kind:     by_value
      - .offset:         4
        .size:           4
        .value_kind:     by_value
      - .address_space:  global
        .offset:         8
        .size:           8
        .value_kind:     global_buffer
      - .actual_access:  read_only
        .address_space:  global
        .offset:         16
        .size:           8
        .value_kind:     global_buffer
      - .address_space:  global
        .offset:         24
        .size:           8
        .value_kind:     global_buffer
      - .offset:         32
        .size:           4
        .value_kind:     by_value
      - .offset:         36
        .size:           4
        .value_kind:     by_value
    .group_segment_fixed_size: 0
    .kernarg_segment_align: 8
    .kernarg_segment_size: 40
    .language:       OpenCL C
    .language_version:
      - 2
      - 0
    .max_flat_workgroup_size: 64
    .name:           _ZN5aiter32wv_splitk_small_fp16_bf16_kernelI14__hip_bfloat16Li64ELi1ELi1ELi8ELi4ELi15EEEviiPKT_S4_PS2_ii
    .private_segment_fixed_size: 0
    .sgpr_count:     37
    .sgpr_spill_count: 0
    .symbol:         _ZN5aiter32wv_splitk_small_fp16_bf16_kernelI14__hip_bfloat16Li64ELi1ELi1ELi8ELi4ELi15EEEviiPKT_S4_PS2_ii.kd
    .uniform_work_group_size: 1
    .uses_dynamic_stack: false
    .vgpr_count:     384
    .vgpr_spill_count: 0
    .wavefront_size: 64
  - .agpr_count:     158
    .args:
      - .offset:         0
        .size:           4
        .value_kind:     by_value
      - .offset:         4
        .size:           4
        .value_kind:     by_value
      - .address_space:  global
        .offset:         8
        .size:           8
        .value_kind:     global_buffer
      - .actual_access:  read_only
        .address_space:  global
        .offset:         16
        .size:           8
        .value_kind:     global_buffer
      - .address_space:  global
        .offset:         24
        .size:           8
        .value_kind:     global_buffer
      - .offset:         32
        .size:           4
        .value_kind:     by_value
      - .offset:         36
        .size:           4
        .value_kind:     by_value
    .group_segment_fixed_size: 0
    .kernarg_segment_align: 8
    .kernarg_segment_size: 40
    .language:       OpenCL C
    .language_version:
      - 2
      - 0
    .max_flat_workgroup_size: 64
    .name:           _ZN5aiter32wv_splitk_small_fp16_bf16_kernelI14__hip_bfloat16Li64ELi1ELi1ELi8ELi4ELi16EEEviiPKT_S4_PS2_ii
    .private_segment_fixed_size: 0
    .sgpr_count:     37
    .sgpr_spill_count: 0
    .symbol:         _ZN5aiter32wv_splitk_small_fp16_bf16_kernelI14__hip_bfloat16Li64ELi1ELi1ELi8ELi4ELi16EEEviiPKT_S4_PS2_ii.kd
    .uniform_work_group_size: 1
    .uses_dynamic_stack: false
    .vgpr_count:     414
    .vgpr_spill_count: 0
    .wavefront_size: 64
  - .agpr_count:     0
    .args:
      - .offset:         0
        .size:           4
        .value_kind:     by_value
      - .offset:         4
        .size:           4
        .value_kind:     by_value
      - .address_space:  global
        .offset:         8
        .size:           8
        .value_kind:     global_buffer
      - .actual_access:  read_only
        .address_space:  global
        .offset:         16
        .size:           8
        .value_kind:     global_buffer
      - .address_space:  global
        .offset:         24
        .size:           8
        .value_kind:     global_buffer
      - .offset:         32
        .size:           4
        .value_kind:     by_value
      - .offset:         36
        .size:           4
        .value_kind:     by_value
    .group_segment_fixed_size: 65536
    .kernarg_segment_align: 8
    .kernarg_segment_size: 40
    .language:       OpenCL C
    .language_version:
      - 2
      - 0
    .max_flat_workgroup_size: 1024
    .name:           _ZN5aiter16wvSplitK_hf_sml_I6__halfLi64ELi2ELi16ELi8ELi2ELi1EEEviiPKT_S4_PS2_ii
    .private_segment_fixed_size: 0
    .sgpr_count:     29
    .sgpr_spill_count: 0
    .symbol:         _ZN5aiter16wvSplitK_hf_sml_I6__halfLi64ELi2ELi16ELi8ELi2ELi1EEEviiPKT_S4_PS2_ii.kd
    .uniform_work_group_size: 1
    .uses_dynamic_stack: false
    .vgpr_count:     40
    .vgpr_spill_count: 0
    .wavefront_size: 64
  - .agpr_count:     0
    .args:
      - .offset:         0
        .size:           4
        .value_kind:     by_value
      - .offset:         4
        .size:           4
        .value_kind:     by_value
      - .address_space:  global
        .offset:         8
        .size:           8
        .value_kind:     global_buffer
      - .actual_access:  read_only
        .address_space:  global
        .offset:         16
        .size:           8
        .value_kind:     global_buffer
      - .address_space:  global
        .offset:         24
        .size:           8
        .value_kind:     global_buffer
      - .offset:         32
        .size:           4
        .value_kind:     by_value
      - .offset:         36
        .size:           4
        .value_kind:     by_value
    .group_segment_fixed_size: 65536
    .kernarg_segment_align: 8
    .kernarg_segment_size: 40
    .language:       OpenCL C
    .language_version:
      - 2
      - 0
    .max_flat_workgroup_size: 1024
    .name:           _ZN5aiter12wvSplitK_hf_I6__halfLi64ELi2ELi16ELi8ELi2ELi1EEEviiPKT_S4_PS2_ii
    .private_segment_fixed_size: 0
    .sgpr_count:     35
    .sgpr_spill_count: 0
    .symbol:         _ZN5aiter12wvSplitK_hf_I6__halfLi64ELi2ELi16ELi8ELi2ELi1EEEviiPKT_S4_PS2_ii.kd
    .uniform_work_group_size: 1
    .uses_dynamic_stack: false
    .vgpr_count:     44
    .vgpr_spill_count: 0
    .wavefront_size: 64
  - .agpr_count:     0
    .args:
      - .offset:         0
        .size:           4
        .value_kind:     by_value
      - .offset:         4
        .size:           4
        .value_kind:     by_value
      - .address_space:  global
        .offset:         8
        .size:           8
        .value_kind:     global_buffer
      - .actual_access:  read_only
        .address_space:  global
        .offset:         16
        .size:           8
        .value_kind:     global_buffer
      - .address_space:  global
        .offset:         24
        .size:           8
        .value_kind:     global_buffer
      - .offset:         32
        .size:           4
        .value_kind:     by_value
      - .offset:         36
        .size:           4
        .value_kind:     by_value
    .group_segment_fixed_size: 65536
    .kernarg_segment_align: 8
    .kernarg_segment_size: 40
    .language:       OpenCL C
    .language_version:
      - 2
      - 0
    .max_flat_workgroup_size: 1024
    .name:           _ZN5aiter16wvSplitK_hf_big_I6__halfLi64ELi2ELi16ELi8ELi2ELi1EEEviiPKT_S4_PS2_ii
    .private_segment_fixed_size: 0
    .sgpr_count:     48
    .sgpr_spill_count: 0
    .symbol:         _ZN5aiter16wvSplitK_hf_big_I6__halfLi64ELi2ELi16ELi8ELi2ELi1EEEviiPKT_S4_PS2_ii.kd
    .uniform_work_group_size: 1
    .uses_dynamic_stack: false
    .vgpr_count:     42
    .vgpr_spill_count: 0
    .wavefront_size: 64
  - .agpr_count:     0
    .args:
      - .offset:         0
        .size:           4
        .value_kind:     by_value
      - .offset:         4
        .size:           4
        .value_kind:     by_value
      - .address_space:  global
        .offset:         8
        .size:           8
        .value_kind:     global_buffer
      - .actual_access:  read_only
        .address_space:  global
        .offset:         16
        .size:           8
        .value_kind:     global_buffer
      - .address_space:  global
        .offset:         24
        .size:           8
        .value_kind:     global_buffer
      - .offset:         32
        .size:           4
        .value_kind:     by_value
      - .offset:         36
        .size:           4
        .value_kind:     by_value
    .group_segment_fixed_size: 65536
    .kernarg_segment_align: 8
    .kernarg_segment_size: 40
    .language:       OpenCL C
    .language_version:
      - 2
      - 0
    .max_flat_workgroup_size: 1024
    .name:           _ZN5aiter16wvSplitK_hf_sml_I6__halfLi64ELi2ELi16ELi8ELi2ELi2EEEviiPKT_S4_PS2_ii
    .private_segment_fixed_size: 0
    .sgpr_count:     30
    .sgpr_spill_count: 0
    .symbol:         _ZN5aiter16wvSplitK_hf_sml_I6__halfLi64ELi2ELi16ELi8ELi2ELi2EEEviiPKT_S4_PS2_ii.kd
    .uniform_work_group_size: 1
    .uses_dynamic_stack: false
    .vgpr_count:     48
    .vgpr_spill_count: 0
    .wavefront_size: 64
  - .agpr_count:     0
    .args:
      - .offset:         0
        .size:           4
        .value_kind:     by_value
      - .offset:         4
        .size:           4
        .value_kind:     by_value
      - .address_space:  global
        .offset:         8
        .size:           8
        .value_kind:     global_buffer
      - .actual_access:  read_only
        .address_space:  global
        .offset:         16
        .size:           8
        .value_kind:     global_buffer
      - .address_space:  global
        .offset:         24
        .size:           8
        .value_kind:     global_buffer
      - .offset:         32
        .size:           4
        .value_kind:     by_value
      - .offset:         36
        .size:           4
        .value_kind:     by_value
    .group_segment_fixed_size: 65536
    .kernarg_segment_align: 8
    .kernarg_segment_size: 40
    .language:       OpenCL C
    .language_version:
      - 2
      - 0
    .max_flat_workgroup_size: 1024
    .name:           _ZN5aiter12wvSplitK_hf_I6__halfLi64ELi2ELi16ELi8ELi2ELi2EEEviiPKT_S4_PS2_ii
    .private_segment_fixed_size: 0
    .sgpr_count:     36
    .sgpr_spill_count: 0
    .symbol:         _ZN5aiter12wvSplitK_hf_I6__halfLi64ELi2ELi16ELi8ELi2ELi2EEEviiPKT_S4_PS2_ii.kd
    .uniform_work_group_size: 1
    .uses_dynamic_stack: false
    .vgpr_count:     54
    .vgpr_spill_count: 0
    .wavefront_size: 64
  - .agpr_count:     0
    .args:
      - .offset:         0
        .size:           4
        .value_kind:     by_value
      - .offset:         4
        .size:           4
        .value_kind:     by_value
      - .address_space:  global
        .offset:         8
        .size:           8
        .value_kind:     global_buffer
      - .actual_access:  read_only
        .address_space:  global
        .offset:         16
        .size:           8
        .value_kind:     global_buffer
      - .address_space:  global
        .offset:         24
        .size:           8
        .value_kind:     global_buffer
      - .offset:         32
        .size:           4
        .value_kind:     by_value
      - .offset:         36
        .size:           4
        .value_kind:     by_value
    .group_segment_fixed_size: 65536
    .kernarg_segment_align: 8
    .kernarg_segment_size: 40
    .language:       OpenCL C
    .language_version:
      - 2
      - 0
    .max_flat_workgroup_size: 1024
    .name:           _ZN5aiter16wvSplitK_hf_big_I6__halfLi64ELi2ELi16ELi8ELi2ELi2EEEviiPKT_S4_PS2_ii
    .private_segment_fixed_size: 0
    .sgpr_count:     48
    .sgpr_spill_count: 0
    .symbol:         _ZN5aiter16wvSplitK_hf_big_I6__halfLi64ELi2ELi16ELi8ELi2ELi2EEEviiPKT_S4_PS2_ii.kd
    .uniform_work_group_size: 1
    .uses_dynamic_stack: false
    .vgpr_count:     58
    .vgpr_spill_count: 0
    .wavefront_size: 64
  - .agpr_count:     0
    .args:
      - .offset:         0
        .size:           4
        .value_kind:     by_value
      - .offset:         4
        .size:           4
        .value_kind:     by_value
      - .address_space:  global
        .offset:         8
        .size:           8
        .value_kind:     global_buffer
      - .actual_access:  read_only
        .address_space:  global
        .offset:         16
        .size:           8
        .value_kind:     global_buffer
      - .address_space:  global
        .offset:         24
        .size:           8
        .value_kind:     global_buffer
      - .offset:         32
        .size:           4
        .value_kind:     by_value
      - .offset:         36
        .size:           4
        .value_kind:     by_value
    .group_segment_fixed_size: 65536
    .kernarg_segment_align: 8
    .kernarg_segment_size: 40
    .language:       OpenCL C
    .language_version:
      - 2
      - 0
    .max_flat_workgroup_size: 1024
    .name:           _ZN5aiter16wvSplitK_hf_sml_I6__halfLi64ELi4ELi16ELi8ELi1ELi3EEEviiPKT_S4_PS2_ii
    .private_segment_fixed_size: 0
    .sgpr_count:     29
    .sgpr_spill_count: 0
    .symbol:         _ZN5aiter16wvSplitK_hf_sml_I6__halfLi64ELi4ELi16ELi8ELi1ELi3EEEviiPKT_S4_PS2_ii.kd
    .uniform_work_group_size: 1
    .uses_dynamic_stack: false
    .vgpr_count:     47
    .vgpr_spill_count: 0
    .wavefront_size: 64
  - .agpr_count:     0
    .args:
      - .offset:         0
        .size:           4
        .value_kind:     by_value
      - .offset:         4
        .size:           4
        .value_kind:     by_value
      - .address_space:  global
        .offset:         8
        .size:           8
        .value_kind:     global_buffer
      - .actual_access:  read_only
        .address_space:  global
        .offset:         16
        .size:           8
        .value_kind:     global_buffer
      - .address_space:  global
        .offset:         24
        .size:           8
        .value_kind:     global_buffer
      - .offset:         32
        .size:           4
        .value_kind:     by_value
      - .offset:         36
        .size:           4
        .value_kind:     by_value
    .group_segment_fixed_size: 65536
    .kernarg_segment_align: 8
    .kernarg_segment_size: 40
    .language:       OpenCL C
    .language_version:
      - 2
      - 0
    .max_flat_workgroup_size: 1024
    .name:           _ZN5aiter12wvSplitK_hf_I6__halfLi64ELi7ELi16ELi8ELi1ELi3EEEviiPKT_S4_PS2_ii
    .private_segment_fixed_size: 0
    .sgpr_count:     44
    .sgpr_spill_count: 0
    .symbol:         _ZN5aiter12wvSplitK_hf_I6__halfLi64ELi7ELi16ELi8ELi1ELi3EEEviiPKT_S4_PS2_ii.kd
    .uniform_work_group_size: 1
    .uses_dynamic_stack: false
    .vgpr_count:     75
    .vgpr_spill_count: 0
    .wavefront_size: 64
  - .agpr_count:     0
    .args:
      - .offset:         0
        .size:           4
        .value_kind:     by_value
      - .offset:         4
        .size:           4
        .value_kind:     by_value
      - .address_space:  global
        .offset:         8
        .size:           8
        .value_kind:     global_buffer
      - .actual_access:  read_only
        .address_space:  global
        .offset:         16
        .size:           8
        .value_kind:     global_buffer
      - .address_space:  global
        .offset:         24
        .size:           8
        .value_kind:     global_buffer
      - .offset:         32
        .size:           4
        .value_kind:     by_value
      - .offset:         36
        .size:           4
        .value_kind:     by_value
    .group_segment_fixed_size: 65536
    .kernarg_segment_align: 8
    .kernarg_segment_size: 40
    .language:       OpenCL C
    .language_version:
      - 2
      - 0
    .max_flat_workgroup_size: 1024
    .name:           _ZN5aiter16wvSplitK_hf_big_I6__halfLi64ELi7ELi16ELi8ELi1ELi3EEEviiPKT_S4_PS2_ii
    .private_segment_fixed_size: 0
    .sgpr_count:     54
    .sgpr_spill_count: 0
    .symbol:         _ZN5aiter16wvSplitK_hf_big_I6__halfLi64ELi7ELi16ELi8ELi1ELi3EEEviiPKT_S4_PS2_ii.kd
    .uniform_work_group_size: 1
    .uses_dynamic_stack: false
    .vgpr_count:     79
    .vgpr_spill_count: 0
    .wavefront_size: 64
  - .agpr_count:     0
    .args:
      - .offset:         0
        .size:           4
        .value_kind:     by_value
      - .offset:         4
        .size:           4
        .value_kind:     by_value
      - .address_space:  global
        .offset:         8
        .size:           8
        .value_kind:     global_buffer
      - .actual_access:  read_only
        .address_space:  global
        .offset:         16
        .size:           8
        .value_kind:     global_buffer
      - .address_space:  global
        .offset:         24
        .size:           8
        .value_kind:     global_buffer
      - .offset:         32
        .size:           4
        .value_kind:     by_value
      - .offset:         36
        .size:           4
        .value_kind:     by_value
    .group_segment_fixed_size: 65536
    .kernarg_segment_align: 8
    .kernarg_segment_size: 40
    .language:       OpenCL C
    .language_version:
      - 2
      - 0
    .max_flat_workgroup_size: 1024
    .name:           _ZN5aiter16wvSplitK_hf_sml_I6__halfLi64ELi4ELi16ELi8ELi1ELi4EEEviiPKT_S4_PS2_ii
    .private_segment_fixed_size: 0
    .sgpr_count:     30
    .sgpr_spill_count: 0
    .symbol:         _ZN5aiter16wvSplitK_hf_sml_I6__halfLi64ELi4ELi16ELi8ELi1ELi4EEEviiPKT_S4_PS2_ii.kd
    .uniform_work_group_size: 1
    .uses_dynamic_stack: false
    .vgpr_count:     55
    .vgpr_spill_count: 0
    .wavefront_size: 64
  - .agpr_count:     0
    .args:
      - .offset:         0
        .size:           4
        .value_kind:     by_value
      - .offset:         4
        .size:           4
        .value_kind:     by_value
      - .address_space:  global
        .offset:         8
        .size:           8
        .value_kind:     global_buffer
      - .actual_access:  read_only
        .address_space:  global
        .offset:         16
        .size:           8
        .value_kind:     global_buffer
      - .address_space:  global
        .offset:         24
        .size:           8
        .value_kind:     global_buffer
      - .offset:         32
        .size:           4
        .value_kind:     by_value
      - .offset:         36
        .size:           4
        .value_kind:     by_value
    .group_segment_fixed_size: 65536
    .kernarg_segment_align: 8
    .kernarg_segment_size: 40
    .language:       OpenCL C
    .language_version:
      - 2
      - 0
    .max_flat_workgroup_size: 1024
    .name:           _ZN5aiter12wvSplitK_hf_I6__halfLi64ELi7ELi16ELi8ELi1ELi4EEEviiPKT_S4_PS2_ii
    .private_segment_fixed_size: 0
    .sgpr_count:     47
    .sgpr_spill_count: 0
    .symbol:         _ZN5aiter12wvSplitK_hf_I6__halfLi64ELi7ELi16ELi8ELi1ELi4EEEviiPKT_S4_PS2_ii.kd
    .uniform_work_group_size: 1
    .uses_dynamic_stack: false
    .vgpr_count:     91
    .vgpr_spill_count: 0
    .wavefront_size: 64
  - .agpr_count:     0
    .args:
      - .offset:         0
        .size:           4
        .value_kind:     by_value
      - .offset:         4
        .size:           4
        .value_kind:     by_value
      - .address_space:  global
        .offset:         8
        .size:           8
        .value_kind:     global_buffer
      - .actual_access:  read_only
        .address_space:  global
        .offset:         16
        .size:           8
        .value_kind:     global_buffer
      - .address_space:  global
        .offset:         24
        .size:           8
        .value_kind:     global_buffer
      - .offset:         32
        .size:           4
        .value_kind:     by_value
      - .offset:         36
        .size:           4
        .value_kind:     by_value
    .group_segment_fixed_size: 65536
    .kernarg_segment_align: 8
    .kernarg_segment_size: 40
    .language:       OpenCL C
    .language_version:
      - 2
      - 0
    .max_flat_workgroup_size: 1024
    .name:           _ZN5aiter16wvSplitK_hf_big_I6__halfLi64ELi7ELi16ELi8ELi1ELi4EEEviiPKT_S4_PS2_ii
    .private_segment_fixed_size: 0
    .sgpr_count:     58
    .sgpr_spill_count: 0
    .symbol:         _ZN5aiter16wvSplitK_hf_big_I6__halfLi64ELi7ELi16ELi8ELi1ELi4EEEviiPKT_S4_PS2_ii.kd
    .uniform_work_group_size: 1
    .uses_dynamic_stack: false
    .vgpr_count:     92
    .vgpr_spill_count: 0
    .wavefront_size: 64
  - .agpr_count:     0
    .args:
      - .offset:         0
        .size:           4
        .value_kind:     by_value
      - .offset:         4
        .size:           4
        .value_kind:     by_value
      - .address_space:  global
        .offset:         8
        .size:           8
        .value_kind:     global_buffer
      - .actual_access:  read_only
        .address_space:  global
        .offset:         16
        .size:           8
        .value_kind:     global_buffer
      - .address_space:  global
        .offset:         24
        .size:           8
        .value_kind:     global_buffer
      - .offset:         32
        .size:           4
        .value_kind:     by_value
      - .offset:         36
        .size:           4
        .value_kind:     by_value
    .group_segment_fixed_size: 65536
    .kernarg_segment_align: 8
    .kernarg_segment_size: 40
    .language:       OpenCL C
    .language_version:
      - 2
      - 0
    .max_flat_workgroup_size: 1024
    .name:           _ZN5aiter16wvSplitK_hf_sml_I14__hip_bfloat16Li64ELi2ELi16ELi8ELi2ELi1EEEviiPKT_S4_PS2_ii
    .private_segment_fixed_size: 0
    .sgpr_count:     31
    .sgpr_spill_count: 0
    .symbol:         _ZN5aiter16wvSplitK_hf_sml_I14__hip_bfloat16Li64ELi2ELi16ELi8ELi2ELi1EEEviiPKT_S4_PS2_ii.kd
    .uniform_work_group_size: 1
    .uses_dynamic_stack: false
    .vgpr_count:     62
    .vgpr_spill_count: 0
    .wavefront_size: 64
  - .agpr_count:     0
    .args:
      - .offset:         0
        .size:           4
        .value_kind:     by_value
      - .offset:         4
        .size:           4
        .value_kind:     by_value
      - .address_space:  global
        .offset:         8
        .size:           8
        .value_kind:     global_buffer
      - .actual_access:  read_only
        .address_space:  global
        .offset:         16
        .size:           8
        .value_kind:     global_buffer
      - .address_space:  global
        .offset:         24
        .size:           8
        .value_kind:     global_buffer
      - .offset:         32
        .size:           4
        .value_kind:     by_value
      - .offset:         36
        .size:           4
        .value_kind:     by_value
    .group_segment_fixed_size: 65536
    .kernarg_segment_align: 8
    .kernarg_segment_size: 40
    .language:       OpenCL C
    .language_version:
      - 2
      - 0
    .max_flat_workgroup_size: 1024
    .name:           _ZN5aiter12wvSplitK_hf_I14__hip_bfloat16Li64ELi2ELi16ELi8ELi2ELi1EEEviiPKT_S4_PS2_ii
    .private_segment_fixed_size: 0
    .sgpr_count:     36
    .sgpr_spill_count: 0
    .symbol:         _ZN5aiter12wvSplitK_hf_I14__hip_bfloat16Li64ELi2ELi16ELi8ELi2ELi1EEEviiPKT_S4_PS2_ii.kd
    .uniform_work_group_size: 1
    .uses_dynamic_stack: false
    .vgpr_count:     56
    .vgpr_spill_count: 0
    .wavefront_size: 64
  - .agpr_count:     0
    .args:
      - .offset:         0
        .size:           4
        .value_kind:     by_value
      - .offset:         4
        .size:           4
        .value_kind:     by_value
      - .address_space:  global
        .offset:         8
        .size:           8
        .value_kind:     global_buffer
      - .actual_access:  read_only
        .address_space:  global
        .offset:         16
        .size:           8
        .value_kind:     global_buffer
      - .address_space:  global
        .offset:         24
        .size:           8
        .value_kind:     global_buffer
      - .offset:         32
        .size:           4
        .value_kind:     by_value
      - .offset:         36
        .size:           4
        .value_kind:     by_value
    .group_segment_fixed_size: 65536
    .kernarg_segment_align: 8
    .kernarg_segment_size: 40
    .language:       OpenCL C
    .language_version:
      - 2
      - 0
    .max_flat_workgroup_size: 1024
    .name:           _ZN5aiter16wvSplitK_hf_big_I14__hip_bfloat16Li64ELi2ELi16ELi8ELi2ELi1EEEviiPKT_S4_PS2_ii
    .private_segment_fixed_size: 0
    .sgpr_count:     50
    .sgpr_spill_count: 0
    .symbol:         _ZN5aiter16wvSplitK_hf_big_I14__hip_bfloat16Li64ELi2ELi16ELi8ELi2ELi1EEEviiPKT_S4_PS2_ii.kd
    .uniform_work_group_size: 1
    .uses_dynamic_stack: false
    .vgpr_count:     62
    .vgpr_spill_count: 0
    .wavefront_size: 64
  - .agpr_count:     0
    .args:
      - .offset:         0
        .size:           4
        .value_kind:     by_value
      - .offset:         4
        .size:           4
        .value_kind:     by_value
      - .address_space:  global
        .offset:         8
        .size:           8
        .value_kind:     global_buffer
      - .actual_access:  read_only
        .address_space:  global
        .offset:         16
        .size:           8
        .value_kind:     global_buffer
      - .address_space:  global
        .offset:         24
        .size:           8
        .value_kind:     global_buffer
      - .offset:         32
        .size:           4
        .value_kind:     by_value
      - .offset:         36
        .size:           4
        .value_kind:     by_value
    .group_segment_fixed_size: 65536
    .kernarg_segment_align: 8
    .kernarg_segment_size: 40
    .language:       OpenCL C
    .language_version:
      - 2
      - 0
    .max_flat_workgroup_size: 1024
    .name:           _ZN5aiter16wvSplitK_hf_sml_I14__hip_bfloat16Li64ELi2ELi16ELi8ELi2ELi2EEEviiPKT_S4_PS2_ii
    .private_segment_fixed_size: 0
    .sgpr_count:     33
    .sgpr_spill_count: 0
    .symbol:         _ZN5aiter16wvSplitK_hf_sml_I14__hip_bfloat16Li64ELi2ELi16ELi8ELi2ELi2EEEviiPKT_S4_PS2_ii.kd
    .uniform_work_group_size: 1
    .uses_dynamic_stack: false
    .vgpr_count:     108
    .vgpr_spill_count: 0
    .wavefront_size: 64
  - .agpr_count:     0
    .args:
      - .offset:         0
        .size:           4
        .value_kind:     by_value
      - .offset:         4
        .size:           4
        .value_kind:     by_value
      - .address_space:  global
        .offset:         8
        .size:           8
        .value_kind:     global_buffer
      - .actual_access:  read_only
        .address_space:  global
        .offset:         16
        .size:           8
        .value_kind:     global_buffer
      - .address_space:  global
        .offset:         24
        .size:           8
        .value_kind:     global_buffer
      - .offset:         32
        .size:           4
        .value_kind:     by_value
      - .offset:         36
        .size:           4
        .value_kind:     by_value
    .group_segment_fixed_size: 65536
    .kernarg_segment_align: 8
    .kernarg_segment_size: 40
    .language:       OpenCL C
    .language_version:
      - 2
      - 0
    .max_flat_workgroup_size: 1024
    .name:           _ZN5aiter12wvSplitK_hf_I14__hip_bfloat16Li64ELi2ELi16ELi8ELi2ELi2EEEviiPKT_S4_PS2_ii
    .private_segment_fixed_size: 0
    .sgpr_count:     37
    .sgpr_spill_count: 0
    .symbol:         _ZN5aiter12wvSplitK_hf_I14__hip_bfloat16Li64ELi2ELi16ELi8ELi2ELi2EEEviiPKT_S4_PS2_ii.kd
    .uniform_work_group_size: 1
    .uses_dynamic_stack: false
    .vgpr_count:     84
    .vgpr_spill_count: 0
    .wavefront_size: 64
  - .agpr_count:     0
    .args:
      - .offset:         0
        .size:           4
        .value_kind:     by_value
      - .offset:         4
        .size:           4
        .value_kind:     by_value
      - .address_space:  global
        .offset:         8
        .size:           8
        .value_kind:     global_buffer
      - .actual_access:  read_only
        .address_space:  global
        .offset:         16
        .size:           8
        .value_kind:     global_buffer
      - .address_space:  global
        .offset:         24
        .size:           8
        .value_kind:     global_buffer
      - .offset:         32
        .size:           4
        .value_kind:     by_value
      - .offset:         36
        .size:           4
        .value_kind:     by_value
    .group_segment_fixed_size: 65536
    .kernarg_segment_align: 8
    .kernarg_segment_size: 40
    .language:       OpenCL C
    .language_version:
      - 2
      - 0
    .max_flat_workgroup_size: 1024
    .name:           _ZN5aiter16wvSplitK_hf_big_I14__hip_bfloat16Li64ELi2ELi16ELi8ELi2ELi2EEEviiPKT_S4_PS2_ii
    .private_segment_fixed_size: 0
    .sgpr_count:     50
    .sgpr_spill_count: 0
    .symbol:         _ZN5aiter16wvSplitK_hf_big_I14__hip_bfloat16Li64ELi2ELi16ELi8ELi2ELi2EEEviiPKT_S4_PS2_ii.kd
    .uniform_work_group_size: 1
    .uses_dynamic_stack: false
    .vgpr_count:     110
    .vgpr_spill_count: 0
    .wavefront_size: 64
  - .agpr_count:     0
    .args:
      - .offset:         0
        .size:           4
        .value_kind:     by_value
      - .offset:         4
        .size:           4
        .value_kind:     by_value
      - .address_space:  global
        .offset:         8
        .size:           8
        .value_kind:     global_buffer
      - .actual_access:  read_only
        .address_space:  global
        .offset:         16
        .size:           8
        .value_kind:     global_buffer
      - .address_space:  global
        .offset:         24
        .size:           8
        .value_kind:     global_buffer
      - .offset:         32
        .size:           4
        .value_kind:     by_value
      - .offset:         36
        .size:           4
        .value_kind:     by_value
    .group_segment_fixed_size: 65536
    .kernarg_segment_align: 8
    .kernarg_segment_size: 40
    .language:       OpenCL C
    .language_version:
      - 2
      - 0
    .max_flat_workgroup_size: 1024
    .name:           _ZN5aiter16wvSplitK_hf_sml_I14__hip_bfloat16Li64ELi4ELi16ELi8ELi1ELi3EEEviiPKT_S4_PS2_ii
    .private_segment_fixed_size: 0
    .sgpr_count:     32
    .sgpr_spill_count: 0
    .symbol:         _ZN5aiter16wvSplitK_hf_sml_I14__hip_bfloat16Li64ELi4ELi16ELi8ELi1ELi3EEEviiPKT_S4_PS2_ii.kd
    .uniform_work_group_size: 1
    .uses_dynamic_stack: false
    .vgpr_count:     92
    .vgpr_spill_count: 0
    .wavefront_size: 64
  - .agpr_count:     0
    .args:
      - .offset:         0
        .size:           4
        .value_kind:     by_value
      - .offset:         4
        .size:           4
        .value_kind:     by_value
      - .address_space:  global
        .offset:         8
        .size:           8
        .value_kind:     global_buffer
      - .actual_access:  read_only
        .address_space:  global
        .offset:         16
        .size:           8
        .value_kind:     global_buffer
      - .address_space:  global
        .offset:         24
        .size:           8
        .value_kind:     global_buffer
      - .offset:         32
        .size:           4
        .value_kind:     by_value
      - .offset:         36
        .size:           4
        .value_kind:     by_value
    .group_segment_fixed_size: 65536
    .kernarg_segment_align: 8
    .kernarg_segment_size: 40
    .language:       OpenCL C
    .language_version:
      - 2
      - 0
    .max_flat_workgroup_size: 1024
    .name:           _ZN5aiter12wvSplitK_hf_I14__hip_bfloat16Li64ELi7ELi16ELi8ELi1ELi3EEEviiPKT_S4_PS2_ii
    .private_segment_fixed_size: 76
    .sgpr_count:     49
    .sgpr_spill_count: 0
    .symbol:         _ZN5aiter12wvSplitK_hf_I14__hip_bfloat16Li64ELi7ELi16ELi8ELi1ELi3EEEviiPKT_S4_PS2_ii.kd
    .uniform_work_group_size: 1
    .uses_dynamic_stack: false
    .vgpr_count:     128
    .vgpr_spill_count: 50
    .wavefront_size: 64
  - .agpr_count:     0
    .args:
      - .offset:         0
        .size:           4
        .value_kind:     by_value
      - .offset:         4
        .size:           4
        .value_kind:     by_value
      - .address_space:  global
        .offset:         8
        .size:           8
        .value_kind:     global_buffer
      - .actual_access:  read_only
        .address_space:  global
        .offset:         16
        .size:           8
        .value_kind:     global_buffer
      - .address_space:  global
        .offset:         24
        .size:           8
        .value_kind:     global_buffer
      - .offset:         32
        .size:           4
        .value_kind:     by_value
      - .offset:         36
        .size:           4
        .value_kind:     by_value
    .group_segment_fixed_size: 65536
    .kernarg_segment_align: 8
    .kernarg_segment_size: 40
    .language:       OpenCL C
    .language_version:
      - 2
      - 0
    .max_flat_workgroup_size: 1024
    .name:           _ZN5aiter16wvSplitK_hf_big_I14__hip_bfloat16Li64ELi7ELi16ELi8ELi1ELi3EEEviiPKT_S4_PS2_ii
    .private_segment_fixed_size: 0
    .sgpr_count:     60
    .sgpr_spill_count: 0
    .symbol:         _ZN5aiter16wvSplitK_hf_big_I14__hip_bfloat16Li64ELi7ELi16ELi8ELi1ELi3EEEviiPKT_S4_PS2_ii.kd
    .uniform_work_group_size: 1
    .uses_dynamic_stack: false
    .vgpr_count:     124
    .vgpr_spill_count: 0
    .wavefront_size: 64
  - .agpr_count:     0
    .args:
      - .offset:         0
        .size:           4
        .value_kind:     by_value
      - .offset:         4
        .size:           4
        .value_kind:     by_value
      - .address_space:  global
        .offset:         8
        .size:           8
        .value_kind:     global_buffer
      - .actual_access:  read_only
        .address_space:  global
        .offset:         16
        .size:           8
        .value_kind:     global_buffer
      - .address_space:  global
        .offset:         24
        .size:           8
        .value_kind:     global_buffer
      - .offset:         32
        .size:           4
        .value_kind:     by_value
      - .offset:         36
        .size:           4
        .value_kind:     by_value
    .group_segment_fixed_size: 65536
    .kernarg_segment_align: 8
    .kernarg_segment_size: 40
    .language:       OpenCL C
    .language_version:
      - 2
      - 0
    .max_flat_workgroup_size: 1024
    .name:           _ZN5aiter16wvSplitK_hf_sml_I14__hip_bfloat16Li64ELi4ELi16ELi8ELi1ELi4EEEviiPKT_S4_PS2_ii
    .private_segment_fixed_size: 0
    .sgpr_count:     33
    .sgpr_spill_count: 0
    .symbol:         _ZN5aiter16wvSplitK_hf_sml_I14__hip_bfloat16Li64ELi4ELi16ELi8ELi1ELi4EEEviiPKT_S4_PS2_ii.kd
    .uniform_work_group_size: 1
    .uses_dynamic_stack: false
    .vgpr_count:     96
    .vgpr_spill_count: 0
    .wavefront_size: 64
  - .agpr_count:     0
    .args:
      - .offset:         0
        .size:           4
        .value_kind:     by_value
      - .offset:         4
        .size:           4
        .value_kind:     by_value
      - .address_space:  global
        .offset:         8
        .size:           8
        .value_kind:     global_buffer
      - .actual_access:  read_only
        .address_space:  global
        .offset:         16
        .size:           8
        .value_kind:     global_buffer
      - .address_space:  global
        .offset:         24
        .size:           8
        .value_kind:     global_buffer
      - .offset:         32
        .size:           4
        .value_kind:     by_value
      - .offset:         36
        .size:           4
        .value_kind:     by_value
    .group_segment_fixed_size: 65536
    .kernarg_segment_align: 8
    .kernarg_segment_size: 40
    .language:       OpenCL C
    .language_version:
      - 2
      - 0
    .max_flat_workgroup_size: 1024
    .name:           _ZN5aiter12wvSplitK_hf_I14__hip_bfloat16Li64ELi7ELi16ELi8ELi1ELi4EEEviiPKT_S4_PS2_ii
    .private_segment_fixed_size: 156
    .sgpr_count:     52
    .sgpr_spill_count: 0
    .symbol:         _ZN5aiter12wvSplitK_hf_I14__hip_bfloat16Li64ELi7ELi16ELi8ELi1ELi4EEEviiPKT_S4_PS2_ii.kd
    .uniform_work_group_size: 1
    .uses_dynamic_stack: false
    .vgpr_count:     128
    .vgpr_spill_count: 95
    .wavefront_size: 64
  - .agpr_count:     0
    .args:
      - .offset:         0
        .size:           4
        .value_kind:     by_value
      - .offset:         4
        .size:           4
        .value_kind:     by_value
      - .address_space:  global
        .offset:         8
        .size:           8
        .value_kind:     global_buffer
      - .actual_access:  read_only
        .address_space:  global
        .offset:         16
        .size:           8
        .value_kind:     global_buffer
      - .address_space:  global
        .offset:         24
        .size:           8
        .value_kind:     global_buffer
      - .offset:         32
        .size:           4
        .value_kind:     by_value
      - .offset:         36
        .size:           4
        .value_kind:     by_value
    .group_segment_fixed_size: 65536
    .kernarg_segment_align: 8
    .kernarg_segment_size: 40
    .language:       OpenCL C
    .language_version:
      - 2
      - 0
    .max_flat_workgroup_size: 1024
    .name:           _ZN5aiter16wvSplitK_hf_big_I14__hip_bfloat16Li64ELi7ELi16ELi8ELi1ELi4EEEviiPKT_S4_PS2_ii
    .private_segment_fixed_size: 20
    .sgpr_count:     64
    .sgpr_spill_count: 0
    .symbol:         _ZN5aiter16wvSplitK_hf_big_I14__hip_bfloat16Li64ELi7ELi16ELi8ELi1ELi4EEEviiPKT_S4_PS2_ii.kd
    .uniform_work_group_size: 1
    .uses_dynamic_stack: false
    .vgpr_count:     128
    .vgpr_spill_count: 4
    .wavefront_size: 64
  - .agpr_count:     0
    .args:
      - .offset:         0
        .size:           4
        .value_kind:     by_value
      - .offset:         4
        .size:           4
        .value_kind:     by_value
      - .offset:         8
        .size:           4
        .value_kind:     by_value
      - .address_space:  global
        .offset:         16
        .size:           8
        .value_kind:     global_buffer
      - .actual_access:  read_only
        .address_space:  global
        .offset:         24
        .size:           8
        .value_kind:     global_buffer
      - .address_space:  global
        .offset:         32
        .size:           8
        .value_kind:     global_buffer
      - .actual_access:  read_only
        .address_space:  global
        .offset:         40
        .size:           8
        .value_kind:     global_buffer
      - .actual_access:  read_only
        .address_space:  global
        .offset:         48
        .size:           8
        .value_kind:     global_buffer
      - .offset:         56
        .size:           4
        .value_kind:     by_value
      - .offset:         60
        .size:           4
        .value_kind:     by_value
    .group_segment_fixed_size: 65536
    .kernarg_segment_align: 8
    .kernarg_segment_size: 64
    .language:       OpenCL C
    .language_version:
      - 2
      - 0
    .max_flat_workgroup_size: 1024
    .name:           _ZN5aiter17wvSplitKQ_hf_sml_I6__halfhLi64ELi2ELi16ELi16ELi2ELi1EEEviiiPKT0_S4_PT_PKfS8_ii
    .private_segment_fixed_size: 0
    .sgpr_count:     31
    .sgpr_spill_count: 0
    .symbol:         _ZN5aiter17wvSplitKQ_hf_sml_I6__halfhLi64ELi2ELi16ELi16ELi2ELi1EEEviiiPKT0_S4_PT_PKfS8_ii.kd
    .uniform_work_group_size: 1
    .uses_dynamic_stack: false
    .vgpr_count:     64
    .vgpr_spill_count: 0
    .wavefront_size: 64
  - .agpr_count:     0
    .args:
      - .offset:         0
        .size:           4
        .value_kind:     by_value
      - .offset:         4
        .size:           4
        .value_kind:     by_value
      - .offset:         8
        .size:           4
        .value_kind:     by_value
      - .address_space:  global
        .offset:         16
        .size:           8
        .value_kind:     global_buffer
      - .actual_access:  read_only
        .address_space:  global
        .offset:         24
        .size:           8
        .value_kind:     global_buffer
      - .address_space:  global
        .offset:         32
        .size:           8
        .value_kind:     global_buffer
      - .actual_access:  read_only
        .address_space:  global
        .offset:         40
        .size:           8
        .value_kind:     global_buffer
      - .actual_access:  read_only
        .address_space:  global
        .offset:         48
        .size:           8
        .value_kind:     global_buffer
      - .offset:         56
        .size:           4
        .value_kind:     by_value
      - .offset:         60
        .size:           4
        .value_kind:     by_value
    .group_segment_fixed_size: 65536
    .kernarg_segment_align: 8
    .kernarg_segment_size: 64
    .language:       OpenCL C
    .language_version:
      - 2
      - 0
    .max_flat_workgroup_size: 1024
    .name:           _ZN5aiter13wvSplitKQ_hf_I6__halfhLi64ELi2ELi16ELi16ELi2ELi1EEEviiiPKT0_S4_PT_PKfS8_ii
    .private_segment_fixed_size: 0
    .sgpr_count:     38
    .sgpr_spill_count: 0
    .symbol:         _ZN5aiter13wvSplitKQ_hf_I6__halfhLi64ELi2ELi16ELi16ELi2ELi1EEEviiiPKT0_S4_PT_PKfS8_ii.kd
    .uniform_work_group_size: 1
    .uses_dynamic_stack: false
    .vgpr_count:     65
    .vgpr_spill_count: 0
    .wavefront_size: 64
  - .agpr_count:     0
    .args:
      - .offset:         0
        .size:           4
        .value_kind:     by_value
      - .offset:         4
        .size:           4
        .value_kind:     by_value
      - .offset:         8
        .size:           4
        .value_kind:     by_value
      - .address_space:  global
        .offset:         16
        .size:           8
        .value_kind:     global_buffer
      - .actual_access:  read_only
        .address_space:  global
        .offset:         24
        .size:           8
        .value_kind:     global_buffer
      - .address_space:  global
        .offset:         32
        .size:           8
        .value_kind:     global_buffer
      - .actual_access:  read_only
        .address_space:  global
        .offset:         40
        .size:           8
        .value_kind:     global_buffer
      - .actual_access:  read_only
        .address_space:  global
        .offset:         48
        .size:           8
        .value_kind:     global_buffer
      - .offset:         56
        .size:           4
        .value_kind:     by_value
      - .offset:         60
        .size:           4
        .value_kind:     by_value
    .group_segment_fixed_size: 65536
    .kernarg_segment_align: 8
    .kernarg_segment_size: 64
    .language:       OpenCL C
    .language_version:
      - 2
      - 0
    .max_flat_workgroup_size: 1024
    .name:           _ZN5aiter17wvSplitKQ_hf_sml_I6__halfhLi64ELi2ELi16ELi16ELi2ELi2EEEviiiPKT0_S4_PT_PKfS8_ii
    .private_segment_fixed_size: 0
    .sgpr_count:     31
    .sgpr_spill_count: 0
    .symbol:         _ZN5aiter17wvSplitKQ_hf_sml_I6__halfhLi64ELi2ELi16ELi16ELi2ELi2EEEviiiPKT0_S4_PT_PKfS8_ii.kd
    .uniform_work_group_size: 1
    .uses_dynamic_stack: false
    .vgpr_count:     105
    .vgpr_spill_count: 0
    .wavefront_size: 64
  - .agpr_count:     0
    .args:
      - .offset:         0
        .size:           4
        .value_kind:     by_value
      - .offset:         4
        .size:           4
        .value_kind:     by_value
      - .offset:         8
        .size:           4
        .value_kind:     by_value
      - .address_space:  global
        .offset:         16
        .size:           8
        .value_kind:     global_buffer
      - .actual_access:  read_only
        .address_space:  global
        .offset:         24
        .size:           8
        .value_kind:     global_buffer
      - .address_space:  global
        .offset:         32
        .size:           8
        .value_kind:     global_buffer
      - .actual_access:  read_only
        .address_space:  global
        .offset:         40
        .size:           8
        .value_kind:     global_buffer
      - .actual_access:  read_only
        .address_space:  global
        .offset:         48
        .size:           8
        .value_kind:     global_buffer
      - .offset:         56
        .size:           4
        .value_kind:     by_value
      - .offset:         60
        .size:           4
        .value_kind:     by_value
    .group_segment_fixed_size: 65536
    .kernarg_segment_align: 8
    .kernarg_segment_size: 64
    .language:       OpenCL C
    .language_version:
      - 2
      - 0
    .max_flat_workgroup_size: 1024
    .name:           _ZN5aiter13wvSplitKQ_hf_I6__halfhLi64ELi2ELi16ELi16ELi2ELi2EEEviiiPKT0_S4_PT_PKfS8_ii
    .private_segment_fixed_size: 0
    .sgpr_count:     38
    .sgpr_spill_count: 0
    .symbol:         _ZN5aiter13wvSplitKQ_hf_I6__halfhLi64ELi2ELi16ELi16ELi2ELi2EEEviiiPKT0_S4_PT_PKfS8_ii.kd
    .uniform_work_group_size: 1
    .uses_dynamic_stack: false
    .vgpr_count:     106
    .vgpr_spill_count: 0
    .wavefront_size: 64
  - .agpr_count:     0
    .args:
      - .offset:         0
        .size:           4
        .value_kind:     by_value
      - .offset:         4
        .size:           4
        .value_kind:     by_value
      - .offset:         8
        .size:           4
        .value_kind:     by_value
      - .address_space:  global
        .offset:         16
        .size:           8
        .value_kind:     global_buffer
      - .actual_access:  read_only
        .address_space:  global
        .offset:         24
        .size:           8
        .value_kind:     global_buffer
      - .address_space:  global
        .offset:         32
        .size:           8
        .value_kind:     global_buffer
      - .actual_access:  read_only
        .address_space:  global
        .offset:         40
        .size:           8
        .value_kind:     global_buffer
      - .actual_access:  read_only
        .address_space:  global
        .offset:         48
        .size:           8
        .value_kind:     global_buffer
      - .offset:         56
        .size:           4
        .value_kind:     by_value
      - .offset:         60
        .size:           4
        .value_kind:     by_value
    .group_segment_fixed_size: 65536
    .kernarg_segment_align: 8
    .kernarg_segment_size: 64
    .language:       OpenCL C
    .language_version:
      - 2
      - 0
    .max_flat_workgroup_size: 1024
    .name:           _ZN5aiter17wvSplitKQ_hf_sml_I6__halfhLi64ELi4ELi16ELi16ELi1ELi3EEEviiiPKT0_S4_PT_PKfS8_ii
    .private_segment_fixed_size: 672
    .sgpr_count:     32
    .sgpr_spill_count: 0
    .symbol:         _ZN5aiter17wvSplitKQ_hf_sml_I6__halfhLi64ELi4ELi16ELi16ELi1ELi3EEEviiiPKT0_S4_PT_PKfS8_ii.kd
    .uniform_work_group_size: 1
    .uses_dynamic_stack: false
    .vgpr_count:     128
    .vgpr_spill_count: 392
    .wavefront_size: 64
  - .agpr_count:     0
    .args:
      - .offset:         0
        .size:           4
        .value_kind:     by_value
      - .offset:         4
        .size:           4
        .value_kind:     by_value
      - .offset:         8
        .size:           4
        .value_kind:     by_value
      - .address_space:  global
        .offset:         16
        .size:           8
        .value_kind:     global_buffer
      - .actual_access:  read_only
        .address_space:  global
        .offset:         24
        .size:           8
        .value_kind:     global_buffer
      - .address_space:  global
        .offset:         32
        .size:           8
        .value_kind:     global_buffer
      - .actual_access:  read_only
        .address_space:  global
        .offset:         40
        .size:           8
        .value_kind:     global_buffer
      - .actual_access:  read_only
        .address_space:  global
        .offset:         48
        .size:           8
        .value_kind:     global_buffer
      - .offset:         56
        .size:           4
        .value_kind:     by_value
      - .offset:         60
        .size:           4
        .value_kind:     by_value
    .group_segment_fixed_size: 65536
    .kernarg_segment_align: 8
    .kernarg_segment_size: 64
    .language:       OpenCL C
    .language_version:
      - 2
      - 0
    .max_flat_workgroup_size: 1024
    .name:           _ZN5aiter13wvSplitKQ_hf_I6__halfhLi64ELi7ELi16ELi16ELi1ELi3EEEviiiPKT0_S4_PT_PKfS8_ii
    .private_segment_fixed_size: 3008
    .sgpr_count:     48
    .sgpr_spill_count: 0
    .symbol:         _ZN5aiter13wvSplitKQ_hf_I6__halfhLi64ELi7ELi16ELi16ELi1ELi3EEEviiiPKT0_S4_PT_PKfS8_ii.kd
    .uniform_work_group_size: 1
    .uses_dynamic_stack: false
    .vgpr_count:     128
    .vgpr_spill_count: 789
    .wavefront_size: 64
  - .agpr_count:     0
    .args:
      - .offset:         0
        .size:           4
        .value_kind:     by_value
      - .offset:         4
        .size:           4
        .value_kind:     by_value
      - .offset:         8
        .size:           4
        .value_kind:     by_value
      - .address_space:  global
        .offset:         16
        .size:           8
        .value_kind:     global_buffer
      - .actual_access:  read_only
        .address_space:  global
        .offset:         24
        .size:           8
        .value_kind:     global_buffer
      - .address_space:  global
        .offset:         32
        .size:           8
        .value_kind:     global_buffer
      - .actual_access:  read_only
        .address_space:  global
        .offset:         40
        .size:           8
        .value_kind:     global_buffer
      - .actual_access:  read_only
        .address_space:  global
        .offset:         48
        .size:           8
        .value_kind:     global_buffer
      - .offset:         56
        .size:           4
        .value_kind:     by_value
      - .offset:         60
        .size:           4
        .value_kind:     by_value
    .group_segment_fixed_size: 65536
    .kernarg_segment_align: 8
    .kernarg_segment_size: 64
    .language:       OpenCL C
    .language_version:
      - 2
      - 0
    .max_flat_workgroup_size: 1024
    .name:           _ZN5aiter17wvSplitKQ_hf_sml_I6__halfhLi64ELi4ELi16ELi16ELi1ELi4EEEviiiPKT0_S4_PT_PKfS8_ii
    .private_segment_fixed_size: 2048
    .sgpr_count:     34
    .sgpr_spill_count: 0
    .symbol:         _ZN5aiter17wvSplitKQ_hf_sml_I6__halfhLi64ELi4ELi16ELi16ELi1ELi4EEEviiiPKT0_S4_PT_PKfS8_ii.kd
    .uniform_work_group_size: 1
    .uses_dynamic_stack: false
    .vgpr_count:     128
    .vgpr_spill_count: 403
    .wavefront_size: 64
  - .agpr_count:     0
    .args:
      - .offset:         0
        .size:           4
        .value_kind:     by_value
      - .offset:         4
        .size:           4
        .value_kind:     by_value
      - .offset:         8
        .size:           4
        .value_kind:     by_value
      - .address_space:  global
        .offset:         16
        .size:           8
        .value_kind:     global_buffer
      - .actual_access:  read_only
        .address_space:  global
        .offset:         24
        .size:           8
        .value_kind:     global_buffer
      - .address_space:  global
        .offset:         32
        .size:           8
        .value_kind:     global_buffer
      - .actual_access:  read_only
        .address_space:  global
        .offset:         40
        .size:           8
        .value_kind:     global_buffer
      - .actual_access:  read_only
        .address_space:  global
        .offset:         48
        .size:           8
        .value_kind:     global_buffer
      - .offset:         56
        .size:           4
        .value_kind:     by_value
      - .offset:         60
        .size:           4
        .value_kind:     by_value
    .group_segment_fixed_size: 65536
    .kernarg_segment_align: 8
    .kernarg_segment_size: 64
    .language:       OpenCL C
    .language_version:
      - 2
      - 0
    .max_flat_workgroup_size: 1024
    .name:           _ZN5aiter13wvSplitKQ_hf_I6__halfhLi64ELi7ELi16ELi16ELi1ELi4EEEviiiPKT0_S4_PT_PKfS8_ii
    .private_segment_fixed_size: 3904
    .sgpr_count:     49
    .sgpr_spill_count: 0
    .symbol:         _ZN5aiter13wvSplitKQ_hf_I6__halfhLi64ELi7ELi16ELi16ELi1ELi4EEEviiiPKT0_S4_PT_PKfS8_ii.kd
    .uniform_work_group_size: 1
    .uses_dynamic_stack: false
    .vgpr_count:     128
    .vgpr_spill_count: 1015
    .wavefront_size: 64
  - .agpr_count:     0
    .args:
      - .offset:         0
        .size:           4
        .value_kind:     by_value
      - .offset:         4
        .size:           4
        .value_kind:     by_value
      - .offset:         8
        .size:           4
        .value_kind:     by_value
      - .address_space:  global
        .offset:         16
        .size:           8
        .value_kind:     global_buffer
      - .actual_access:  read_only
        .address_space:  global
        .offset:         24
        .size:           8
        .value_kind:     global_buffer
      - .address_space:  global
        .offset:         32
        .size:           8
        .value_kind:     global_buffer
      - .actual_access:  read_only
        .address_space:  global
        .offset:         40
        .size:           8
        .value_kind:     global_buffer
      - .actual_access:  read_only
        .address_space:  global
        .offset:         48
        .size:           8
        .value_kind:     global_buffer
      - .offset:         56
        .size:           4
        .value_kind:     by_value
      - .offset:         60
        .size:           4
        .value_kind:     by_value
    .group_segment_fixed_size: 65536
    .kernarg_segment_align: 8
    .kernarg_segment_size: 64
    .language:       OpenCL C
    .language_version:
      - 2
      - 0
    .max_flat_workgroup_size: 1024
    .name:           _ZN5aiter17wvSplitKQ_hf_sml_I14__hip_bfloat16hLi64ELi2ELi16ELi16ELi2ELi1EEEviiiPKT0_S4_PT_PKfS8_ii
    .private_segment_fixed_size: 0
    .sgpr_count:     33
    .sgpr_spill_count: 0
    .symbol:         _ZN5aiter17wvSplitKQ_hf_sml_I14__hip_bfloat16hLi64ELi2ELi16ELi16ELi2ELi1EEEviiiPKT0_S4_PT_PKfS8_ii.kd
    .uniform_work_group_size: 1
    .uses_dynamic_stack: false
    .vgpr_count:     64
    .vgpr_spill_count: 0
    .wavefront_size: 64
  - .agpr_count:     0
    .args:
      - .offset:         0
        .size:           4
        .value_kind:     by_value
      - .offset:         4
        .size:           4
        .value_kind:     by_value
      - .offset:         8
        .size:           4
        .value_kind:     by_value
      - .address_space:  global
        .offset:         16
        .size:           8
        .value_kind:     global_buffer
      - .actual_access:  read_only
        .address_space:  global
        .offset:         24
        .size:           8
        .value_kind:     global_buffer
      - .address_space:  global
        .offset:         32
        .size:           8
        .value_kind:     global_buffer
      - .actual_access:  read_only
        .address_space:  global
        .offset:         40
        .size:           8
        .value_kind:     global_buffer
      - .actual_access:  read_only
        .address_space:  global
        .offset:         48
        .size:           8
        .value_kind:     global_buffer
      - .offset:         56
        .size:           4
        .value_kind:     by_value
      - .offset:         60
        .size:           4
        .value_kind:     by_value
    .group_segment_fixed_size: 65536
    .kernarg_segment_align: 8
    .kernarg_segment_size: 64
    .language:       OpenCL C
    .language_version:
      - 2
      - 0
    .max_flat_workgroup_size: 1024
    .name:           _ZN5aiter13wvSplitKQ_hf_I14__hip_bfloat16hLi64ELi2ELi16ELi16ELi2ELi1EEEviiiPKT0_S4_PT_PKfS8_ii
    .private_segment_fixed_size: 0
    .sgpr_count:     41
    .sgpr_spill_count: 0
    .symbol:         _ZN5aiter13wvSplitKQ_hf_I14__hip_bfloat16hLi64ELi2ELi16ELi16ELi2ELi1EEEviiiPKT0_S4_PT_PKfS8_ii.kd
    .uniform_work_group_size: 1
    .uses_dynamic_stack: false
    .vgpr_count:     65
    .vgpr_spill_count: 0
    .wavefront_size: 64
  - .agpr_count:     0
    .args:
      - .offset:         0
        .size:           4
        .value_kind:     by_value
      - .offset:         4
        .size:           4
        .value_kind:     by_value
      - .offset:         8
        .size:           4
        .value_kind:     by_value
      - .address_space:  global
        .offset:         16
        .size:           8
        .value_kind:     global_buffer
      - .actual_access:  read_only
        .address_space:  global
        .offset:         24
        .size:           8
        .value_kind:     global_buffer
      - .address_space:  global
        .offset:         32
        .size:           8
        .value_kind:     global_buffer
      - .actual_access:  read_only
        .address_space:  global
        .offset:         40
        .size:           8
        .value_kind:     global_buffer
      - .actual_access:  read_only
        .address_space:  global
        .offset:         48
        .size:           8
        .value_kind:     global_buffer
      - .offset:         56
        .size:           4
        .value_kind:     by_value
      - .offset:         60
        .size:           4
        .value_kind:     by_value
    .group_segment_fixed_size: 65536
    .kernarg_segment_align: 8
    .kernarg_segment_size: 64
    .language:       OpenCL C
    .language_version:
      - 2
      - 0
    .max_flat_workgroup_size: 1024
    .name:           _ZN5aiter17wvSplitKQ_hf_sml_I14__hip_bfloat16hLi64ELi2ELi16ELi16ELi2ELi2EEEviiiPKT0_S4_PT_PKfS8_ii
    .private_segment_fixed_size: 0
    .sgpr_count:     33
    .sgpr_spill_count: 0
    .symbol:         _ZN5aiter17wvSplitKQ_hf_sml_I14__hip_bfloat16hLi64ELi2ELi16ELi16ELi2ELi2EEEviiiPKT0_S4_PT_PKfS8_ii.kd
    .uniform_work_group_size: 1
    .uses_dynamic_stack: false
    .vgpr_count:     105
    .vgpr_spill_count: 0
    .wavefront_size: 64
  - .agpr_count:     0
    .args:
      - .offset:         0
        .size:           4
        .value_kind:     by_value
      - .offset:         4
        .size:           4
        .value_kind:     by_value
      - .offset:         8
        .size:           4
        .value_kind:     by_value
      - .address_space:  global
        .offset:         16
        .size:           8
        .value_kind:     global_buffer
      - .actual_access:  read_only
        .address_space:  global
        .offset:         24
        .size:           8
        .value_kind:     global_buffer
      - .address_space:  global
        .offset:         32
        .size:           8
        .value_kind:     global_buffer
      - .actual_access:  read_only
        .address_space:  global
        .offset:         40
        .size:           8
        .value_kind:     global_buffer
      - .actual_access:  read_only
        .address_space:  global
        .offset:         48
        .size:           8
        .value_kind:     global_buffer
      - .offset:         56
        .size:           4
        .value_kind:     by_value
      - .offset:         60
        .size:           4
        .value_kind:     by_value
    .group_segment_fixed_size: 65536
    .kernarg_segment_align: 8
    .kernarg_segment_size: 64
    .language:       OpenCL C
    .language_version:
      - 2
      - 0
    .max_flat_workgroup_size: 1024
    .name:           _ZN5aiter13wvSplitKQ_hf_I14__hip_bfloat16hLi64ELi2ELi16ELi16ELi2ELi2EEEviiiPKT0_S4_PT_PKfS8_ii
    .private_segment_fixed_size: 0
    .sgpr_count:     41
    .sgpr_spill_count: 0
    .symbol:         _ZN5aiter13wvSplitKQ_hf_I14__hip_bfloat16hLi64ELi2ELi16ELi16ELi2ELi2EEEviiiPKT0_S4_PT_PKfS8_ii.kd
    .uniform_work_group_size: 1
    .uses_dynamic_stack: false
    .vgpr_count:     106
    .vgpr_spill_count: 0
    .wavefront_size: 64
  - .agpr_count:     0
    .args:
      - .offset:         0
        .size:           4
        .value_kind:     by_value
      - .offset:         4
        .size:           4
        .value_kind:     by_value
      - .offset:         8
        .size:           4
        .value_kind:     by_value
      - .address_space:  global
        .offset:         16
        .size:           8
        .value_kind:     global_buffer
      - .actual_access:  read_only
        .address_space:  global
        .offset:         24
        .size:           8
        .value_kind:     global_buffer
      - .address_space:  global
        .offset:         32
        .size:           8
        .value_kind:     global_buffer
      - .actual_access:  read_only
        .address_space:  global
        .offset:         40
        .size:           8
        .value_kind:     global_buffer
      - .actual_access:  read_only
        .address_space:  global
        .offset:         48
        .size:           8
        .value_kind:     global_buffer
      - .offset:         56
        .size:           4
        .value_kind:     by_value
      - .offset:         60
        .size:           4
        .value_kind:     by_value
    .group_segment_fixed_size: 65536
    .kernarg_segment_align: 8
    .kernarg_segment_size: 64
    .language:       OpenCL C
    .language_version:
      - 2
      - 0
    .max_flat_workgroup_size: 1024
    .name:           _ZN5aiter17wvSplitKQ_hf_sml_I14__hip_bfloat16hLi64ELi4ELi16ELi16ELi1ELi3EEEviiiPKT0_S4_PT_PKfS8_ii
    .private_segment_fixed_size: 668
    .sgpr_count:     34
    .sgpr_spill_count: 0
    .symbol:         _ZN5aiter17wvSplitKQ_hf_sml_I14__hip_bfloat16hLi64ELi4ELi16ELi16ELi1ELi3EEEviiiPKT0_S4_PT_PKfS8_ii.kd
    .uniform_work_group_size: 1
    .uses_dynamic_stack: false
    .vgpr_count:     127
    .vgpr_spill_count: 391
    .wavefront_size: 64
  - .agpr_count:     0
    .args:
      - .offset:         0
        .size:           4
        .value_kind:     by_value
      - .offset:         4
        .size:           4
        .value_kind:     by_value
      - .offset:         8
        .size:           4
        .value_kind:     by_value
      - .address_space:  global
        .offset:         16
        .size:           8
        .value_kind:     global_buffer
      - .actual_access:  read_only
        .address_space:  global
        .offset:         24
        .size:           8
        .value_kind:     global_buffer
      - .address_space:  global
        .offset:         32
        .size:           8
        .value_kind:     global_buffer
      - .actual_access:  read_only
        .address_space:  global
        .offset:         40
        .size:           8
        .value_kind:     global_buffer
      - .actual_access:  read_only
        .address_space:  global
        .offset:         48
        .size:           8
        .value_kind:     global_buffer
      - .offset:         56
        .size:           4
        .value_kind:     by_value
      - .offset:         60
        .size:           4
        .value_kind:     by_value
    .group_segment_fixed_size: 65536
    .kernarg_segment_align: 8
    .kernarg_segment_size: 64
    .language:       OpenCL C
    .language_version:
      - 2
      - 0
    .max_flat_workgroup_size: 1024
    .name:           _ZN5aiter13wvSplitKQ_hf_I14__hip_bfloat16hLi64ELi7ELi16ELi16ELi1ELi3EEEviiiPKT0_S4_PT_PKfS8_ii
    .private_segment_fixed_size: 3008
    .sgpr_count:     50
    .sgpr_spill_count: 0
    .symbol:         _ZN5aiter13wvSplitKQ_hf_I14__hip_bfloat16hLi64ELi7ELi16ELi16ELi1ELi3EEEviiiPKT0_S4_PT_PKfS8_ii.kd
    .uniform_work_group_size: 1
    .uses_dynamic_stack: false
    .vgpr_count:     128
    .vgpr_spill_count: 793
    .wavefront_size: 64
  - .agpr_count:     0
    .args:
      - .offset:         0
        .size:           4
        .value_kind:     by_value
      - .offset:         4
        .size:           4
        .value_kind:     by_value
      - .offset:         8
        .size:           4
        .value_kind:     by_value
      - .address_space:  global
        .offset:         16
        .size:           8
        .value_kind:     global_buffer
      - .actual_access:  read_only
        .address_space:  global
        .offset:         24
        .size:           8
        .value_kind:     global_buffer
      - .address_space:  global
        .offset:         32
        .size:           8
        .value_kind:     global_buffer
      - .actual_access:  read_only
        .address_space:  global
        .offset:         40
        .size:           8
        .value_kind:     global_buffer
      - .actual_access:  read_only
        .address_space:  global
        .offset:         48
        .size:           8
        .value_kind:     global_buffer
      - .offset:         56
        .size:           4
        .value_kind:     by_value
      - .offset:         60
        .size:           4
        .value_kind:     by_value
    .group_segment_fixed_size: 65536
    .kernarg_segment_align: 8
    .kernarg_segment_size: 64
    .language:       OpenCL C
    .language_version:
      - 2
      - 0
    .max_flat_workgroup_size: 1024
    .name:           _ZN5aiter17wvSplitKQ_hf_sml_I14__hip_bfloat16hLi64ELi4ELi16ELi16ELi1ELi4EEEviiiPKT0_S4_PT_PKfS8_ii
    .private_segment_fixed_size: 2048
    .sgpr_count:     34
    .sgpr_spill_count: 0
    .symbol:         _ZN5aiter17wvSplitKQ_hf_sml_I14__hip_bfloat16hLi64ELi4ELi16ELi16ELi1ELi4EEEviiiPKT0_S4_PT_PKfS8_ii.kd
    .uniform_work_group_size: 1
    .uses_dynamic_stack: false
    .vgpr_count:     128
    .vgpr_spill_count: 403
    .wavefront_size: 64
  - .agpr_count:     0
    .args:
      - .offset:         0
        .size:           4
        .value_kind:     by_value
      - .offset:         4
        .size:           4
        .value_kind:     by_value
      - .offset:         8
        .size:           4
        .value_kind:     by_value
      - .address_space:  global
        .offset:         16
        .size:           8
        .value_kind:     global_buffer
      - .actual_access:  read_only
        .address_space:  global
        .offset:         24
        .size:           8
        .value_kind:     global_buffer
      - .address_space:  global
        .offset:         32
        .size:           8
        .value_kind:     global_buffer
      - .actual_access:  read_only
        .address_space:  global
        .offset:         40
        .size:           8
        .value_kind:     global_buffer
      - .actual_access:  read_only
        .address_space:  global
        .offset:         48
        .size:           8
        .value_kind:     global_buffer
      - .offset:         56
        .size:           4
        .value_kind:     by_value
      - .offset:         60
        .size:           4
        .value_kind:     by_value
    .group_segment_fixed_size: 65536
    .kernarg_segment_align: 8
    .kernarg_segment_size: 64
    .language:       OpenCL C
    .language_version:
      - 2
      - 0
    .max_flat_workgroup_size: 1024
    .name:           _ZN5aiter13wvSplitKQ_hf_I14__hip_bfloat16hLi64ELi7ELi16ELi16ELi1ELi4EEEviiiPKT0_S4_PT_PKfS8_ii
    .private_segment_fixed_size: 3904
    .sgpr_count:     51
    .sgpr_spill_count: 0
    .symbol:         _ZN5aiter13wvSplitKQ_hf_I14__hip_bfloat16hLi64ELi7ELi16ELi16ELi1ELi4EEEviiiPKT0_S4_PT_PKfS8_ii.kd
    .uniform_work_group_size: 1
    .uses_dynamic_stack: false
    .vgpr_count:     128
    .vgpr_spill_count: 1033
    .wavefront_size: 64
  - .agpr_count:     0
    .args:
      - .offset:         0
        .size:           4
        .value_kind:     by_value
      - .offset:         4
        .size:           4
        .value_kind:     by_value
      - .address_space:  global
        .offset:         8
        .size:           8
        .value_kind:     global_buffer
      - .offset:         16
        .size:           4
        .value_kind:     by_value
      - .address_space:  global
        .offset:         24
        .size:           8
        .value_kind:     global_buffer
      - .address_space:  global
        .offset:         32
        .size:           8
        .value_kind:     global_buffer
      - .offset:         40
        .size:           4
        .value_kind:     hidden_block_count_x
      - .offset:         44
        .size:           4
        .value_kind:     hidden_block_count_y
      - .offset:         48
        .size:           4
        .value_kind:     hidden_block_count_z
      - .offset:         52
        .size:           2
        .value_kind:     hidden_group_size_x
      - .offset:         54
        .size:           2
        .value_kind:     hidden_group_size_y
      - .offset:         56
        .size:           2
        .value_kind:     hidden_group_size_z
      - .offset:         58
        .size:           2
        .value_kind:     hidden_remainder_x
      - .offset:         60
        .size:           2
        .value_kind:     hidden_remainder_y
      - .offset:         62
        .size:           2
        .value_kind:     hidden_remainder_z
      - .offset:         80
        .size:           8
        .value_kind:     hidden_global_offset_x
      - .offset:         88
        .size:           8
        .value_kind:     hidden_global_offset_y
      - .offset:         96
        .size:           8
        .value_kind:     hidden_global_offset_z
      - .offset:         104
        .size:           2
        .value_kind:     hidden_grid_dims
    .group_segment_fixed_size: 0
    .kernarg_segment_align: 8
    .kernarg_segment_size: 296
    .language:       OpenCL C
    .language_version:
      - 2
      - 0
    .max_flat_workgroup_size: 512
    .name:           _ZN5aiter14HGEMV_WFPerRowILi64ELi512ELi4ELi8EEEviiPKDF16_iS2_PDF16_
    .private_segment_fixed_size: 0
    .sgpr_count:     26
    .sgpr_spill_count: 0
    .symbol:         _ZN5aiter14HGEMV_WFPerRowILi64ELi512ELi4ELi8EEEviiPKDF16_iS2_PDF16_.kd
    .uniform_work_group_size: 1
    .uses_dynamic_stack: false
    .vgpr_count:     73
    .vgpr_spill_count: 0
    .wavefront_size: 64
  - .agpr_count:     0
    .args:
      - .offset:         0
        .size:           4
        .value_kind:     by_value
      - .offset:         4
        .size:           4
        .value_kind:     by_value
      - .address_space:  global
        .offset:         8
        .size:           8
        .value_kind:     global_buffer
      - .offset:         16
        .size:           4
        .value_kind:     by_value
      - .address_space:  global
        .offset:         24
        .size:           8
        .value_kind:     global_buffer
      - .address_space:  global
        .offset:         32
        .size:           8
        .value_kind:     global_buffer
      - .offset:         40
        .size:           4
        .value_kind:     hidden_block_count_x
      - .offset:         44
        .size:           4
        .value_kind:     hidden_block_count_y
      - .offset:         48
        .size:           4
        .value_kind:     hidden_block_count_z
      - .offset:         52
        .size:           2
        .value_kind:     hidden_group_size_x
      - .offset:         54
        .size:           2
        .value_kind:     hidden_group_size_y
      - .offset:         56
        .size:           2
        .value_kind:     hidden_group_size_z
      - .offset:         58
        .size:           2
        .value_kind:     hidden_remainder_x
      - .offset:         60
        .size:           2
        .value_kind:     hidden_remainder_y
      - .offset:         62
        .size:           2
        .value_kind:     hidden_remainder_z
      - .offset:         80
        .size:           8
        .value_kind:     hidden_global_offset_x
      - .offset:         88
        .size:           8
        .value_kind:     hidden_global_offset_y
      - .offset:         96
        .size:           8
        .value_kind:     hidden_global_offset_z
      - .offset:         104
        .size:           2
        .value_kind:     hidden_grid_dims
    .group_segment_fixed_size: 0
    .kernarg_segment_align: 8
    .kernarg_segment_size: 296
    .language:       OpenCL C
    .language_version:
      - 2
      - 0
    .max_flat_workgroup_size: 512
    .name:           _ZN5aiter14HGEMV_WFPerRowILi64ELi512ELi2ELi8EEEviiPKDF16_iS2_PDF16_
    .private_segment_fixed_size: 0
    .sgpr_count:     26
    .sgpr_spill_count: 0
    .symbol:         _ZN5aiter14HGEMV_WFPerRowILi64ELi512ELi2ELi8EEEviiPKDF16_iS2_PDF16_.kd
    .uniform_work_group_size: 1
    .uses_dynamic_stack: false
    .vgpr_count:     47
    .vgpr_spill_count: 0
    .wavefront_size: 64
  - .agpr_count:     0
    .args:
      - .offset:         0
        .size:           4
        .value_kind:     by_value
      - .offset:         4
        .size:           4
        .value_kind:     by_value
      - .address_space:  global
        .offset:         8
        .size:           8
        .value_kind:     global_buffer
      - .offset:         16
        .size:           4
        .value_kind:     by_value
      - .address_space:  global
        .offset:         24
        .size:           8
        .value_kind:     global_buffer
      - .address_space:  global
        .offset:         32
        .size:           8
        .value_kind:     global_buffer
      - .offset:         40
        .size:           4
        .value_kind:     hidden_block_count_x
      - .offset:         44
        .size:           4
        .value_kind:     hidden_block_count_y
      - .offset:         48
        .size:           4
        .value_kind:     hidden_block_count_z
      - .offset:         52
        .size:           2
        .value_kind:     hidden_group_size_x
      - .offset:         54
        .size:           2
        .value_kind:     hidden_group_size_y
      - .offset:         56
        .size:           2
        .value_kind:     hidden_group_size_z
      - .offset:         58
        .size:           2
        .value_kind:     hidden_remainder_x
      - .offset:         60
        .size:           2
        .value_kind:     hidden_remainder_y
      - .offset:         62
        .size:           2
        .value_kind:     hidden_remainder_z
      - .offset:         80
        .size:           8
        .value_kind:     hidden_global_offset_x
      - .offset:         88
        .size:           8
        .value_kind:     hidden_global_offset_y
      - .offset:         96
        .size:           8
        .value_kind:     hidden_global_offset_z
      - .offset:         104
        .size:           2
        .value_kind:     hidden_grid_dims
    .group_segment_fixed_size: 0
    .kernarg_segment_align: 8
    .kernarg_segment_size: 296
    .language:       OpenCL C
    .language_version:
      - 2
      - 0
    .max_flat_workgroup_size: 512
    .name:           _ZN5aiter14HGEMV_WFPerRowILi64ELi512ELi1ELi8EEEviiPKDF16_iS2_PDF16_
    .private_segment_fixed_size: 0
    .sgpr_count:     26
    .sgpr_spill_count: 0
    .symbol:         _ZN5aiter14HGEMV_WFPerRowILi64ELi512ELi1ELi8EEEviiPKDF16_iS2_PDF16_.kd
    .uniform_work_group_size: 1
    .uses_dynamic_stack: false
    .vgpr_count:     34
    .vgpr_spill_count: 0
    .wavefront_size: 64
amdhsa.target:   amdgcn-amd-amdhsa--gfx942
amdhsa.version:
  - 1
  - 2
...

	.end_amdgpu_metadata
